;; amdgpu-corpus repo=pytorch/pytorch kind=compiled arch=gfx950 opt=O3
	.amdgcn_target "amdgcn-amd-amdhsa--gfx950"
	.amdhsa_code_object_version 6
	.text
	.p2align	2                               ; -- Begin function _ZN2at6native25elementwise_kernel_helperILb0EZZZNS0_12_GLOBAL__N_119airy_ai_kernel_cudaERNS_18TensorIteratorBaseEENKUlvE_clEvENKUlvE_clEvEUldE_NS0_6memory8policies11unroll_baseILi256ESt5arrayIPcLm2EE23TrivialOffsetCalculatorILi1EjESF_NS8_15LoadWithoutCastENS8_16StoreWithoutCastELi4ELi1EEEEEvT0_T1_
	.type	_ZN2at6native25elementwise_kernel_helperILb0EZZZNS0_12_GLOBAL__N_119airy_ai_kernel_cudaERNS_18TensorIteratorBaseEENKUlvE_clEvENKUlvE_clEvEUldE_NS0_6memory8policies11unroll_baseILi256ESt5arrayIPcLm2EE23TrivialOffsetCalculatorILi1EjESF_NS8_15LoadWithoutCastENS8_16StoreWithoutCastELi4ELi1EEEEEvT0_T1_,@function
_ZN2at6native25elementwise_kernel_helperILb0EZZZNS0_12_GLOBAL__N_119airy_ai_kernel_cudaERNS_18TensorIteratorBaseEENKUlvE_clEvENKUlvE_clEvEUldE_NS0_6memory8policies11unroll_baseILi256ESt5arrayIPcLm2EE23TrivialOffsetCalculatorILi1EjESF_NS8_15LoadWithoutCastENS8_16StoreWithoutCastELi4ELi1EEEEEvT0_T1_: ; @_ZN2at6native25elementwise_kernel_helperILb0EZZZNS0_12_GLOBAL__N_119airy_ai_kernel_cudaERNS_18TensorIteratorBaseEENKUlvE_clEvENKUlvE_clEvEUldE_NS0_6memory8policies11unroll_baseILi256ESt5arrayIPcLm2EE23TrivialOffsetCalculatorILi1EjESF_NS8_15LoadWithoutCastENS8_16StoreWithoutCastELi4ELi1EEEEEvT0_T1_
; %bb.0:
	s_waitcnt vmcnt(0) expcnt(0) lgkmcnt(0)
	v_and_b32_e32 v5, 0x3ff, v31
	s_lshl_b32 s42, s12, 10
	v_cmp_lt_i32_e64 s[0:1], v5, v4
	v_mov_b64_e32 v[18:19], 0
	v_or_b32_e32 v6, s42, v5
	v_mov_b64_e32 v[20:21], 0
	v_mov_b32_e32 v7, v5
	s_and_saveexec_b64 s[2:3], s[0:1]
	s_cbranch_execz .LBB0_2
; %bb.1:
	v_mov_b32_e32 v7, 0
	v_lshl_add_u64 v[8:9], v[6:7], 3, v[2:3]
	flat_load_dwordx2 v[20:21], v[8:9]
	v_add_u32_e32 v7, 0x100, v5
.LBB0_2:
	s_or_b64 exec, exec, s[2:3]
	v_cmp_lt_i32_e32 vcc, v7, v4
	s_and_saveexec_b64 s[2:3], vcc
	s_cbranch_execz .LBB0_4
; %bb.3:
	v_add_u32_e32 v8, s42, v7
	v_mov_b32_e32 v9, 0
	v_lshl_add_u64 v[8:9], v[8:9], 3, v[2:3]
	flat_load_dwordx2 v[18:19], v[8:9]
	v_add_u32_e32 v7, 0x100, v7
.LBB0_4:
	s_or_b64 exec, exec, s[2:3]
	v_cmp_lt_i32_e32 vcc, v7, v4
	v_mov_b64_e32 v[8:9], 0
	v_mov_b64_e32 v[10:11], 0
	s_and_saveexec_b64 s[2:3], vcc
	s_cbranch_execz .LBB0_6
; %bb.5:
	v_add_u32_e32 v10, s42, v7
	v_mov_b32_e32 v11, 0
	v_lshl_add_u64 v[10:11], v[10:11], 3, v[2:3]
	flat_load_dwordx2 v[10:11], v[10:11]
	v_add_u32_e32 v7, 0x100, v7
.LBB0_6:
	s_or_b64 exec, exec, s[2:3]
	v_cmp_lt_i32_e32 vcc, v7, v4
	s_and_saveexec_b64 s[2:3], vcc
	s_cbranch_execz .LBB0_8
; %bb.7:
	v_add_u32_e32 v8, s42, v7
	v_mov_b32_e32 v9, 0
	v_lshl_add_u64 v[2:3], v[8:9], 3, v[2:3]
	flat_load_dwordx2 v[8:9], v[2:3]
.LBB0_8:
	s_or_b64 exec, exec, s[2:3]
	v_mov_b32_e32 v2, 0
	v_mov_b32_e32 v3, v2
	;; [unrolled: 1-line block ×8, first 2 shown]
	s_and_saveexec_b64 s[4:5], s[0:1]
	s_cbranch_execz .LBB0_32
; %bb.9:
	s_mov_b32 s2, 0
	s_mov_b32 s3, 0x7ff00000
	v_mov_b32_e32 v2, 0
	s_waitcnt vmcnt(0) lgkmcnt(0)
	v_cmp_neq_f64_e64 s[2:3], |v[20:21]|, s[2:3]
	v_mov_b32_e32 v3, 0x7ff80000
	s_and_saveexec_b64 s[6:7], s[2:3]
	s_cbranch_execz .LBB0_31
; %bb.10:
	s_mov_b32 s2, 0x872b020c
	s_mov_b32 s3, 0x4059f916
	v_cmp_nlt_f64_e32 vcc, s[2:3], v[20:21]
	v_mov_b64_e32 v[2:3], 0
	s_and_saveexec_b64 s[8:9], vcc
	s_cbranch_execz .LBB0_30
; %bb.11:
	s_mov_b32 s3, 0xc000b851
	s_mov_b32 s2, 0xeb851eb8
	v_cmp_ngt_f64_e32 vcc, s[2:3], v[20:21]
                                        ; implicit-def: $vgpr2_vgpr3
	s_and_saveexec_b64 s[10:11], vcc
	s_xor_b64 s[10:11], exec, s[10:11]
	s_cbranch_execz .LBB0_19
; %bb.12:
	s_mov_b32 s3, 0x4000b851
	v_cmp_nle_f64_e64 s[12:13], s[2:3], v[20:21]
	v_cmp_le_f64_e32 vcc, s[2:3], v[20:21]
	v_mov_b64_e32 v[2:3], 0
	s_mov_b64 s[2:3], s[12:13]
	s_and_saveexec_b64 s[14:15], vcc
	s_cbranch_execz .LBB0_14
; %bb.13:
	s_mov_b32 s2, 0
	s_brev_b32 s3, 8
	v_mov_b32_e32 v7, 0x100
	v_cmp_gt_f64_e32 vcc, s[2:3], v[20:21]
	v_mov_b32_e32 v30, 0xffffff80
	v_mov_b32_e32 v31, 0x260
	v_cndmask_b32_e32 v2, 0, v7, vcc
	v_ldexp_f64 v[2:3], v[20:21], v2
	v_rsq_f64_e32 v[12:13], v[2:3]
	v_add_f64 v[14:15], v[20:21], v[20:21]
	s_mov_b32 s16, 0
	s_mov_b32 s17, 0x40080000
	v_mul_f64 v[16:17], v[2:3], v[12:13]
	v_mul_f64 v[12:13], v[12:13], 0.5
	v_fma_f64 v[22:23], -v[12:13], v[16:17], 0.5
	v_fmac_f64_e32 v[16:17], v[16:17], v[22:23]
	v_fma_f64 v[24:25], -v[16:17], v[16:17], v[2:3]
	v_fmac_f64_e32 v[12:13], v[12:13], v[22:23]
	v_fmac_f64_e32 v[16:17], v[24:25], v[12:13]
	v_fma_f64 v[22:23], -v[16:17], v[16:17], v[2:3]
	v_fmac_f64_e32 v[16:17], v[22:23], v[12:13]
	v_cndmask_b32_e32 v12, 0, v30, vcc
	v_ldexp_f64 v[12:13], v[16:17], v12
	v_cmp_class_f64_e32 vcc, v[2:3], v31
	s_nop 1
	v_cndmask_b32_e32 v3, v13, v3, vcc
	v_cndmask_b32_e32 v2, v12, v2, vcc
	v_mul_f64 v[12:13], v[14:15], v[2:3]
	v_div_scale_f64 v[14:15], s[18:19], s[16:17], s[16:17], v[12:13]
	v_rcp_f64_e32 v[16:17], v[14:15]
	s_nop 0
	v_fma_f64 v[22:23], -v[14:15], v[16:17], 1.0
	v_fmac_f64_e32 v[16:17], v[16:17], v[22:23]
	v_fma_f64 v[22:23], -v[14:15], v[16:17], 1.0
	v_fmac_f64_e32 v[16:17], v[16:17], v[22:23]
	v_div_scale_f64 v[22:23], vcc, v[12:13], s[16:17], v[12:13]
	v_mul_f64 v[24:25], v[22:23], v[16:17]
	v_fma_f64 v[14:15], -v[14:15], v[24:25], v[22:23]
	s_nop 1
	v_div_fmas_f64 v[14:15], v[14:15], v[16:17], v[24:25]
	v_div_fixup_f64 v[12:13], v[14:15], s[16:17], v[12:13]
	v_div_scale_f64 v[14:15], s[16:17], v[12:13], v[12:13], 1.0
	v_rcp_f64_e32 v[16:17], v[14:15]
	s_nop 0
	v_fma_f64 v[22:23], -v[14:15], v[16:17], 1.0
	v_fmac_f64_e32 v[16:17], v[16:17], v[22:23]
	v_fma_f64 v[22:23], -v[14:15], v[16:17], 1.0
	v_fmac_f64_e32 v[16:17], v[16:17], v[22:23]
	v_div_scale_f64 v[22:23], vcc, 1.0, v[12:13], 1.0
	v_mul_f64 v[24:25], v[22:23], v[16:17]
	v_fma_f64 v[14:15], -v[14:15], v[24:25], v[22:23]
	v_mov_b32_e32 v22, 0x871a9067
	s_nop 0
	v_div_fmas_f64 v[14:15], v[14:15], v[16:17], v[24:25]
	v_div_fixup_f64 v[14:15], v[14:15], v[12:13], 1.0
	v_mov_b32_e32 v16, 0x2537b658
	v_mov_b32_e32 v17, 0x3fd62dae
	v_fmac_f64_e32 v[16:17], 0, v[14:15]
	v_mov_b32_e32 v23, 0x402803e3
	v_fmac_f64_e32 v[22:23], v[14:15], v[16:17]
	v_mov_b32_e32 v16, 0xde2e1e3
	v_mov_b32_e32 v17, 0x405311e5
	v_fmac_f64_e32 v[16:17], v[14:15], v[22:23]
	v_mov_b32_e32 v22, 0xee40073c
	;; [unrolled: 3-line block ×12, first 2 shown]
	v_mov_b32_e32 v23, 0x402c311b
	v_fmac_f64_e32 v[22:23], v[14:15], v[24:25]
	v_fma_f64 v[22:23], v[14:15], v[22:23], 1.0
	v_fma_f64 v[14:15], v[14:15], v[16:17], 1.0
	v_div_scale_f64 v[16:17], s[16:17], v[22:23], v[22:23], v[14:15]
	v_rcp_f64_e32 v[24:25], v[16:17]
	s_nop 0
	v_fma_f64 v[26:27], -v[16:17], v[24:25], 1.0
	v_fmac_f64_e32 v[24:25], v[24:25], v[26:27]
	v_fma_f64 v[26:27], -v[16:17], v[24:25], 1.0
	v_fmac_f64_e32 v[24:25], v[24:25], v[26:27]
	v_div_scale_f64 v[26:27], vcc, v[14:15], v[22:23], v[14:15]
	v_mul_f64 v[28:29], v[26:27], v[24:25]
	v_fma_f64 v[16:17], -v[16:17], v[28:29], v[26:27]
	s_nop 1
	v_div_fmas_f64 v[16:17], v[16:17], v[24:25], v[28:29]
	v_cmp_gt_f64_e32 vcc, s[2:3], v[2:3]
	v_div_fixup_f64 v[14:15], v[16:17], v[22:23], v[14:15]
	s_mov_b32 s2, 0x50429b6d
	v_cndmask_b32_e32 v7, 0, v7, vcc
	v_ldexp_f64 v[2:3], v[2:3], v7
	v_rsq_f64_e32 v[16:17], v[2:3]
	s_mov_b32 s3, 0x3fe20dd7
	v_mul_f64 v[14:15], v[14:15], s[2:3]
	v_cndmask_b32_e32 v7, 0, v30, vcc
	v_mul_f64 v[22:23], v[2:3], v[16:17]
	v_mul_f64 v[16:17], v[16:17], 0.5
	v_fma_f64 v[24:25], -v[16:17], v[22:23], 0.5
	v_fmac_f64_e32 v[22:23], v[22:23], v[24:25]
	v_fma_f64 v[26:27], -v[22:23], v[22:23], v[2:3]
	v_fmac_f64_e32 v[16:17], v[16:17], v[24:25]
	v_fmac_f64_e32 v[22:23], v[26:27], v[16:17]
	v_fma_f64 v[24:25], -v[22:23], v[22:23], v[2:3]
	v_fmac_f64_e32 v[22:23], v[24:25], v[16:17]
	s_mov_b32 s2, 0x652b82fe
	v_ldexp_f64 v[16:17], v[22:23], v7
	v_cmp_class_f64_e32 vcc, v[2:3], v31
	s_mov_b32 s3, 0x3ff71547
	v_mov_b32_e32 v24, 0xfca7ab0c
	v_cndmask_b32_e32 v3, v17, v3, vcc
	v_cndmask_b32_e32 v2, v16, v2, vcc
	v_mul_f64 v[16:17], v[12:13], s[2:3]
	s_mov_b32 s2, 0xfefa39ef
	v_rndne_f64_e32 v[16:17], v[16:17]
	s_mov_b32 s3, 0xbfe62e42
	v_fma_f64 v[22:23], s[2:3], v[16:17], v[12:13]
	s_mov_b32 s2, 0x3b39803f
	s_mov_b32 s3, 0xbc7abc9e
	v_fmac_f64_e32 v[22:23], s[2:3], v[16:17]
	s_mov_b32 s2, 0x6a5dcb37
	v_mov_b32_e32 v25, 0x3e928af3
	s_mov_b32 s3, 0x3e5ade15
	v_fmac_f64_e32 v[24:25], s[2:3], v[22:23]
	v_mov_b32_e32 v26, 0x623fde64
	v_mov_b32_e32 v27, 0x3ec71dee
	v_fmac_f64_e32 v[26:27], v[22:23], v[24:25]
	v_mov_b32_e32 v24, 0x7c89e6b0
	v_mov_b32_e32 v25, 0x3efa0199
	v_fmac_f64_e32 v[24:25], v[22:23], v[26:27]
	v_mov_b32_e32 v26, 0x14761f6e
	v_mov_b32_e32 v27, 0x3f2a01a0
	v_fmac_f64_e32 v[26:27], v[22:23], v[24:25]
	v_mov_b32_e32 v24, 0x1852b7b0
	v_mov_b32_e32 v25, 0x3f56c16c
	v_fmac_f64_e32 v[24:25], v[22:23], v[26:27]
	v_mov_b32_e32 v26, 0x11122322
	v_mov_b32_e32 v27, 0x3f811111
	v_fmac_f64_e32 v[26:27], v[22:23], v[24:25]
	v_mov_b32_e32 v24, 0x555502a1
	v_mov_b32_e32 v25, 0x3fa55555
	v_fmac_f64_e32 v[24:25], v[22:23], v[26:27]
	v_mov_b32_e32 v26, 0x55555511
	v_mov_b32_e32 v27, 0x3fc55555
	v_fmac_f64_e32 v[26:27], v[22:23], v[24:25]
	v_mov_b32_e32 v24, 11
	v_mov_b32_e32 v25, 0x3fe00000
	s_mov_b32 s2, 0
	v_fmac_f64_e32 v[24:25], v[22:23], v[26:27]
	s_mov_b32 s3, 0x40900000
	v_fma_f64 v[24:25], v[22:23], v[24:25], 1.0
	v_cmp_nlt_f64_e32 vcc, s[2:3], v[12:13]
	s_mov_b32 s2, 0
	v_fma_f64 v[22:23], v[22:23], v[24:25], 1.0
	v_cvt_i32_f64_e32 v7, v[16:17]
	s_mov_b32 s3, 0xc090cc00
	v_ldexp_f64 v[16:17], v[22:23], v7
	v_mov_b32_e32 v7, 0x7ff00000
	v_cmp_ngt_f64_e64 s[2:3], s[2:3], v[12:13]
	v_cndmask_b32_e32 v7, v7, v17, vcc
	s_and_b64 vcc, s[2:3], vcc
	v_add_f64 v[2:3], v[2:3], v[2:3]
	v_cndmask_b32_e64 v13, 0, v7, s[2:3]
	v_cndmask_b32_e32 v12, 0, v16, vcc
	v_mul_f64 v[2:3], v[2:3], v[12:13]
	v_div_scale_f64 v[12:13], s[2:3], v[2:3], v[2:3], v[14:15]
	v_rcp_f64_e32 v[16:17], v[12:13]
	s_mov_b32 s2, 0xfd0a823a
	s_mov_b32 s3, 0x4020a402
	v_fma_f64 v[22:23], -v[12:13], v[16:17], 1.0
	v_fmac_f64_e32 v[16:17], v[16:17], v[22:23]
	v_fma_f64 v[22:23], -v[12:13], v[16:17], 1.0
	v_fmac_f64_e32 v[16:17], v[16:17], v[22:23]
	v_div_scale_f64 v[22:23], vcc, v[14:15], v[2:3], v[14:15]
	v_mul_f64 v[24:25], v[22:23], v[16:17]
	v_fma_f64 v[12:13], -v[12:13], v[24:25], v[22:23]
	s_nop 1
	v_div_fmas_f64 v[12:13], v[12:13], v[16:17], v[24:25]
	v_cmp_nlt_f64_e32 vcc, s[2:3], v[20:21]
	s_andn2_b64 s[2:3], s[12:13], exec
	s_and_b64 s[16:17], vcc, exec
	v_div_fixup_f64 v[2:3], v[12:13], v[2:3], v[14:15]
	s_or_b64 s[2:3], s[2:3], s[16:17]
.LBB0_14:
	s_or_b64 exec, exec, s[14:15]
	s_and_saveexec_b64 s[14:15], s[2:3]
	s_cbranch_execz .LBB0_18
; %bb.15:
	v_mul_f64 v[12:13], v[20:21], v[20:21]
	s_mov_b32 s18, 0
	v_mul_f64 v[14:15], v[20:21], v[12:13]
	v_mov_b64_e32 v[24:25], 1.0
	s_mov_b64 s[16:17], 0
	v_mov_b64_e32 v[22:23], 1.0
	s_mov_b32 s19, 0x3cb00000
	v_mov_b64_e32 v[16:17], v[20:21]
	v_mov_b64_e32 v[12:13], 1.0
.LBB0_16:                               ; =>This Inner Loop Header: Depth=1
	v_mul_f64 v[24:25], v[14:15], v[24:25]
	v_add_f64 v[26:27], v[22:23], 1.0
	v_mul_f64 v[20:21], v[14:15], v[20:21]
	v_div_scale_f64 v[28:29], s[2:3], v[26:27], v[26:27], v[24:25]
	v_add_f64 v[32:33], v[26:27], 1.0
	v_rcp_f64_e32 v[34:35], v[28:29]
	v_div_scale_f64 v[36:37], s[2:3], v[32:33], v[32:33], v[20:21]
	v_rcp_f64_e32 v[48:49], v[36:37]
	v_fma_f64 v[50:51], -v[28:29], v[34:35], 1.0
	v_fmac_f64_e32 v[34:35], v[34:35], v[50:51]
	v_fma_f64 v[52:53], -v[28:29], v[34:35], 1.0
	v_fma_f64 v[50:51], -v[36:37], v[48:49], 1.0
	v_fmac_f64_e32 v[48:49], v[48:49], v[50:51]
	v_div_scale_f64 v[30:31], vcc, v[24:25], v[26:27], v[24:25]
	v_fmac_f64_e32 v[34:35], v[34:35], v[52:53]
	v_fma_f64 v[50:51], -v[36:37], v[48:49], 1.0
	v_div_scale_f64 v[38:39], s[2:3], v[20:21], v[32:33], v[20:21]
	v_mul_f64 v[52:53], v[30:31], v[34:35]
	v_fmac_f64_e32 v[48:49], v[48:49], v[50:51]
	v_fma_f64 v[28:29], -v[28:29], v[52:53], v[30:31]
	v_mul_f64 v[30:31], v[38:39], v[48:49]
	v_div_fmas_f64 v[28:29], v[28:29], v[34:35], v[52:53]
	v_fma_f64 v[34:35], -v[36:37], v[30:31], v[38:39]
	s_mov_b64 vcc, s[2:3]
	v_div_fixup_f64 v[24:25], v[28:29], v[26:27], v[24:25]
	v_div_fmas_f64 v[26:27], v[34:35], v[48:49], v[30:31]
	v_div_fixup_f64 v[20:21], v[26:27], v[32:33], v[20:21]
	v_div_scale_f64 v[26:27], s[2:3], v[32:33], v[32:33], v[24:25]
	v_add_f64 v[22:23], v[32:33], 1.0
	v_rcp_f64_e32 v[30:31], v[26:27]
	v_div_scale_f64 v[34:35], s[2:3], v[22:23], v[22:23], v[20:21]
	v_rcp_f64_e32 v[38:39], v[34:35]
	v_fma_f64 v[48:49], -v[26:27], v[30:31], 1.0
	v_fmac_f64_e32 v[30:31], v[30:31], v[48:49]
	v_fma_f64 v[50:51], -v[26:27], v[30:31], 1.0
	v_fma_f64 v[48:49], -v[34:35], v[38:39], 1.0
	v_div_scale_f64 v[28:29], vcc, v[24:25], v[32:33], v[24:25]
	v_fmac_f64_e32 v[38:39], v[38:39], v[48:49]
	v_fmac_f64_e32 v[30:31], v[30:31], v[50:51]
	v_fma_f64 v[48:49], -v[34:35], v[38:39], 1.0
	v_mul_f64 v[50:51], v[28:29], v[30:31]
	v_div_scale_f64 v[36:37], s[2:3], v[20:21], v[22:23], v[20:21]
	v_fmac_f64_e32 v[38:39], v[38:39], v[48:49]
	v_fma_f64 v[26:27], -v[26:27], v[50:51], v[28:29]
	v_mul_f64 v[28:29], v[36:37], v[38:39]
	v_div_fmas_f64 v[26:27], v[26:27], v[30:31], v[50:51]
	v_fma_f64 v[30:31], -v[34:35], v[28:29], v[36:37]
	v_div_fixup_f64 v[24:25], v[26:27], v[32:33], v[24:25]
	s_mov_b64 vcc, s[2:3]
	v_div_fmas_f64 v[26:27], v[30:31], v[38:39], v[28:29]
	v_add_f64 v[12:13], v[12:13], v[24:25]
	v_div_fixup_f64 v[20:21], v[26:27], v[22:23], v[20:21]
	v_div_scale_f64 v[26:27], s[2:3], v[12:13], v[12:13], v[24:25]
	v_rcp_f64_e32 v[28:29], v[26:27]
	v_div_scale_f64 v[30:31], vcc, v[24:25], v[12:13], v[24:25]
	v_add_f64 v[16:17], v[16:17], v[20:21]
	v_fma_f64 v[32:33], -v[26:27], v[28:29], 1.0
	v_fmac_f64_e32 v[28:29], v[28:29], v[32:33]
	v_fma_f64 v[32:33], -v[26:27], v[28:29], 1.0
	v_fmac_f64_e32 v[28:29], v[28:29], v[32:33]
	v_mul_f64 v[32:33], v[30:31], v[28:29]
	v_fma_f64 v[26:27], -v[26:27], v[32:33], v[30:31]
	v_div_fmas_f64 v[26:27], v[26:27], v[28:29], v[32:33]
	v_div_fixup_f64 v[26:27], v[26:27], v[12:13], v[24:25]
	v_cmp_ngt_f64_e64 s[2:3], |v[26:27]|, s[18:19]
	s_or_b64 s[16:17], s[2:3], s[16:17]
	s_andn2_b64 exec, exec, s[16:17]
	s_cbranch_execnz .LBB0_16
; %bb.17:
	s_or_b64 exec, exec, s[16:17]
	s_mov_b32 s2, 0x42b70f8b
	s_mov_b32 s3, 0xbfd0907f
	v_mul_f64 v[14:15], v[16:17], s[2:3]
	s_mov_b32 s2, 0x962715b8
	s_mov_b32 s3, 0x3fd6b8c7
	v_fmac_f64_e32 v[14:15], s[2:3], v[12:13]
	v_cndmask_b32_e64 v3, v3, v15, s[12:13]
	v_cndmask_b32_e64 v2, v2, v14, s[12:13]
.LBB0_18:
	s_or_b64 exec, exec, s[14:15]
                                        ; implicit-def: $vgpr20_vgpr21
.LBB0_19:
	s_andn2_saveexec_b64 s[10:11], s[10:11]
	s_cbranch_execz .LBB0_29
; %bb.20:
	s_mov_b32 s2, 0
	s_brev_b32 s3, 9
	v_mov_b32_e32 v2, 0x100
	v_cmp_lt_f64_e32 vcc, s[2:3], v[20:21]
	v_mul_f64 v[14:15], v[20:21], -2.0
	v_mov_b32_e32 v7, 0xffffff80
	v_cndmask_b32_e32 v2, 0, v2, vcc
	v_ldexp_f64 v[2:3], -v[20:21], v2
	v_rsq_f64_e32 v[12:13], v[2:3]
	v_cndmask_b32_e32 v7, 0, v7, vcc
	s_mov_b32 s12, 0
	s_mov_b32 s13, 0x40080000
	v_mul_f64 v[16:17], v[2:3], v[12:13]
	v_mul_f64 v[12:13], v[12:13], 0.5
	v_fma_f64 v[20:21], -v[12:13], v[16:17], 0.5
	v_fmac_f64_e32 v[16:17], v[16:17], v[20:21]
	v_fma_f64 v[22:23], -v[16:17], v[16:17], v[2:3]
	v_fmac_f64_e32 v[12:13], v[12:13], v[20:21]
	v_fmac_f64_e32 v[16:17], v[22:23], v[12:13]
	v_fma_f64 v[20:21], -v[16:17], v[16:17], v[2:3]
	v_fmac_f64_e32 v[16:17], v[20:21], v[12:13]
	v_ldexp_f64 v[12:13], v[16:17], v7
	v_mov_b32_e32 v7, 0x260
	v_cmp_class_f64_e32 vcc, v[2:3], v7
	s_mov_b32 s15, 0x3fe921fb
	s_mov_b32 s14, 0x54442d18
	v_cndmask_b32_e32 v3, v13, v3, vcc
	v_cndmask_b32_e32 v2, v12, v2, vcc
	v_mul_f64 v[12:13], v[14:15], v[2:3]
	v_div_scale_f64 v[14:15], s[2:3], s[12:13], s[12:13], v[12:13]
	v_rcp_f64_e32 v[16:17], v[14:15]
	s_movk_i32 s2, 0xff80
                                        ; implicit-def: $vgpr32
                                        ; implicit-def: $vgpr24_vgpr25
	v_fma_f64 v[20:21], -v[14:15], v[16:17], 1.0
	v_fmac_f64_e32 v[16:17], v[16:17], v[20:21]
	v_fma_f64 v[20:21], -v[14:15], v[16:17], 1.0
	v_fmac_f64_e32 v[16:17], v[16:17], v[20:21]
	v_div_scale_f64 v[20:21], vcc, v[12:13], s[12:13], v[12:13]
	v_mul_f64 v[22:23], v[20:21], v[16:17]
	v_fma_f64 v[14:15], -v[14:15], v[22:23], v[20:21]
	s_nop 1
	v_div_fmas_f64 v[14:15], v[14:15], v[16:17], v[22:23]
	v_div_fixup_f64 v[20:21], v[14:15], s[12:13], v[12:13]
	s_mov_b32 s12, 0
	v_add_f64 v[12:13], v[20:21], s[14:15]
	s_mov_b32 s13, 0x41d00000
	v_cmp_nlt_f64_e64 s[12:13], |v[12:13]|, s[12:13]
	v_trig_preop_f64 v[30:31], |v[12:13]|, 0
	v_trig_preop_f64 v[28:29], |v[12:13]|, 1
	;; [unrolled: 1-line block ×3, first 2 shown]
                                        ; implicit-def: $vgpr22_vgpr23
	s_and_saveexec_b64 s[16:17], s[12:13]
	s_xor_b64 s[16:17], exec, s[16:17]
	s_cbranch_execz .LBB0_22
; %bb.21:
	s_mov_b32 s18, 0
	s_mov_b32 s19, 0x7b000000
	v_and_b32_e32 v7, 0x7fffffff, v13
	v_ldexp_f64 v[14:15], |v[12:13]|, s2
	v_cmp_ge_f64_e64 vcc, |v[12:13]|, s[18:19]
	s_mov_b32 s2, 0
	s_mov_b32 s3, 0x7ff00000
	v_cndmask_b32_e32 v15, v7, v15, vcc
	v_cndmask_b32_e32 v14, v12, v14, vcc
	v_mul_f64 v[22:23], v[30:31], v[14:15]
	v_mul_f64 v[16:17], v[28:29], v[14:15]
	v_fma_f64 v[24:25], v[30:31], v[14:15], -v[22:23]
	v_add_f64 v[32:33], v[16:17], v[24:25]
	v_add_f64 v[48:49], v[32:33], -v[16:17]
	v_add_f64 v[24:25], v[24:25], -v[48:49]
	;; [unrolled: 1-line block ×4, first 2 shown]
	v_add_f64 v[24:25], v[24:25], v[48:49]
	v_fma_f64 v[16:17], v[28:29], v[14:15], -v[16:17]
	v_mul_f64 v[48:49], v[26:27], v[14:15]
	v_add_f64 v[50:51], v[48:49], v[16:17]
	v_add_f64 v[34:35], v[22:23], v[32:33]
	;; [unrolled: 1-line block ×3, first 2 shown]
	v_ldexp_f64 v[36:37], v[34:35], -2
	v_add_f64 v[22:23], v[34:35], -v[22:23]
	v_add_f64 v[34:35], v[52:53], -v[50:51]
	;; [unrolled: 1-line block ×5, first 2 shown]
	v_add_f64 v[24:25], v[24:25], v[34:35]
	v_add_f64 v[34:35], v[50:51], -v[48:49]
	v_add_f64 v[16:17], v[16:17], -v[34:35]
	;; [unrolled: 1-line block ×5, first 2 shown]
	v_add_f64 v[16:17], v[16:17], v[34:35]
	v_fract_f64_e32 v[38:39], v[36:37]
	v_add_f64 v[32:33], v[22:23], v[52:53]
	v_add_f64 v[16:17], v[16:17], v[24:25]
	v_fma_f64 v[14:15], v[26:27], v[14:15], -v[48:49]
	v_add_f64 v[22:23], v[32:33], -v[22:23]
	v_add_f64 v[14:15], v[14:15], v[16:17]
	v_ldexp_f64 v[16:17], v[38:39], 2
	v_cmp_neq_f64_e64 vcc, |v[36:37]|, s[2:3]
	v_add_f64 v[22:23], v[52:53], -v[22:23]
	v_add_f64 v[14:15], v[22:23], v[14:15]
	v_cndmask_b32_e32 v17, 0, v17, vcc
	v_cndmask_b32_e32 v16, 0, v16, vcc
	v_add_f64 v[22:23], v[32:33], v[16:17]
	v_mov_b32_e32 v7, 0x40100000
	v_cmp_gt_f64_e32 vcc, 0, v[22:23]
	v_mov_b32_e32 v22, 0
	s_mov_b32 s15, 0x3ff921fb
	v_cndmask_b32_e32 v23, 0, v7, vcc
	v_add_f64 v[16:17], v[16:17], v[22:23]
	v_add_f64 v[24:25], v[32:33], v[16:17]
	v_cvt_i32_f64_e32 v7, v[24:25]
	v_cvt_f64_i32_e32 v[24:25], v7
	v_add_f64 v[16:17], v[16:17], -v[24:25]
	v_add_f64 v[24:25], v[32:33], v[16:17]
	v_add_f64 v[16:17], v[24:25], -v[16:17]
	v_cmp_le_f64_e32 vcc, 0.5, v[24:25]
	v_add_f64 v[16:17], v[32:33], -v[16:17]
	v_add_f64 v[14:15], v[14:15], v[16:17]
	v_addc_co_u32_e64 v32, s[2:3], 0, v7, vcc
	v_mov_b32_e32 v7, 0x3ff00000
	v_cndmask_b32_e32 v23, 0, v7, vcc
	v_add_f64 v[16:17], v[24:25], -v[22:23]
	v_add_f64 v[22:23], v[16:17], v[14:15]
	v_add_f64 v[16:17], v[22:23], -v[16:17]
	v_add_f64 v[14:15], v[14:15], -v[16:17]
	v_mul_f64 v[16:17], v[22:23], s[14:15]
	s_mov_b32 s2, 0x33145c07
	v_fma_f64 v[24:25], v[22:23], s[14:15], -v[16:17]
	s_mov_b32 s3, 0x3c91a626
	v_fmac_f64_e32 v[24:25], s[2:3], v[22:23]
	v_fmac_f64_e32 v[24:25], s[14:15], v[14:15]
	v_add_f64 v[22:23], v[16:17], v[24:25]
	v_add_f64 v[14:15], v[22:23], -v[16:17]
	v_add_f64 v[24:25], v[24:25], -v[14:15]
	s_andn2_saveexec_b64 s[2:3], s[16:17]
	s_cbranch_execz .LBB0_24
	s_branch .LBB0_23
.LBB0_22:
	s_andn2_saveexec_b64 s[2:3], s[16:17]
	s_cbranch_execz .LBB0_24
.LBB0_23:
	s_mov_b32 s14, 0x6dc9c883
	s_mov_b32 s15, 0x3fe45f30
	v_mul_f64 v[14:15], |v[12:13]|, s[14:15]
	s_mov_b32 s14, 0x54442d18
	v_rndne_f64_e32 v[14:15], v[14:15]
	s_mov_b32 s15, 0xbff921fb
	v_fma_f64 v[16:17], v[14:15], s[14:15], |v[12:13]|
	s_mov_b32 s15, 0xbc91a626
	s_mov_b32 s14, 0x33145c00
	v_mul_f64 v[22:23], v[14:15], s[14:15]
	v_add_f64 v[34:35], v[16:17], v[22:23]
	v_fma_f64 v[24:25], s[14:15], v[14:15], v[16:17]
	s_mov_b32 s15, 0x3c91a626
	v_add_f64 v[16:17], v[16:17], -v[34:35]
	v_fma_f64 v[32:33], s[14:15], v[14:15], v[22:23]
	v_add_f64 v[16:17], v[16:17], v[22:23]
	v_add_f64 v[22:23], v[34:35], -v[24:25]
	v_add_f64 v[16:17], v[22:23], v[16:17]
	s_mov_b32 s14, 0x252049c0
	v_add_f64 v[16:17], v[16:17], -v[32:33]
	s_mov_b32 s15, 0xb97b839a
	v_fmac_f64_e32 v[16:17], s[14:15], v[14:15]
	v_add_f64 v[22:23], v[24:25], v[16:17]
	v_add_f64 v[24:25], v[22:23], -v[24:25]
	v_add_f64 v[24:25], v[16:17], -v[24:25]
	v_cvt_i32_f64_e32 v32, v[14:15]
.LBB0_24:
	s_or_b64 exec, exec, s[2:3]
                                        ; implicit-def: $vgpr7
                                        ; implicit-def: $vgpr14_vgpr15
                                        ; implicit-def: $vgpr16_vgpr17
	s_and_saveexec_b64 s[2:3], s[12:13]
	s_xor_b64 s[12:13], exec, s[2:3]
	s_cbranch_execz .LBB0_26
; %bb.25:
	s_mov_b32 s2, 0
	s_mov_b32 s3, 0x7b000000
	s_movk_i32 s14, 0xff80
	v_and_b32_e32 v7, 0x7fffffff, v13
	v_ldexp_f64 v[14:15], |v[12:13]|, s14
	v_cmp_ge_f64_e64 vcc, |v[12:13]|, s[2:3]
	s_mov_b32 s2, 0
	s_mov_b32 s3, 0x7ff00000
	v_cndmask_b32_e32 v15, v7, v15, vcc
	v_cndmask_b32_e32 v14, v12, v14, vcc
	v_mul_f64 v[34:35], v[30:31], v[14:15]
	v_mul_f64 v[16:17], v[28:29], v[14:15]
	v_fma_f64 v[30:31], v[30:31], v[14:15], -v[34:35]
	v_add_f64 v[36:37], v[16:17], v[30:31]
	v_add_f64 v[52:53], v[36:37], -v[16:17]
	v_add_f64 v[30:31], v[30:31], -v[52:53]
	;; [unrolled: 1-line block ×4, first 2 shown]
	v_fma_f64 v[16:17], v[28:29], v[14:15], -v[16:17]
	v_mul_f64 v[28:29], v[26:27], v[14:15]
	v_add_f64 v[30:31], v[30:31], v[52:53]
	v_add_f64 v[52:53], v[28:29], v[16:17]
	;; [unrolled: 1-line block ×4, first 2 shown]
	v_ldexp_f64 v[48:49], v[38:39], -2
	v_add_f64 v[34:35], v[38:39], -v[34:35]
	v_add_f64 v[38:39], v[54:55], -v[52:53]
	;; [unrolled: 1-line block ×5, first 2 shown]
	v_add_f64 v[30:31], v[30:31], v[38:39]
	v_add_f64 v[38:39], v[52:53], -v[28:29]
	v_add_f64 v[16:17], v[16:17], -v[38:39]
	;; [unrolled: 1-line block ×4, first 2 shown]
	v_add_f64 v[16:17], v[16:17], v[38:39]
	v_fract_f64_e32 v[50:51], v[48:49]
	v_add_f64 v[16:17], v[16:17], v[30:31]
	v_fma_f64 v[14:15], v[26:27], v[14:15], -v[28:29]
	v_add_f64 v[34:35], v[36:37], -v[34:35]
	v_add_f64 v[14:15], v[14:15], v[16:17]
	v_ldexp_f64 v[16:17], v[50:51], 2
	v_cmp_neq_f64_e64 vcc, |v[48:49]|, s[2:3]
	v_add_f64 v[36:37], v[34:35], v[54:55]
	v_mov_b32_e32 v7, 0x40100000
	v_cndmask_b32_e32 v17, 0, v17, vcc
	v_cndmask_b32_e32 v16, 0, v16, vcc
	v_add_f64 v[26:27], v[36:37], v[16:17]
	v_cmp_gt_f64_e32 vcc, 0, v[26:27]
	v_mov_b32_e32 v26, 0
	v_add_f64 v[34:35], v[36:37], -v[34:35]
	v_cndmask_b32_e32 v27, 0, v7, vcc
	v_add_f64 v[16:17], v[16:17], v[26:27]
	v_add_f64 v[28:29], v[36:37], v[16:17]
	v_cvt_i32_f64_e32 v7, v[28:29]
	v_cvt_f64_i32_e32 v[28:29], v7
	v_add_f64 v[16:17], v[16:17], -v[28:29]
	v_add_f64 v[28:29], v[36:37], v[16:17]
	v_add_f64 v[34:35], v[54:55], -v[34:35]
	v_add_f64 v[16:17], v[28:29], -v[16:17]
	v_add_f64 v[14:15], v[34:35], v[14:15]
	v_add_f64 v[16:17], v[36:37], -v[16:17]
	v_add_f64 v[14:15], v[14:15], v[16:17]
	v_cmp_le_f64_e32 vcc, 0.5, v[28:29]
	v_mov_b32_e32 v16, 0x3ff00000
	s_mov_b32 s14, 0x33145c07
	v_cndmask_b32_e32 v27, 0, v16, vcc
	v_addc_co_u32_e64 v7, s[2:3], 0, v7, vcc
	v_add_f64 v[16:17], v[28:29], -v[26:27]
	v_add_f64 v[26:27], v[16:17], v[14:15]
	s_mov_b32 s2, 0x54442d18
	v_add_f64 v[16:17], v[26:27], -v[16:17]
	s_mov_b32 s3, 0x3ff921fb
	v_add_f64 v[14:15], v[14:15], -v[16:17]
	v_mul_f64 v[16:17], v[26:27], s[2:3]
	v_fma_f64 v[28:29], v[26:27], s[2:3], -v[16:17]
	s_mov_b32 s15, 0x3c91a626
	v_fmac_f64_e32 v[28:29], s[14:15], v[26:27]
	v_fmac_f64_e32 v[28:29], s[2:3], v[14:15]
	v_add_f64 v[14:15], v[16:17], v[28:29]
	v_add_f64 v[16:17], v[14:15], -v[16:17]
	v_add_f64 v[16:17], v[28:29], -v[16:17]
	s_andn2_saveexec_b64 s[2:3], s[12:13]
	s_cbranch_execnz .LBB0_27
	s_branch .LBB0_28
.LBB0_26:
	s_andn2_saveexec_b64 s[2:3], s[12:13]
	s_cbranch_execz .LBB0_28
.LBB0_27:
	s_mov_b32 s12, 0x6dc9c883
	s_mov_b32 s13, 0x3fe45f30
	v_mul_f64 v[14:15], |v[12:13]|, s[12:13]
	s_mov_b32 s12, 0x54442d18
	v_rndne_f64_e32 v[26:27], v[14:15]
	s_mov_b32 s13, 0xbff921fb
	v_fma_f64 v[14:15], v[26:27], s[12:13], |v[12:13]|
	s_mov_b32 s13, 0xbc91a626
	s_mov_b32 s12, 0x33145c00
	v_mul_f64 v[28:29], v[26:27], s[12:13]
	v_add_f64 v[34:35], v[14:15], v[28:29]
	v_fma_f64 v[16:17], s[12:13], v[26:27], v[14:15]
	s_mov_b32 s13, 0x3c91a626
	v_add_f64 v[14:15], v[14:15], -v[34:35]
	v_fma_f64 v[30:31], s[12:13], v[26:27], v[28:29]
	v_add_f64 v[14:15], v[14:15], v[28:29]
	v_add_f64 v[28:29], v[34:35], -v[16:17]
	v_add_f64 v[14:15], v[28:29], v[14:15]
	s_mov_b32 s12, 0x252049c0
	v_add_f64 v[28:29], v[14:15], -v[30:31]
	s_mov_b32 s13, 0xb97b839a
	v_fmac_f64_e32 v[28:29], s[12:13], v[26:27]
	v_add_f64 v[14:15], v[16:17], v[28:29]
	v_add_f64 v[16:17], v[14:15], -v[16:17]
	v_add_f64 v[16:17], v[28:29], -v[16:17]
	v_cvt_i32_f64_e32 v7, v[26:27]
.LBB0_28:
	s_or_b64 exec, exec, s[2:3]
	v_div_scale_f64 v[26:27], s[2:3], v[20:21], v[20:21], 1.0
	v_rcp_f64_e32 v[28:29], v[26:27]
	v_div_scale_f64 v[30:31], vcc, 1.0, v[20:21], 1.0
	v_mov_b32_e32 v36, 0xb99518a7
	v_fma_f64 v[34:35], -v[26:27], v[28:29], 1.0
	v_fmac_f64_e32 v[28:29], v[28:29], v[34:35]
	v_fma_f64 v[34:35], -v[26:27], v[28:29], 1.0
	v_fmac_f64_e32 v[28:29], v[28:29], v[34:35]
	v_mul_f64 v[34:35], v[30:31], v[28:29]
	v_fma_f64 v[26:27], -v[26:27], v[34:35], v[30:31]
	v_div_fmas_f64 v[26:27], v[26:27], v[28:29], v[34:35]
	v_div_fixup_f64 v[20:21], v[26:27], v[20:21], 1.0
	v_mul_f64 v[26:27], v[20:21], v[20:21]
	v_mov_b32_e32 v28, 0xd50ae6fb
	v_mov_b32_e32 v29, 0xbfc0db6c
	v_fmac_f64_e32 v[28:29], 0, v[26:27]
	v_mov_b32_e32 v30, 0x98566852
	v_mov_b32_e32 v31, 0xbfe40bee
	v_fmac_f64_e32 v[30:31], v[26:27], v[28:29]
	;; [unrolled: 3-line block ×16, first 2 shown]
	v_mov_b32_e32 v37, 0x3e9e52b9
	v_mul_f64 v[38:39], v[22:23], v[22:23]
	v_fmac_f64_e32 v[36:37], v[26:27], v[34:35]
	v_mov_b32_e32 v34, 0xf68ea2d2
	v_mov_b32_e32 v35, 0xbe52041c
	v_mul_f64 v[28:29], v[38:39], 0.5
	v_fmac_f64_e32 v[34:35], v[26:27], v[30:31]
	v_add_f64 v[30:31], -v[28:29], 1.0
	s_mov_b32 s2, 0x9037ab78
	v_add_f64 v[48:49], -v[30:31], 1.0
	s_mov_b32 s3, 0x3e21eeb6
	s_mov_b32 s12, 0x46cc5e42
	v_add_f64 v[48:49], v[48:49], -v[28:29]
	s_mov_b32 s13, 0xbda907db
	v_mov_b64_e32 v[28:29], s[2:3]
	s_mov_b32 s14, 0xa17f65f6
	v_fma_f64 v[52:53], s[12:13], v[38:39], v[28:29]
	s_mov_b32 s15, 0xbe927e4f
	s_mov_b32 s16, 0x19f4ec90
	v_fma_f64 v[52:53], v[38:39], v[52:53], s[14:15]
	s_mov_b32 s17, 0x3efa01a0
	;; [unrolled: 3-line block ×4, first 2 shown]
	v_mul_f64 v[50:51], v[38:39], v[38:39]
	v_fma_f64 v[52:53], v[38:39], v[52:53], s[20:21]
	v_fma_f64 v[48:49], v[22:23], -v[24:25], v[48:49]
	s_mov_b32 s2, 0xb42fdfa7
	v_fmac_f64_e32 v[48:49], v[50:51], v[52:53]
	s_mov_b32 s3, 0xbe5ae600
	s_mov_b32 s22, 0xf9a43bb8
	v_add_f64 v[48:49], v[30:31], v[48:49]
	s_mov_b32 s23, 0x3de5e0b2
	v_mov_b64_e32 v[30:31], s[2:3]
	s_mov_b32 s24, 0x796cde01
	v_fma_f64 v[50:51], s[22:23], v[38:39], v[30:31]
	s_mov_b32 s25, 0x3ec71de3
	s_mov_b32 s26, 0x19e83e5c
	v_fma_f64 v[50:51], v[38:39], v[50:51], s[24:25]
	s_mov_b32 s27, 0xbf2a01a0
	;; [unrolled: 3-line block ×3, first 2 shown]
	v_fma_f64 v[50:51], v[38:39], v[50:51], s[28:29]
	v_mul_f64 v[52:53], v[22:23], -v[38:39]
	v_mul_f64 v[54:55], v[24:25], 0.5
	v_fmac_f64_e32 v[54:55], v[52:53], v[50:51]
	v_fma_f64 v[24:25], v[38:39], v[54:55], -v[24:25]
	s_mov_b32 s41, 0xbfc55555
	s_mov_b32 s40, s20
	v_fmac_f64_e32 v[24:25], s[40:41], v[52:53]
	v_add_f64 v[22:23], v[22:23], -v[24:25]
	v_and_b32_e32 v24, 1, v32
	v_cmp_eq_u32_e32 vcc, 0, v24
	s_brev_b32 s43, 1
	s_movk_i32 s44, 0x1f8
	v_cndmask_b32_e32 v38, v48, v22, vcc
	v_cndmask_b32_e32 v22, v49, v23, vcc
	v_lshlrev_b32_e32 v23, 30, v32
	v_xor_b32_e32 v23, v23, v13
	v_bitop3_b32 v39, v22, v23, s43 bitop3:0x78
	v_mul_f64 v[22:23], v[26:27], v[34:35]
	v_div_scale_f64 v[24:25], s[2:3], v[36:37], v[36:37], v[22:23]
	v_rcp_f64_e32 v[32:33], v[24:25]
	v_cmp_class_f64_e64 s[2:3], v[12:13], s44
	v_mov_b32_e32 v50, 0x7ff80000
	s_mov_b32 s44, 0
	v_fma_f64 v[34:35], -v[24:25], v[32:33], 1.0
	v_fmac_f64_e32 v[32:33], v[32:33], v[34:35]
	v_fma_f64 v[34:35], -v[24:25], v[32:33], 1.0
	v_fmac_f64_e32 v[32:33], v[32:33], v[34:35]
	v_div_scale_f64 v[34:35], vcc, v[22:23], v[36:37], v[22:23]
	v_cndmask_b32_e64 v12, 0, v38, s[2:3]
	v_cndmask_b32_e64 v13, v50, v39, s[2:3]
	v_mul_f64 v[38:39], v[34:35], v[32:33]
	v_fma_f64 v[24:25], -v[24:25], v[38:39], v[34:35]
	v_div_fmas_f64 v[24:25], v[24:25], v[32:33], v[38:39]
	v_div_fixup_f64 v[22:23], v[24:25], v[36:37], v[22:23]
	v_mov_b32_e32 v24, 0xddcfbbde
	v_mov_b32_e32 v25, 0x3f943525
	v_fmac_f64_e32 v[24:25], 0, v[26:27]
	v_mov_b32_e32 v32, 0x6437b7
	v_mov_b32_e32 v33, 0x3fd907d5
	v_fmac_f64_e32 v[32:33], v[26:27], v[24:25]
	;; [unrolled: 3-line block ×18, first 2 shown]
	v_mov_b32_e32 v34, 0xd603a5a0
	v_mov_b32_e32 v35, 0x3f1a8b61
	s_brev_b32 s45, 8
	v_fmac_f64_e32 v[34:35], v[26:27], v[32:33]
	v_mov_b32_e32 v32, 0x100
	v_cmp_gt_f64_e32 vcc, s[44:45], v[2:3]
	v_mov_b32_e32 v36, 0xdb0724e8
	v_mov_b32_e32 v37, 0x3eb3a845
	v_cndmask_b32_e32 v32, 0, v32, vcc
	v_ldexp_f64 v[2:3], v[2:3], v32
	v_rsq_f64_e32 v[32:33], v[2:3]
	v_fmac_f64_e32 v[36:37], v[26:27], v[34:35]
	s_mov_b32 s44, 0x50429b6d
	s_mov_b32 s45, 0x3fe20dd7
	v_mul_f64 v[34:35], v[2:3], v[32:33]
	v_mul_f64 v[32:33], v[32:33], 0.5
	v_fma_f64 v[38:39], -v[32:33], v[34:35], 0.5
	v_fmac_f64_e32 v[34:35], v[34:35], v[38:39]
	v_fma_f64 v[48:49], -v[34:35], v[34:35], v[2:3]
	v_fmac_f64_e32 v[32:33], v[32:33], v[38:39]
	v_fmac_f64_e32 v[34:35], v[48:49], v[32:33]
	v_fma_f64 v[38:39], -v[34:35], v[34:35], v[2:3]
	v_fmac_f64_e32 v[34:35], v[38:39], v[32:33]
	v_mov_b32_e32 v32, 0xffffff80
	v_cndmask_b32_e32 v32, 0, v32, vcc
	v_ldexp_f64 v[32:33], v[34:35], v32
	v_mov_b32_e32 v34, 0x260
	v_cmp_class_f64_e32 vcc, v[2:3], v34
	v_mov_b32_e32 v38, 0x3dd589d4
	v_mov_b32_e32 v39, 0x3e351fc7
	v_cndmask_b32_e32 v3, v33, v3, vcc
	v_cndmask_b32_e32 v2, v32, v2, vcc
	v_div_scale_f64 v[32:33], s[46:47], v[2:3], v[2:3], s[44:45]
	v_rcp_f64_e32 v[34:35], v[32:33]
	v_fmac_f64_e32 v[38:39], v[26:27], v[36:37]
	v_add_f64 v[22:23], v[22:23], 1.0
	v_fma_f64 v[26:27], -v[32:33], v[34:35], 1.0
	v_fmac_f64_e32 v[34:35], v[34:35], v[26:27]
	v_fma_f64 v[26:27], -v[32:33], v[34:35], 1.0
	v_fmac_f64_e32 v[34:35], v[34:35], v[26:27]
	v_div_scale_f64 v[26:27], vcc, s[44:45], v[2:3], s[44:45]
	v_mul_f64 v[36:37], v[26:27], v[34:35]
	v_fma_f64 v[26:27], -v[32:33], v[36:37], v[26:27]
	s_nop 1
	v_div_fmas_f64 v[26:27], v[26:27], v[34:35], v[36:37]
	v_div_fixup_f64 v[2:3], v[26:27], v[2:3], s[44:45]
	v_mul_f64 v[26:27], v[14:15], v[14:15]
	v_mul_f64 v[32:33], v[26:27], 0.5
	v_fmac_f64_e32 v[28:29], s[12:13], v[26:27]
	v_add_f64 v[34:35], -v[32:33], 1.0
	v_fma_f64 v[28:29], v[26:27], v[28:29], s[14:15]
	v_add_f64 v[36:37], -v[34:35], 1.0
	v_fma_f64 v[28:29], v[26:27], v[28:29], s[16:17]
	v_add_f64 v[32:33], v[36:37], -v[32:33]
	v_fma_f64 v[28:29], v[26:27], v[28:29], s[18:19]
	v_fmac_f64_e32 v[30:31], s[22:23], v[26:27]
	v_mul_f64 v[36:37], v[26:27], v[26:27]
	v_fma_f64 v[28:29], v[26:27], v[28:29], s[20:21]
	v_fma_f64 v[32:33], v[14:15], -v[16:17], v[32:33]
	v_fma_f64 v[30:31], v[26:27], v[30:31], s[24:25]
	v_fmac_f64_e32 v[32:33], v[36:37], v[28:29]
	v_fma_f64 v[30:31], v[26:27], v[30:31], s[26:27]
	v_add_f64 v[28:29], v[34:35], v[32:33]
	v_fma_f64 v[30:31], v[26:27], v[30:31], s[28:29]
	v_mul_f64 v[32:33], v[14:15], -v[26:27]
	v_mul_f64 v[34:35], v[16:17], 0.5
	v_fmac_f64_e32 v[34:35], v[32:33], v[30:31]
	v_fma_f64 v[16:17], v[26:27], v[34:35], -v[16:17]
	v_fmac_f64_e32 v[16:17], s[40:41], v[32:33]
	v_add_f64 v[14:15], v[14:15], -v[16:17]
	v_and_b32_e32 v16, 1, v7
	v_xor_b32_e32 v15, 0x80000000, v15
	v_cmp_eq_u32_e32 vcc, 0, v16
	v_lshlrev_b32_e32 v7, 30, v7
	s_nop 0
	v_cndmask_b32_e32 v26, v14, v28, vcc
	v_cndmask_b32_e32 v27, v15, v29, vcc
	v_mul_f64 v[14:15], v[20:21], v[24:25]
	v_div_scale_f64 v[16:17], s[12:13], v[38:39], v[38:39], v[14:15]
	v_rcp_f64_e32 v[20:21], v[16:17]
	v_bitop3_b32 v7, v27, v7, s43 bitop3:0x78
	v_cndmask_b32_e64 v24, 0, v26, s[2:3]
	v_cndmask_b32_e64 v25, v50, v7, s[2:3]
	v_fma_f64 v[26:27], -v[16:17], v[20:21], 1.0
	v_fmac_f64_e32 v[20:21], v[20:21], v[26:27]
	v_fma_f64 v[26:27], -v[16:17], v[20:21], 1.0
	v_fmac_f64_e32 v[20:21], v[20:21], v[26:27]
	v_div_scale_f64 v[26:27], vcc, v[14:15], v[38:39], v[14:15]
	v_mul_f64 v[28:29], v[26:27], v[20:21]
	v_fma_f64 v[16:17], -v[16:17], v[28:29], v[26:27]
	s_nop 1
	v_div_fmas_f64 v[16:17], v[16:17], v[20:21], v[28:29]
	v_div_fixup_f64 v[14:15], v[16:17], v[38:39], v[14:15]
	v_mul_f64 v[14:15], v[14:15], v[24:25]
	v_fma_f64 v[12:13], v[22:23], v[12:13], -v[14:15]
	v_mul_f64 v[2:3], v[2:3], v[12:13]
.LBB0_29:
	s_or_b64 exec, exec, s[10:11]
.LBB0_30:
	s_or_b64 exec, exec, s[8:9]
.LBB0_31:
	s_or_b64 exec, exec, s[6:7]
	v_mov_b32_e32 v16, 0
	v_mov_b32_e32 v17, v16
	;; [unrolled: 1-line block ×6, first 2 shown]
.LBB0_32:
	s_or_b64 exec, exec, s[4:5]
	v_add_u32_e32 v36, 0x100, v5
	v_cmp_lt_i32_e32 vcc, v36, v4
	s_and_saveexec_b64 s[4:5], vcc
	s_cbranch_execz .LBB0_56
; %bb.33:
	s_mov_b32 s2, 0
	s_mov_b32 s3, 0x7ff00000
	v_mov_b32_e32 v16, 0
	s_waitcnt vmcnt(0) lgkmcnt(0)
	v_cmp_neq_f64_e64 s[2:3], |v[18:19]|, s[2:3]
	v_mov_b32_e32 v17, 0x7ff80000
	s_and_saveexec_b64 s[6:7], s[2:3]
	s_cbranch_execz .LBB0_55
; %bb.34:
	s_mov_b32 s2, 0x872b020c
	s_mov_b32 s3, 0x4059f916
	v_cmp_nlt_f64_e32 vcc, s[2:3], v[18:19]
	v_mov_b64_e32 v[16:17], 0
	s_and_saveexec_b64 s[8:9], vcc
	s_cbranch_execz .LBB0_54
; %bb.35:
	s_mov_b32 s3, 0xc000b851
	s_mov_b32 s2, 0xeb851eb8
	v_cmp_ngt_f64_e32 vcc, s[2:3], v[18:19]
	s_and_saveexec_b64 s[10:11], vcc
	s_xor_b64 s[10:11], exec, s[10:11]
                                        ; implicit-def: $vgpr16_vgpr17
	s_cbranch_execz .LBB0_43
; %bb.36:
	s_mov_b32 s3, 0x4000b851
	v_cmp_nle_f64_e64 s[12:13], s[2:3], v[18:19]
	v_cmp_le_f64_e32 vcc, s[2:3], v[18:19]
	v_mov_b64_e32 v[16:17], 0
	s_mov_b64 s[2:3], s[12:13]
	s_and_saveexec_b64 s[14:15], vcc
	s_cbranch_execz .LBB0_38
; %bb.37:
	s_mov_b32 s2, 0
	s_brev_b32 s3, 8
	v_mov_b32_e32 v7, 0x100
	v_cmp_gt_f64_e32 vcc, s[2:3], v[18:19]
	v_mov_b32_e32 v34, 0xffffff80
	v_mov_b32_e32 v35, 0x260
	v_cndmask_b32_e32 v16, 0, v7, vcc
	v_ldexp_f64 v[16:17], v[18:19], v16
	v_rsq_f64_e32 v[20:21], v[16:17]
	v_add_f64 v[22:23], v[18:19], v[18:19]
	s_mov_b32 s16, 0
	s_mov_b32 s17, 0x40080000
	v_mul_f64 v[24:25], v[16:17], v[20:21]
	v_mul_f64 v[20:21], v[20:21], 0.5
	v_fma_f64 v[26:27], -v[20:21], v[24:25], 0.5
	v_fmac_f64_e32 v[24:25], v[24:25], v[26:27]
	v_fma_f64 v[28:29], -v[24:25], v[24:25], v[16:17]
	v_fmac_f64_e32 v[20:21], v[20:21], v[26:27]
	v_fmac_f64_e32 v[24:25], v[28:29], v[20:21]
	v_fma_f64 v[26:27], -v[24:25], v[24:25], v[16:17]
	v_fmac_f64_e32 v[24:25], v[26:27], v[20:21]
	v_cndmask_b32_e32 v20, 0, v34, vcc
	v_ldexp_f64 v[20:21], v[24:25], v20
	v_cmp_class_f64_e32 vcc, v[16:17], v35
	s_nop 1
	v_cndmask_b32_e32 v17, v21, v17, vcc
	v_cndmask_b32_e32 v16, v20, v16, vcc
	v_mul_f64 v[20:21], v[22:23], v[16:17]
	v_div_scale_f64 v[22:23], s[18:19], s[16:17], s[16:17], v[20:21]
	v_rcp_f64_e32 v[24:25], v[22:23]
	s_nop 0
	v_fma_f64 v[26:27], -v[22:23], v[24:25], 1.0
	v_fmac_f64_e32 v[24:25], v[24:25], v[26:27]
	v_fma_f64 v[26:27], -v[22:23], v[24:25], 1.0
	v_fmac_f64_e32 v[24:25], v[24:25], v[26:27]
	v_div_scale_f64 v[26:27], vcc, v[20:21], s[16:17], v[20:21]
	v_mul_f64 v[28:29], v[26:27], v[24:25]
	v_fma_f64 v[22:23], -v[22:23], v[28:29], v[26:27]
	s_nop 1
	v_div_fmas_f64 v[22:23], v[22:23], v[24:25], v[28:29]
	v_div_fixup_f64 v[20:21], v[22:23], s[16:17], v[20:21]
	v_div_scale_f64 v[22:23], s[16:17], v[20:21], v[20:21], 1.0
	v_rcp_f64_e32 v[24:25], v[22:23]
	s_nop 0
	v_fma_f64 v[26:27], -v[22:23], v[24:25], 1.0
	v_fmac_f64_e32 v[24:25], v[24:25], v[26:27]
	v_fma_f64 v[26:27], -v[22:23], v[24:25], 1.0
	v_fmac_f64_e32 v[24:25], v[24:25], v[26:27]
	v_div_scale_f64 v[26:27], vcc, 1.0, v[20:21], 1.0
	v_mul_f64 v[28:29], v[26:27], v[24:25]
	v_fma_f64 v[22:23], -v[22:23], v[28:29], v[26:27]
	v_mov_b32_e32 v26, 0x871a9067
	s_nop 0
	v_div_fmas_f64 v[22:23], v[22:23], v[24:25], v[28:29]
	v_div_fixup_f64 v[22:23], v[22:23], v[20:21], 1.0
	v_mov_b32_e32 v24, 0x2537b658
	v_mov_b32_e32 v25, 0x3fd62dae
	v_fmac_f64_e32 v[24:25], 0, v[22:23]
	v_mov_b32_e32 v27, 0x402803e3
	v_fmac_f64_e32 v[26:27], v[22:23], v[24:25]
	v_mov_b32_e32 v24, 0xde2e1e3
	v_mov_b32_e32 v25, 0x405311e5
	v_fmac_f64_e32 v[24:25], v[22:23], v[26:27]
	v_mov_b32_e32 v26, 0xee40073c
	;; [unrolled: 3-line block ×12, first 2 shown]
	v_mov_b32_e32 v27, 0x402c311b
	v_fmac_f64_e32 v[26:27], v[22:23], v[28:29]
	v_fma_f64 v[26:27], v[22:23], v[26:27], 1.0
	v_fma_f64 v[22:23], v[22:23], v[24:25], 1.0
	v_div_scale_f64 v[24:25], s[16:17], v[26:27], v[26:27], v[22:23]
	v_rcp_f64_e32 v[28:29], v[24:25]
	s_nop 0
	v_fma_f64 v[30:31], -v[24:25], v[28:29], 1.0
	v_fmac_f64_e32 v[28:29], v[28:29], v[30:31]
	v_fma_f64 v[30:31], -v[24:25], v[28:29], 1.0
	v_fmac_f64_e32 v[28:29], v[28:29], v[30:31]
	v_div_scale_f64 v[30:31], vcc, v[22:23], v[26:27], v[22:23]
	v_mul_f64 v[32:33], v[30:31], v[28:29]
	v_fma_f64 v[24:25], -v[24:25], v[32:33], v[30:31]
	s_nop 1
	v_div_fmas_f64 v[24:25], v[24:25], v[28:29], v[32:33]
	v_cmp_gt_f64_e32 vcc, s[2:3], v[16:17]
	v_div_fixup_f64 v[22:23], v[24:25], v[26:27], v[22:23]
	s_mov_b32 s2, 0x50429b6d
	v_cndmask_b32_e32 v7, 0, v7, vcc
	v_ldexp_f64 v[16:17], v[16:17], v7
	v_rsq_f64_e32 v[24:25], v[16:17]
	s_mov_b32 s3, 0x3fe20dd7
	v_mul_f64 v[22:23], v[22:23], s[2:3]
	v_cndmask_b32_e32 v7, 0, v34, vcc
	v_mul_f64 v[26:27], v[16:17], v[24:25]
	v_mul_f64 v[24:25], v[24:25], 0.5
	v_fma_f64 v[28:29], -v[24:25], v[26:27], 0.5
	v_fmac_f64_e32 v[26:27], v[26:27], v[28:29]
	v_fma_f64 v[30:31], -v[26:27], v[26:27], v[16:17]
	v_fmac_f64_e32 v[24:25], v[24:25], v[28:29]
	v_fmac_f64_e32 v[26:27], v[30:31], v[24:25]
	v_fma_f64 v[28:29], -v[26:27], v[26:27], v[16:17]
	v_fmac_f64_e32 v[26:27], v[28:29], v[24:25]
	s_mov_b32 s2, 0x652b82fe
	v_ldexp_f64 v[24:25], v[26:27], v7
	v_cmp_class_f64_e32 vcc, v[16:17], v35
	s_mov_b32 s3, 0x3ff71547
	v_mov_b32_e32 v28, 0xfca7ab0c
	v_cndmask_b32_e32 v17, v25, v17, vcc
	v_cndmask_b32_e32 v16, v24, v16, vcc
	v_mul_f64 v[24:25], v[20:21], s[2:3]
	s_mov_b32 s2, 0xfefa39ef
	v_rndne_f64_e32 v[24:25], v[24:25]
	s_mov_b32 s3, 0xbfe62e42
	v_fma_f64 v[26:27], s[2:3], v[24:25], v[20:21]
	s_mov_b32 s2, 0x3b39803f
	s_mov_b32 s3, 0xbc7abc9e
	v_fmac_f64_e32 v[26:27], s[2:3], v[24:25]
	s_mov_b32 s2, 0x6a5dcb37
	v_mov_b32_e32 v29, 0x3e928af3
	s_mov_b32 s3, 0x3e5ade15
	v_fmac_f64_e32 v[28:29], s[2:3], v[26:27]
	v_mov_b32_e32 v30, 0x623fde64
	v_mov_b32_e32 v31, 0x3ec71dee
	v_fmac_f64_e32 v[30:31], v[26:27], v[28:29]
	v_mov_b32_e32 v28, 0x7c89e6b0
	v_mov_b32_e32 v29, 0x3efa0199
	;; [unrolled: 3-line block ×8, first 2 shown]
	s_mov_b32 s2, 0
	v_fmac_f64_e32 v[28:29], v[26:27], v[30:31]
	s_mov_b32 s3, 0x40900000
	v_fma_f64 v[28:29], v[26:27], v[28:29], 1.0
	v_cmp_nlt_f64_e32 vcc, s[2:3], v[20:21]
	s_mov_b32 s2, 0
	v_fma_f64 v[26:27], v[26:27], v[28:29], 1.0
	v_cvt_i32_f64_e32 v7, v[24:25]
	s_mov_b32 s3, 0xc090cc00
	v_ldexp_f64 v[24:25], v[26:27], v7
	v_mov_b32_e32 v7, 0x7ff00000
	v_cmp_ngt_f64_e64 s[2:3], s[2:3], v[20:21]
	v_cndmask_b32_e32 v7, v7, v25, vcc
	s_and_b64 vcc, s[2:3], vcc
	v_add_f64 v[16:17], v[16:17], v[16:17]
	v_cndmask_b32_e64 v21, 0, v7, s[2:3]
	v_cndmask_b32_e32 v20, 0, v24, vcc
	v_mul_f64 v[16:17], v[16:17], v[20:21]
	v_div_scale_f64 v[20:21], s[2:3], v[16:17], v[16:17], v[22:23]
	v_rcp_f64_e32 v[24:25], v[20:21]
	s_mov_b32 s2, 0xfd0a823a
	s_mov_b32 s3, 0x4020a402
	v_fma_f64 v[26:27], -v[20:21], v[24:25], 1.0
	v_fmac_f64_e32 v[24:25], v[24:25], v[26:27]
	v_fma_f64 v[26:27], -v[20:21], v[24:25], 1.0
	v_fmac_f64_e32 v[24:25], v[24:25], v[26:27]
	v_div_scale_f64 v[26:27], vcc, v[22:23], v[16:17], v[22:23]
	v_mul_f64 v[28:29], v[26:27], v[24:25]
	v_fma_f64 v[20:21], -v[20:21], v[28:29], v[26:27]
	s_nop 1
	v_div_fmas_f64 v[20:21], v[20:21], v[24:25], v[28:29]
	v_cmp_nlt_f64_e32 vcc, s[2:3], v[18:19]
	s_andn2_b64 s[2:3], s[12:13], exec
	s_and_b64 s[16:17], vcc, exec
	v_div_fixup_f64 v[16:17], v[20:21], v[16:17], v[22:23]
	s_or_b64 s[2:3], s[2:3], s[16:17]
.LBB0_38:
	s_or_b64 exec, exec, s[14:15]
	s_and_saveexec_b64 s[14:15], s[2:3]
	s_cbranch_execz .LBB0_42
; %bb.39:
	v_mul_f64 v[20:21], v[18:19], v[18:19]
	s_mov_b32 s18, 0
	v_mul_f64 v[22:23], v[18:19], v[20:21]
	v_mov_b64_e32 v[28:29], 1.0
	s_mov_b64 s[16:17], 0
	v_mov_b64_e32 v[26:27], 1.0
	s_mov_b32 s19, 0x3cb00000
	v_mov_b64_e32 v[24:25], v[18:19]
	v_mov_b64_e32 v[20:21], 1.0
.LBB0_40:                               ; =>This Inner Loop Header: Depth=1
	v_mul_f64 v[28:29], v[22:23], v[28:29]
	v_add_f64 v[30:31], v[26:27], 1.0
	v_mul_f64 v[18:19], v[22:23], v[18:19]
	v_div_scale_f64 v[32:33], s[2:3], v[30:31], v[30:31], v[28:29]
	v_add_f64 v[38:39], v[30:31], 1.0
	v_rcp_f64_e32 v[48:49], v[32:33]
	v_div_scale_f64 v[50:51], s[2:3], v[38:39], v[38:39], v[18:19]
	v_rcp_f64_e32 v[54:55], v[50:51]
	v_fma_f64 v[64:65], -v[32:33], v[48:49], 1.0
	v_fmac_f64_e32 v[48:49], v[48:49], v[64:65]
	v_fma_f64 v[66:67], -v[32:33], v[48:49], 1.0
	v_fma_f64 v[64:65], -v[50:51], v[54:55], 1.0
	v_fmac_f64_e32 v[54:55], v[54:55], v[64:65]
	v_div_scale_f64 v[34:35], vcc, v[28:29], v[30:31], v[28:29]
	v_fmac_f64_e32 v[48:49], v[48:49], v[66:67]
	v_fma_f64 v[64:65], -v[50:51], v[54:55], 1.0
	v_div_scale_f64 v[52:53], s[2:3], v[18:19], v[38:39], v[18:19]
	v_mul_f64 v[66:67], v[34:35], v[48:49]
	v_fmac_f64_e32 v[54:55], v[54:55], v[64:65]
	v_fma_f64 v[32:33], -v[32:33], v[66:67], v[34:35]
	v_mul_f64 v[34:35], v[52:53], v[54:55]
	v_div_fmas_f64 v[32:33], v[32:33], v[48:49], v[66:67]
	v_fma_f64 v[48:49], -v[50:51], v[34:35], v[52:53]
	s_mov_b64 vcc, s[2:3]
	v_div_fixup_f64 v[28:29], v[32:33], v[30:31], v[28:29]
	v_div_fmas_f64 v[30:31], v[48:49], v[54:55], v[34:35]
	v_div_fixup_f64 v[18:19], v[30:31], v[38:39], v[18:19]
	v_div_scale_f64 v[30:31], s[2:3], v[38:39], v[38:39], v[28:29]
	v_add_f64 v[26:27], v[38:39], 1.0
	v_rcp_f64_e32 v[34:35], v[30:31]
	v_div_scale_f64 v[48:49], s[2:3], v[26:27], v[26:27], v[18:19]
	v_rcp_f64_e32 v[52:53], v[48:49]
	v_fma_f64 v[54:55], -v[30:31], v[34:35], 1.0
	v_fmac_f64_e32 v[34:35], v[34:35], v[54:55]
	v_fma_f64 v[64:65], -v[30:31], v[34:35], 1.0
	v_fma_f64 v[54:55], -v[48:49], v[52:53], 1.0
	v_div_scale_f64 v[32:33], vcc, v[28:29], v[38:39], v[28:29]
	v_fmac_f64_e32 v[52:53], v[52:53], v[54:55]
	v_fmac_f64_e32 v[34:35], v[34:35], v[64:65]
	v_fma_f64 v[54:55], -v[48:49], v[52:53], 1.0
	v_mul_f64 v[64:65], v[32:33], v[34:35]
	v_div_scale_f64 v[50:51], s[2:3], v[18:19], v[26:27], v[18:19]
	v_fmac_f64_e32 v[52:53], v[52:53], v[54:55]
	v_fma_f64 v[30:31], -v[30:31], v[64:65], v[32:33]
	v_mul_f64 v[32:33], v[50:51], v[52:53]
	v_div_fmas_f64 v[30:31], v[30:31], v[34:35], v[64:65]
	v_fma_f64 v[34:35], -v[48:49], v[32:33], v[50:51]
	v_div_fixup_f64 v[28:29], v[30:31], v[38:39], v[28:29]
	s_mov_b64 vcc, s[2:3]
	v_div_fmas_f64 v[30:31], v[34:35], v[52:53], v[32:33]
	v_add_f64 v[20:21], v[20:21], v[28:29]
	v_div_fixup_f64 v[18:19], v[30:31], v[26:27], v[18:19]
	v_div_scale_f64 v[30:31], s[2:3], v[20:21], v[20:21], v[28:29]
	v_rcp_f64_e32 v[32:33], v[30:31]
	v_div_scale_f64 v[34:35], vcc, v[28:29], v[20:21], v[28:29]
	v_add_f64 v[24:25], v[24:25], v[18:19]
	v_fma_f64 v[38:39], -v[30:31], v[32:33], 1.0
	v_fmac_f64_e32 v[32:33], v[32:33], v[38:39]
	v_fma_f64 v[38:39], -v[30:31], v[32:33], 1.0
	v_fmac_f64_e32 v[32:33], v[32:33], v[38:39]
	v_mul_f64 v[38:39], v[34:35], v[32:33]
	v_fma_f64 v[30:31], -v[30:31], v[38:39], v[34:35]
	v_div_fmas_f64 v[30:31], v[30:31], v[32:33], v[38:39]
	v_div_fixup_f64 v[30:31], v[30:31], v[20:21], v[28:29]
	v_cmp_ngt_f64_e64 s[2:3], |v[30:31]|, s[18:19]
	s_or_b64 s[16:17], s[2:3], s[16:17]
	s_andn2_b64 exec, exec, s[16:17]
	s_cbranch_execnz .LBB0_40
; %bb.41:
	s_or_b64 exec, exec, s[16:17]
	s_mov_b32 s2, 0x42b70f8b
	s_mov_b32 s3, 0xbfd0907f
	v_mul_f64 v[18:19], v[24:25], s[2:3]
	s_mov_b32 s2, 0x962715b8
	s_mov_b32 s3, 0x3fd6b8c7
	v_fmac_f64_e32 v[18:19], s[2:3], v[20:21]
	v_cndmask_b32_e64 v17, v17, v19, s[12:13]
	v_cndmask_b32_e64 v16, v16, v18, s[12:13]
.LBB0_42:
	s_or_b64 exec, exec, s[14:15]
                                        ; implicit-def: $vgpr18_vgpr19
.LBB0_43:
	s_andn2_saveexec_b64 s[10:11], s[10:11]
	s_cbranch_execz .LBB0_53
; %bb.44:
	s_mov_b32 s2, 0
	s_brev_b32 s3, 9
	v_mov_b32_e32 v7, 0x100
	v_cmp_lt_f64_e32 vcc, s[2:3], v[18:19]
	s_mov_b32 s12, 0
	s_mov_b32 s13, 0x40080000
	v_cndmask_b32_e32 v7, 0, v7, vcc
	v_ldexp_f64 v[16:17], -v[18:19], v7
	v_rsq_f64_e32 v[20:21], v[16:17]
	v_mov_b32_e32 v7, 0xffffff80
	v_cndmask_b32_e32 v7, 0, v7, vcc
	v_mul_f64 v[18:19], v[18:19], -2.0
	v_mul_f64 v[22:23], v[16:17], v[20:21]
	v_mul_f64 v[20:21], v[20:21], 0.5
	v_fma_f64 v[24:25], -v[20:21], v[22:23], 0.5
	v_fmac_f64_e32 v[22:23], v[22:23], v[24:25]
	v_fma_f64 v[26:27], -v[22:23], v[22:23], v[16:17]
	v_fmac_f64_e32 v[20:21], v[20:21], v[24:25]
	v_fmac_f64_e32 v[22:23], v[26:27], v[20:21]
	v_fma_f64 v[24:25], -v[22:23], v[22:23], v[16:17]
	v_fmac_f64_e32 v[22:23], v[24:25], v[20:21]
	v_ldexp_f64 v[20:21], v[22:23], v7
	v_mov_b32_e32 v7, 0x260
	v_cmp_class_f64_e32 vcc, v[16:17], v7
	s_mov_b32 s15, 0x3fe921fb
	s_mov_b32 s14, 0x54442d18
	v_cndmask_b32_e32 v17, v21, v17, vcc
	v_cndmask_b32_e32 v16, v20, v16, vcc
	v_mul_f64 v[18:19], v[18:19], v[16:17]
	v_div_scale_f64 v[20:21], s[2:3], s[12:13], s[12:13], v[18:19]
	v_rcp_f64_e32 v[22:23], v[20:21]
	s_movk_i32 s2, 0xff80
                                        ; implicit-def: $vgpr37
                                        ; implicit-def: $vgpr28_vgpr29
	v_fma_f64 v[24:25], -v[20:21], v[22:23], 1.0
	v_fmac_f64_e32 v[22:23], v[22:23], v[24:25]
	v_fma_f64 v[24:25], -v[20:21], v[22:23], 1.0
	v_fmac_f64_e32 v[22:23], v[22:23], v[24:25]
	v_div_scale_f64 v[24:25], vcc, v[18:19], s[12:13], v[18:19]
	v_mul_f64 v[26:27], v[24:25], v[22:23]
	v_fma_f64 v[20:21], -v[20:21], v[26:27], v[24:25]
	s_nop 1
	v_div_fmas_f64 v[20:21], v[20:21], v[22:23], v[26:27]
	v_div_fixup_f64 v[24:25], v[20:21], s[12:13], v[18:19]
	s_mov_b32 s12, 0
	v_add_f64 v[18:19], v[24:25], s[14:15]
	s_mov_b32 s13, 0x41d00000
	v_cmp_nlt_f64_e64 s[12:13], |v[18:19]|, s[12:13]
	v_trig_preop_f64 v[34:35], |v[18:19]|, 0
	v_trig_preop_f64 v[32:33], |v[18:19]|, 1
	;; [unrolled: 1-line block ×3, first 2 shown]
                                        ; implicit-def: $vgpr26_vgpr27
	s_and_saveexec_b64 s[16:17], s[12:13]
	s_xor_b64 s[16:17], exec, s[16:17]
	s_cbranch_execz .LBB0_46
; %bb.45:
	s_mov_b32 s18, 0
	s_mov_b32 s19, 0x7b000000
	v_and_b32_e32 v7, 0x7fffffff, v19
	v_ldexp_f64 v[20:21], |v[18:19]|, s2
	v_cmp_ge_f64_e64 vcc, |v[18:19]|, s[18:19]
	s_mov_b32 s2, 0
	s_mov_b32 s3, 0x7ff00000
	v_cndmask_b32_e32 v21, v7, v21, vcc
	v_cndmask_b32_e32 v20, v18, v20, vcc
	v_mul_f64 v[26:27], v[34:35], v[20:21]
	v_mul_f64 v[22:23], v[32:33], v[20:21]
	v_fma_f64 v[28:29], v[34:35], v[20:21], -v[26:27]
	v_add_f64 v[38:39], v[22:23], v[28:29]
	v_add_f64 v[54:55], v[38:39], -v[22:23]
	v_add_f64 v[28:29], v[28:29], -v[54:55]
	;; [unrolled: 1-line block ×4, first 2 shown]
	v_add_f64 v[28:29], v[28:29], v[54:55]
	v_fma_f64 v[22:23], v[32:33], v[20:21], -v[22:23]
	v_mul_f64 v[54:55], v[30:31], v[20:21]
	v_add_f64 v[64:65], v[54:55], v[22:23]
	v_add_f64 v[48:49], v[26:27], v[38:39]
	;; [unrolled: 1-line block ×3, first 2 shown]
	v_ldexp_f64 v[50:51], v[48:49], -2
	v_add_f64 v[26:27], v[48:49], -v[26:27]
	v_add_f64 v[48:49], v[66:67], -v[64:65]
	;; [unrolled: 1-line block ×5, first 2 shown]
	v_add_f64 v[28:29], v[28:29], v[48:49]
	v_add_f64 v[48:49], v[64:65], -v[54:55]
	v_add_f64 v[22:23], v[22:23], -v[48:49]
	;; [unrolled: 1-line block ×5, first 2 shown]
	v_add_f64 v[22:23], v[22:23], v[48:49]
	v_fract_f64_e32 v[52:53], v[50:51]
	v_add_f64 v[38:39], v[26:27], v[66:67]
	v_add_f64 v[22:23], v[22:23], v[28:29]
	v_fma_f64 v[20:21], v[30:31], v[20:21], -v[54:55]
	v_add_f64 v[26:27], v[38:39], -v[26:27]
	v_add_f64 v[20:21], v[20:21], v[22:23]
	v_ldexp_f64 v[22:23], v[52:53], 2
	v_cmp_neq_f64_e64 vcc, |v[50:51]|, s[2:3]
	v_add_f64 v[26:27], v[66:67], -v[26:27]
	v_add_f64 v[20:21], v[26:27], v[20:21]
	v_cndmask_b32_e32 v23, 0, v23, vcc
	v_cndmask_b32_e32 v22, 0, v22, vcc
	v_add_f64 v[26:27], v[38:39], v[22:23]
	v_mov_b32_e32 v7, 0x40100000
	v_cmp_gt_f64_e32 vcc, 0, v[26:27]
	v_mov_b32_e32 v26, 0
	s_mov_b32 s15, 0x3ff921fb
	v_cndmask_b32_e32 v27, 0, v7, vcc
	v_add_f64 v[22:23], v[22:23], v[26:27]
	v_add_f64 v[28:29], v[38:39], v[22:23]
	v_cvt_i32_f64_e32 v7, v[28:29]
	v_cvt_f64_i32_e32 v[28:29], v7
	v_add_f64 v[22:23], v[22:23], -v[28:29]
	v_add_f64 v[28:29], v[38:39], v[22:23]
	v_cmp_le_f64_e32 vcc, 0.5, v[28:29]
	v_add_f64 v[22:23], v[28:29], -v[22:23]
	v_add_f64 v[22:23], v[38:39], -v[22:23]
	v_addc_co_u32_e64 v37, s[2:3], 0, v7, vcc
	v_mov_b32_e32 v7, 0x3ff00000
	v_cndmask_b32_e32 v27, 0, v7, vcc
	v_add_f64 v[20:21], v[20:21], v[22:23]
	v_add_f64 v[22:23], v[28:29], -v[26:27]
	v_add_f64 v[26:27], v[22:23], v[20:21]
	v_add_f64 v[22:23], v[26:27], -v[22:23]
	v_add_f64 v[20:21], v[20:21], -v[22:23]
	v_mul_f64 v[22:23], v[26:27], s[14:15]
	s_mov_b32 s2, 0x33145c07
	v_fma_f64 v[28:29], v[26:27], s[14:15], -v[22:23]
	s_mov_b32 s3, 0x3c91a626
	v_fmac_f64_e32 v[28:29], s[2:3], v[26:27]
	v_fmac_f64_e32 v[28:29], s[14:15], v[20:21]
	v_add_f64 v[26:27], v[22:23], v[28:29]
	v_add_f64 v[20:21], v[26:27], -v[22:23]
	v_add_f64 v[28:29], v[28:29], -v[20:21]
	s_andn2_saveexec_b64 s[2:3], s[16:17]
	s_cbranch_execz .LBB0_48
	s_branch .LBB0_47
.LBB0_46:
	s_andn2_saveexec_b64 s[2:3], s[16:17]
	s_cbranch_execz .LBB0_48
.LBB0_47:
	s_mov_b32 s14, 0x6dc9c883
	s_mov_b32 s15, 0x3fe45f30
	v_mul_f64 v[20:21], |v[18:19]|, s[14:15]
	s_mov_b32 s14, 0x54442d18
	v_rndne_f64_e32 v[20:21], v[20:21]
	s_mov_b32 s15, 0xbff921fb
	v_fma_f64 v[22:23], v[20:21], s[14:15], |v[18:19]|
	s_mov_b32 s15, 0xbc91a626
	s_mov_b32 s14, 0x33145c00
	v_mul_f64 v[26:27], v[20:21], s[14:15]
	v_add_f64 v[48:49], v[22:23], v[26:27]
	v_fma_f64 v[28:29], s[14:15], v[20:21], v[22:23]
	s_mov_b32 s15, 0x3c91a626
	v_add_f64 v[22:23], v[22:23], -v[48:49]
	v_fma_f64 v[38:39], s[14:15], v[20:21], v[26:27]
	v_add_f64 v[22:23], v[22:23], v[26:27]
	v_add_f64 v[26:27], v[48:49], -v[28:29]
	v_add_f64 v[22:23], v[26:27], v[22:23]
	s_mov_b32 s14, 0x252049c0
	v_add_f64 v[22:23], v[22:23], -v[38:39]
	s_mov_b32 s15, 0xb97b839a
	v_fmac_f64_e32 v[22:23], s[14:15], v[20:21]
	v_add_f64 v[26:27], v[28:29], v[22:23]
	v_add_f64 v[28:29], v[26:27], -v[28:29]
	v_add_f64 v[28:29], v[22:23], -v[28:29]
	v_cvt_i32_f64_e32 v37, v[20:21]
.LBB0_48:
	s_or_b64 exec, exec, s[2:3]
                                        ; implicit-def: $vgpr7
                                        ; implicit-def: $vgpr20_vgpr21
                                        ; implicit-def: $vgpr22_vgpr23
	s_and_saveexec_b64 s[2:3], s[12:13]
	s_xor_b64 s[12:13], exec, s[2:3]
	s_cbranch_execz .LBB0_50
; %bb.49:
	s_mov_b32 s2, 0
	s_mov_b32 s3, 0x7b000000
	s_movk_i32 s14, 0xff80
	v_and_b32_e32 v7, 0x7fffffff, v19
	v_ldexp_f64 v[20:21], |v[18:19]|, s14
	v_cmp_ge_f64_e64 vcc, |v[18:19]|, s[2:3]
	s_mov_b32 s2, 0
	s_mov_b32 s3, 0x7ff00000
	v_cndmask_b32_e32 v21, v7, v21, vcc
	v_cndmask_b32_e32 v20, v18, v20, vcc
	v_mul_f64 v[38:39], v[34:35], v[20:21]
	v_mul_f64 v[22:23], v[32:33], v[20:21]
	v_fma_f64 v[34:35], v[34:35], v[20:21], -v[38:39]
	v_add_f64 v[48:49], v[22:23], v[34:35]
	v_add_f64 v[64:65], v[48:49], -v[22:23]
	v_add_f64 v[34:35], v[34:35], -v[64:65]
	;; [unrolled: 1-line block ×4, first 2 shown]
	v_fma_f64 v[22:23], v[32:33], v[20:21], -v[22:23]
	v_mul_f64 v[32:33], v[30:31], v[20:21]
	v_add_f64 v[34:35], v[34:35], v[64:65]
	v_add_f64 v[64:65], v[32:33], v[22:23]
	;; [unrolled: 1-line block ×4, first 2 shown]
	v_ldexp_f64 v[52:53], v[50:51], -2
	v_add_f64 v[38:39], v[50:51], -v[38:39]
	v_add_f64 v[50:51], v[66:67], -v[64:65]
	;; [unrolled: 1-line block ×5, first 2 shown]
	v_add_f64 v[34:35], v[34:35], v[50:51]
	v_add_f64 v[50:51], v[64:65], -v[32:33]
	v_add_f64 v[22:23], v[22:23], -v[50:51]
	;; [unrolled: 1-line block ×4, first 2 shown]
	v_add_f64 v[22:23], v[22:23], v[50:51]
	v_fract_f64_e32 v[54:55], v[52:53]
	v_add_f64 v[22:23], v[22:23], v[34:35]
	v_fma_f64 v[20:21], v[30:31], v[20:21], -v[32:33]
	v_add_f64 v[38:39], v[48:49], -v[38:39]
	v_add_f64 v[20:21], v[20:21], v[22:23]
	v_ldexp_f64 v[22:23], v[54:55], 2
	v_cmp_neq_f64_e64 vcc, |v[52:53]|, s[2:3]
	v_add_f64 v[48:49], v[38:39], v[66:67]
	v_mov_b32_e32 v7, 0x40100000
	v_cndmask_b32_e32 v23, 0, v23, vcc
	v_cndmask_b32_e32 v22, 0, v22, vcc
	v_add_f64 v[30:31], v[48:49], v[22:23]
	v_cmp_gt_f64_e32 vcc, 0, v[30:31]
	v_mov_b32_e32 v30, 0
	v_add_f64 v[38:39], v[48:49], -v[38:39]
	v_cndmask_b32_e32 v31, 0, v7, vcc
	v_add_f64 v[22:23], v[22:23], v[30:31]
	v_add_f64 v[32:33], v[48:49], v[22:23]
	v_cvt_i32_f64_e32 v7, v[32:33]
	v_cvt_f64_i32_e32 v[32:33], v7
	v_add_f64 v[22:23], v[22:23], -v[32:33]
	v_add_f64 v[32:33], v[48:49], v[22:23]
	v_add_f64 v[38:39], v[66:67], -v[38:39]
	v_add_f64 v[22:23], v[32:33], -v[22:23]
	v_add_f64 v[20:21], v[38:39], v[20:21]
	v_add_f64 v[22:23], v[48:49], -v[22:23]
	v_add_f64 v[20:21], v[20:21], v[22:23]
	v_cmp_le_f64_e32 vcc, 0.5, v[32:33]
	v_mov_b32_e32 v22, 0x3ff00000
	s_mov_b32 s14, 0x33145c07
	v_cndmask_b32_e32 v31, 0, v22, vcc
	v_addc_co_u32_e64 v7, s[2:3], 0, v7, vcc
	v_add_f64 v[22:23], v[32:33], -v[30:31]
	v_add_f64 v[30:31], v[22:23], v[20:21]
	s_mov_b32 s2, 0x54442d18
	v_add_f64 v[22:23], v[30:31], -v[22:23]
	s_mov_b32 s3, 0x3ff921fb
	v_add_f64 v[20:21], v[20:21], -v[22:23]
	v_mul_f64 v[22:23], v[30:31], s[2:3]
	v_fma_f64 v[32:33], v[30:31], s[2:3], -v[22:23]
	s_mov_b32 s15, 0x3c91a626
	v_fmac_f64_e32 v[32:33], s[14:15], v[30:31]
	v_fmac_f64_e32 v[32:33], s[2:3], v[20:21]
	v_add_f64 v[20:21], v[22:23], v[32:33]
	v_add_f64 v[22:23], v[20:21], -v[22:23]
	v_add_f64 v[22:23], v[32:33], -v[22:23]
	s_andn2_saveexec_b64 s[2:3], s[12:13]
	s_cbranch_execnz .LBB0_51
	s_branch .LBB0_52
.LBB0_50:
	s_andn2_saveexec_b64 s[2:3], s[12:13]
	s_cbranch_execz .LBB0_52
.LBB0_51:
	s_mov_b32 s12, 0x6dc9c883
	s_mov_b32 s13, 0x3fe45f30
	v_mul_f64 v[20:21], |v[18:19]|, s[12:13]
	s_mov_b32 s12, 0x54442d18
	v_rndne_f64_e32 v[30:31], v[20:21]
	s_mov_b32 s13, 0xbff921fb
	v_fma_f64 v[20:21], v[30:31], s[12:13], |v[18:19]|
	s_mov_b32 s13, 0xbc91a626
	s_mov_b32 s12, 0x33145c00
	v_mul_f64 v[32:33], v[30:31], s[12:13]
	v_add_f64 v[38:39], v[20:21], v[32:33]
	v_fma_f64 v[22:23], s[12:13], v[30:31], v[20:21]
	s_mov_b32 s13, 0x3c91a626
	v_add_f64 v[20:21], v[20:21], -v[38:39]
	v_fma_f64 v[34:35], s[12:13], v[30:31], v[32:33]
	v_add_f64 v[20:21], v[20:21], v[32:33]
	v_add_f64 v[32:33], v[38:39], -v[22:23]
	v_add_f64 v[20:21], v[32:33], v[20:21]
	s_mov_b32 s12, 0x252049c0
	v_add_f64 v[32:33], v[20:21], -v[34:35]
	s_mov_b32 s13, 0xb97b839a
	v_fmac_f64_e32 v[32:33], s[12:13], v[30:31]
	v_add_f64 v[20:21], v[22:23], v[32:33]
	v_add_f64 v[22:23], v[20:21], -v[22:23]
	v_add_f64 v[22:23], v[32:33], -v[22:23]
	v_cvt_i32_f64_e32 v7, v[30:31]
.LBB0_52:
	s_or_b64 exec, exec, s[2:3]
	v_div_scale_f64 v[30:31], s[2:3], v[24:25], v[24:25], 1.0
	v_rcp_f64_e32 v[32:33], v[30:31]
	v_div_scale_f64 v[34:35], vcc, 1.0, v[24:25], 1.0
	v_mov_b32_e32 v48, 0xb99518a7
	v_fma_f64 v[38:39], -v[30:31], v[32:33], 1.0
	v_fmac_f64_e32 v[32:33], v[32:33], v[38:39]
	v_fma_f64 v[38:39], -v[30:31], v[32:33], 1.0
	v_fmac_f64_e32 v[32:33], v[32:33], v[38:39]
	v_mul_f64 v[38:39], v[34:35], v[32:33]
	v_fma_f64 v[30:31], -v[30:31], v[38:39], v[34:35]
	v_div_fmas_f64 v[30:31], v[30:31], v[32:33], v[38:39]
	v_div_fixup_f64 v[24:25], v[30:31], v[24:25], 1.0
	v_mul_f64 v[30:31], v[24:25], v[24:25]
	v_mov_b32_e32 v32, 0xd50ae6fb
	v_mov_b32_e32 v33, 0xbfc0db6c
	v_fmac_f64_e32 v[32:33], 0, v[30:31]
	v_mov_b32_e32 v34, 0x98566852
	v_mov_b32_e32 v35, 0xbfe40bee
	v_fmac_f64_e32 v[34:35], v[30:31], v[32:33]
	;; [unrolled: 3-line block ×16, first 2 shown]
	v_mov_b32_e32 v49, 0x3e9e52b9
	v_mul_f64 v[50:51], v[26:27], v[26:27]
	v_fmac_f64_e32 v[48:49], v[30:31], v[38:39]
	v_mov_b32_e32 v38, 0xf68ea2d2
	v_mov_b32_e32 v39, 0xbe52041c
	v_mul_f64 v[32:33], v[50:51], 0.5
	v_fmac_f64_e32 v[38:39], v[30:31], v[34:35]
	v_add_f64 v[34:35], -v[32:33], 1.0
	s_mov_b32 s2, 0x9037ab78
	v_add_f64 v[52:53], -v[34:35], 1.0
	s_mov_b32 s3, 0x3e21eeb6
	s_mov_b32 s12, 0x46cc5e42
	v_add_f64 v[52:53], v[52:53], -v[32:33]
	s_mov_b32 s13, 0xbda907db
	v_mov_b64_e32 v[32:33], s[2:3]
	s_mov_b32 s14, 0xa17f65f6
	v_fma_f64 v[64:65], s[12:13], v[50:51], v[32:33]
	s_mov_b32 s15, 0xbe927e4f
	s_mov_b32 s16, 0x19f4ec90
	v_fma_f64 v[64:65], v[50:51], v[64:65], s[14:15]
	s_mov_b32 s17, 0x3efa01a0
	;; [unrolled: 3-line block ×4, first 2 shown]
	v_mul_f64 v[54:55], v[50:51], v[50:51]
	v_fma_f64 v[64:65], v[50:51], v[64:65], s[20:21]
	v_fma_f64 v[52:53], v[26:27], -v[28:29], v[52:53]
	s_mov_b32 s2, 0xb42fdfa7
	v_fmac_f64_e32 v[52:53], v[54:55], v[64:65]
	s_mov_b32 s3, 0xbe5ae600
	s_mov_b32 s22, 0xf9a43bb8
	v_add_f64 v[52:53], v[34:35], v[52:53]
	s_mov_b32 s23, 0x3de5e0b2
	v_mov_b64_e32 v[34:35], s[2:3]
	s_mov_b32 s24, 0x796cde01
	v_fma_f64 v[54:55], s[22:23], v[50:51], v[34:35]
	s_mov_b32 s25, 0x3ec71de3
	s_mov_b32 s26, 0x19e83e5c
	v_fma_f64 v[54:55], v[50:51], v[54:55], s[24:25]
	s_mov_b32 s27, 0xbf2a01a0
	;; [unrolled: 3-line block ×3, first 2 shown]
	v_fma_f64 v[54:55], v[50:51], v[54:55], s[28:29]
	v_mul_f64 v[64:65], v[26:27], -v[50:51]
	v_mul_f64 v[66:67], v[28:29], 0.5
	v_fmac_f64_e32 v[66:67], v[64:65], v[54:55]
	v_fma_f64 v[28:29], v[50:51], v[66:67], -v[28:29]
	s_mov_b32 s41, 0xbfc55555
	s_mov_b32 s40, s20
	v_fmac_f64_e32 v[28:29], s[40:41], v[64:65]
	v_add_f64 v[26:27], v[26:27], -v[28:29]
	v_and_b32_e32 v28, 1, v37
	v_cmp_eq_u32_e32 vcc, 0, v28
	s_brev_b32 s43, 1
	s_movk_i32 s44, 0x1f8
	v_cndmask_b32_e32 v50, v52, v26, vcc
	v_cndmask_b32_e32 v26, v53, v27, vcc
	v_lshlrev_b32_e32 v27, 30, v37
	v_xor_b32_e32 v27, v27, v19
	v_bitop3_b32 v37, v26, v27, s43 bitop3:0x78
	v_mul_f64 v[26:27], v[30:31], v[38:39]
	v_div_scale_f64 v[28:29], s[2:3], v[48:49], v[48:49], v[26:27]
	v_rcp_f64_e32 v[38:39], v[28:29]
	v_cmp_class_f64_e64 s[2:3], v[18:19], s44
	s_mov_b32 s44, 0
	v_mov_b32_e32 v64, 0x7ff80000
	v_cndmask_b32_e64 v18, 0, v50, s[2:3]
	v_fma_f64 v[50:51], -v[28:29], v[38:39], 1.0
	v_fmac_f64_e32 v[38:39], v[38:39], v[50:51]
	v_fma_f64 v[50:51], -v[28:29], v[38:39], 1.0
	v_fmac_f64_e32 v[38:39], v[38:39], v[50:51]
	v_div_scale_f64 v[50:51], vcc, v[26:27], v[48:49], v[26:27]
	v_mul_f64 v[52:53], v[50:51], v[38:39]
	v_fma_f64 v[28:29], -v[28:29], v[52:53], v[50:51]
	s_brev_b32 s45, 8
	s_nop 0
	v_div_fmas_f64 v[28:29], v[28:29], v[38:39], v[52:53]
	v_div_fixup_f64 v[26:27], v[28:29], v[48:49], v[26:27]
	v_mov_b32_e32 v28, 0xddcfbbde
	v_mov_b32_e32 v29, 0x3f943525
	v_fmac_f64_e32 v[28:29], 0, v[30:31]
	v_mov_b32_e32 v38, 0x6437b7
	v_mov_b32_e32 v39, 0x3fd907d5
	v_fmac_f64_e32 v[38:39], v[30:31], v[28:29]
	;; [unrolled: 3-line block ×15, first 2 shown]
	v_mov_b32_e32 v38, 0xc195ece3
	v_mov_b32_e32 v39, 0x3fee8992
	v_cndmask_b32_e64 v19, v64, v37, s[2:3]
	v_fmac_f64_e32 v[38:39], v[30:31], v[48:49]
	v_mov_b32_e32 v48, 0xed64a9ee
	v_mov_b32_e32 v49, 0x3fb6221d
	;; [unrolled: 1-line block ×3, first 2 shown]
	v_cmp_gt_f64_e32 vcc, s[44:45], v[16:17]
	v_fmac_f64_e32 v[48:49], v[30:31], v[38:39]
	v_mov_b32_e32 v38, 0x6be393bb
	v_mov_b32_e32 v39, 0x3f70e704
	v_cndmask_b32_e32 v37, 0, v37, vcc
	v_fmac_f64_e32 v[38:39], v[30:31], v[48:49]
	v_mov_b32_e32 v48, 0xd603a5a0
	v_mov_b32_e32 v49, 0x3f1a8b61
	v_ldexp_f64 v[16:17], v[16:17], v37
	v_fmac_f64_e32 v[48:49], v[30:31], v[38:39]
	v_rsq_f64_e32 v[38:39], v[16:17]
	v_mov_b32_e32 v50, 0xdb0724e8
	v_mov_b32_e32 v51, 0x3eb3a845
	v_fmac_f64_e32 v[50:51], v[30:31], v[48:49]
	v_mul_f64 v[48:49], v[16:17], v[38:39]
	v_mul_f64 v[38:39], v[38:39], 0.5
	v_fma_f64 v[52:53], -v[38:39], v[48:49], 0.5
	v_fmac_f64_e32 v[48:49], v[48:49], v[52:53]
	v_fma_f64 v[54:55], -v[48:49], v[48:49], v[16:17]
	v_fmac_f64_e32 v[38:39], v[38:39], v[52:53]
	v_fmac_f64_e32 v[48:49], v[54:55], v[38:39]
	v_fma_f64 v[52:53], -v[48:49], v[48:49], v[16:17]
	v_mov_b32_e32 v37, 0xffffff80
	v_fmac_f64_e32 v[48:49], v[52:53], v[38:39]
	v_cndmask_b32_e32 v37, 0, v37, vcc
	v_ldexp_f64 v[38:39], v[48:49], v37
	v_mov_b32_e32 v37, 0x260
	v_cmp_class_f64_e32 vcc, v[16:17], v37
	s_mov_b32 s44, 0x50429b6d
	s_mov_b32 s45, 0x3fe20dd7
	v_cndmask_b32_e32 v17, v39, v17, vcc
	v_cndmask_b32_e32 v16, v38, v16, vcc
	v_div_scale_f64 v[38:39], s[46:47], v[16:17], v[16:17], s[44:45]
	v_rcp_f64_e32 v[48:49], v[38:39]
	v_mov_b32_e32 v52, 0x3dd589d4
	v_mov_b32_e32 v53, 0x3e351fc7
	v_fmac_f64_e32 v[52:53], v[30:31], v[50:51]
	v_fma_f64 v[30:31], -v[38:39], v[48:49], 1.0
	v_fmac_f64_e32 v[48:49], v[48:49], v[30:31]
	v_fma_f64 v[30:31], -v[38:39], v[48:49], 1.0
	v_fmac_f64_e32 v[48:49], v[48:49], v[30:31]
	v_div_scale_f64 v[30:31], vcc, s[44:45], v[16:17], s[44:45]
	v_mul_f64 v[50:51], v[30:31], v[48:49]
	v_fma_f64 v[30:31], -v[38:39], v[50:51], v[30:31]
	v_add_f64 v[26:27], v[26:27], 1.0
	s_nop 0
	v_div_fmas_f64 v[30:31], v[30:31], v[48:49], v[50:51]
	v_div_fixup_f64 v[16:17], v[30:31], v[16:17], s[44:45]
	v_mul_f64 v[30:31], v[20:21], v[20:21]
	v_mul_f64 v[38:39], v[30:31], 0.5
	v_fmac_f64_e32 v[32:33], s[12:13], v[30:31]
	v_add_f64 v[48:49], -v[38:39], 1.0
	v_fma_f64 v[32:33], v[30:31], v[32:33], s[14:15]
	v_add_f64 v[50:51], -v[48:49], 1.0
	v_fma_f64 v[32:33], v[30:31], v[32:33], s[16:17]
	v_add_f64 v[38:39], v[50:51], -v[38:39]
	v_fma_f64 v[32:33], v[30:31], v[32:33], s[18:19]
	v_fmac_f64_e32 v[34:35], s[22:23], v[30:31]
	v_mul_f64 v[50:51], v[30:31], v[30:31]
	v_fma_f64 v[32:33], v[30:31], v[32:33], s[20:21]
	v_fma_f64 v[38:39], v[20:21], -v[22:23], v[38:39]
	v_fma_f64 v[34:35], v[30:31], v[34:35], s[24:25]
	v_fmac_f64_e32 v[38:39], v[50:51], v[32:33]
	v_fma_f64 v[34:35], v[30:31], v[34:35], s[26:27]
	v_add_f64 v[32:33], v[48:49], v[38:39]
	v_fma_f64 v[34:35], v[30:31], v[34:35], s[28:29]
	v_mul_f64 v[38:39], v[20:21], -v[30:31]
	v_mul_f64 v[48:49], v[22:23], 0.5
	v_fmac_f64_e32 v[48:49], v[38:39], v[34:35]
	v_fma_f64 v[22:23], v[30:31], v[48:49], -v[22:23]
	v_fmac_f64_e32 v[22:23], s[40:41], v[38:39]
	v_add_f64 v[20:21], v[20:21], -v[22:23]
	v_and_b32_e32 v22, 1, v7
	v_xor_b32_e32 v21, 0x80000000, v21
	v_cmp_eq_u32_e32 vcc, 0, v22
	v_lshlrev_b32_e32 v7, 30, v7
	s_nop 0
	v_cndmask_b32_e32 v30, v20, v32, vcc
	v_cndmask_b32_e32 v31, v21, v33, vcc
	v_mul_f64 v[20:21], v[24:25], v[28:29]
	v_div_scale_f64 v[22:23], s[12:13], v[52:53], v[52:53], v[20:21]
	v_rcp_f64_e32 v[24:25], v[22:23]
	v_bitop3_b32 v7, v31, v7, s43 bitop3:0x78
	v_cndmask_b32_e64 v28, 0, v30, s[2:3]
	v_cndmask_b32_e64 v29, v64, v7, s[2:3]
	v_fma_f64 v[30:31], -v[22:23], v[24:25], 1.0
	v_fmac_f64_e32 v[24:25], v[24:25], v[30:31]
	v_fma_f64 v[30:31], -v[22:23], v[24:25], 1.0
	v_fmac_f64_e32 v[24:25], v[24:25], v[30:31]
	v_div_scale_f64 v[30:31], vcc, v[20:21], v[52:53], v[20:21]
	v_mul_f64 v[32:33], v[30:31], v[24:25]
	v_fma_f64 v[22:23], -v[22:23], v[32:33], v[30:31]
	s_nop 1
	v_div_fmas_f64 v[22:23], v[22:23], v[24:25], v[32:33]
	v_div_fixup_f64 v[20:21], v[22:23], v[52:53], v[20:21]
	v_mul_f64 v[20:21], v[20:21], v[28:29]
	v_fma_f64 v[18:19], v[26:27], v[18:19], -v[20:21]
	v_mul_f64 v[16:17], v[16:17], v[18:19]
.LBB0_53:
	s_or_b64 exec, exec, s[10:11]
.LBB0_54:
	s_or_b64 exec, exec, s[8:9]
.LBB0_55:
	s_or_b64 exec, exec, s[6:7]
.LBB0_56:
	s_or_b64 exec, exec, s[4:5]
	v_add_u32_e32 v7, 0x200, v5
	v_cmp_lt_i32_e32 vcc, v7, v4
	s_and_saveexec_b64 s[4:5], vcc
	s_cbranch_execz .LBB0_80
; %bb.57:
	s_mov_b32 s2, 0
	s_mov_b32 s3, 0x7ff00000
	v_mov_b32_e32 v14, 0
	s_waitcnt vmcnt(0) lgkmcnt(0)
	v_cmp_neq_f64_e64 s[2:3], |v[10:11]|, s[2:3]
	v_mov_b32_e32 v15, 0x7ff80000
	s_and_saveexec_b64 s[6:7], s[2:3]
	s_cbranch_execz .LBB0_79
; %bb.58:
	s_mov_b32 s2, 0x872b020c
	s_mov_b32 s3, 0x4059f916
	v_cmp_nlt_f64_e32 vcc, s[2:3], v[10:11]
	v_mov_b64_e32 v[14:15], 0
	s_and_saveexec_b64 s[8:9], vcc
	s_cbranch_execz .LBB0_78
; %bb.59:
	s_mov_b32 s3, 0xc000b851
	s_mov_b32 s2, 0xeb851eb8
	v_cmp_ngt_f64_e32 vcc, s[2:3], v[10:11]
	s_and_saveexec_b64 s[10:11], vcc
	s_xor_b64 s[10:11], exec, s[10:11]
                                        ; implicit-def: $vgpr14_vgpr15
	s_cbranch_execz .LBB0_67
; %bb.60:
	s_mov_b32 s3, 0x4000b851
	v_cmp_nle_f64_e64 s[12:13], s[2:3], v[10:11]
	v_cmp_le_f64_e32 vcc, s[2:3], v[10:11]
	v_mov_b64_e32 v[14:15], 0
	s_mov_b64 s[2:3], s[12:13]
	s_and_saveexec_b64 s[14:15], vcc
	s_cbranch_execz .LBB0_62
; %bb.61:
	s_mov_b32 s2, 0
	s_brev_b32 s3, 8
	v_mov_b32_e32 v7, 0x100
	v_cmp_gt_f64_e32 vcc, s[2:3], v[10:11]
	v_mov_b32_e32 v32, 0xffffff80
	v_mov_b32_e32 v33, 0x260
	v_cndmask_b32_e32 v14, 0, v7, vcc
	v_ldexp_f64 v[14:15], v[10:11], v14
	v_rsq_f64_e32 v[18:19], v[14:15]
	v_add_f64 v[20:21], v[10:11], v[10:11]
	s_mov_b32 s16, 0
	s_mov_b32 s17, 0x40080000
	v_mul_f64 v[22:23], v[14:15], v[18:19]
	v_mul_f64 v[18:19], v[18:19], 0.5
	v_fma_f64 v[24:25], -v[18:19], v[22:23], 0.5
	v_fmac_f64_e32 v[22:23], v[22:23], v[24:25]
	v_fma_f64 v[26:27], -v[22:23], v[22:23], v[14:15]
	v_fmac_f64_e32 v[18:19], v[18:19], v[24:25]
	v_fmac_f64_e32 v[22:23], v[26:27], v[18:19]
	v_fma_f64 v[24:25], -v[22:23], v[22:23], v[14:15]
	v_fmac_f64_e32 v[22:23], v[24:25], v[18:19]
	v_cndmask_b32_e32 v18, 0, v32, vcc
	v_ldexp_f64 v[18:19], v[22:23], v18
	v_cmp_class_f64_e32 vcc, v[14:15], v33
	s_nop 1
	v_cndmask_b32_e32 v15, v19, v15, vcc
	v_cndmask_b32_e32 v14, v18, v14, vcc
	v_mul_f64 v[18:19], v[20:21], v[14:15]
	v_div_scale_f64 v[20:21], s[18:19], s[16:17], s[16:17], v[18:19]
	v_rcp_f64_e32 v[22:23], v[20:21]
	s_nop 0
	v_fma_f64 v[24:25], -v[20:21], v[22:23], 1.0
	v_fmac_f64_e32 v[22:23], v[22:23], v[24:25]
	v_fma_f64 v[24:25], -v[20:21], v[22:23], 1.0
	v_fmac_f64_e32 v[22:23], v[22:23], v[24:25]
	v_div_scale_f64 v[24:25], vcc, v[18:19], s[16:17], v[18:19]
	v_mul_f64 v[26:27], v[24:25], v[22:23]
	v_fma_f64 v[20:21], -v[20:21], v[26:27], v[24:25]
	s_nop 1
	v_div_fmas_f64 v[20:21], v[20:21], v[22:23], v[26:27]
	v_div_fixup_f64 v[18:19], v[20:21], s[16:17], v[18:19]
	v_div_scale_f64 v[20:21], s[16:17], v[18:19], v[18:19], 1.0
	v_rcp_f64_e32 v[22:23], v[20:21]
	s_nop 0
	v_fma_f64 v[24:25], -v[20:21], v[22:23], 1.0
	v_fmac_f64_e32 v[22:23], v[22:23], v[24:25]
	v_fma_f64 v[24:25], -v[20:21], v[22:23], 1.0
	v_fmac_f64_e32 v[22:23], v[22:23], v[24:25]
	v_div_scale_f64 v[24:25], vcc, 1.0, v[18:19], 1.0
	v_mul_f64 v[26:27], v[24:25], v[22:23]
	v_fma_f64 v[20:21], -v[20:21], v[26:27], v[24:25]
	v_mov_b32_e32 v24, 0x871a9067
	s_nop 0
	v_div_fmas_f64 v[20:21], v[20:21], v[22:23], v[26:27]
	v_div_fixup_f64 v[20:21], v[20:21], v[18:19], 1.0
	v_mov_b32_e32 v22, 0x2537b658
	v_mov_b32_e32 v23, 0x3fd62dae
	v_fmac_f64_e32 v[22:23], 0, v[20:21]
	v_mov_b32_e32 v25, 0x402803e3
	v_fmac_f64_e32 v[24:25], v[20:21], v[22:23]
	v_mov_b32_e32 v22, 0xde2e1e3
	v_mov_b32_e32 v23, 0x405311e5
	v_fmac_f64_e32 v[22:23], v[20:21], v[24:25]
	v_mov_b32_e32 v24, 0xee40073c
	;; [unrolled: 3-line block ×12, first 2 shown]
	v_mov_b32_e32 v25, 0x402c311b
	v_fmac_f64_e32 v[24:25], v[20:21], v[26:27]
	v_fma_f64 v[24:25], v[20:21], v[24:25], 1.0
	v_fma_f64 v[20:21], v[20:21], v[22:23], 1.0
	v_div_scale_f64 v[22:23], s[16:17], v[24:25], v[24:25], v[20:21]
	v_rcp_f64_e32 v[26:27], v[22:23]
	s_nop 0
	v_fma_f64 v[28:29], -v[22:23], v[26:27], 1.0
	v_fmac_f64_e32 v[26:27], v[26:27], v[28:29]
	v_fma_f64 v[28:29], -v[22:23], v[26:27], 1.0
	v_fmac_f64_e32 v[26:27], v[26:27], v[28:29]
	v_div_scale_f64 v[28:29], vcc, v[20:21], v[24:25], v[20:21]
	v_mul_f64 v[30:31], v[28:29], v[26:27]
	v_fma_f64 v[22:23], -v[22:23], v[30:31], v[28:29]
	s_nop 1
	v_div_fmas_f64 v[22:23], v[22:23], v[26:27], v[30:31]
	v_cmp_gt_f64_e32 vcc, s[2:3], v[14:15]
	v_div_fixup_f64 v[20:21], v[22:23], v[24:25], v[20:21]
	s_mov_b32 s2, 0x50429b6d
	v_cndmask_b32_e32 v7, 0, v7, vcc
	v_ldexp_f64 v[14:15], v[14:15], v7
	v_rsq_f64_e32 v[22:23], v[14:15]
	s_mov_b32 s3, 0x3fe20dd7
	v_mul_f64 v[20:21], v[20:21], s[2:3]
	v_cndmask_b32_e32 v7, 0, v32, vcc
	v_mul_f64 v[24:25], v[14:15], v[22:23]
	v_mul_f64 v[22:23], v[22:23], 0.5
	v_fma_f64 v[26:27], -v[22:23], v[24:25], 0.5
	v_fmac_f64_e32 v[24:25], v[24:25], v[26:27]
	v_fma_f64 v[28:29], -v[24:25], v[24:25], v[14:15]
	v_fmac_f64_e32 v[22:23], v[22:23], v[26:27]
	v_fmac_f64_e32 v[24:25], v[28:29], v[22:23]
	v_fma_f64 v[26:27], -v[24:25], v[24:25], v[14:15]
	v_fmac_f64_e32 v[24:25], v[26:27], v[22:23]
	s_mov_b32 s2, 0x652b82fe
	v_ldexp_f64 v[22:23], v[24:25], v7
	v_cmp_class_f64_e32 vcc, v[14:15], v33
	s_mov_b32 s3, 0x3ff71547
	v_mov_b32_e32 v26, 0xfca7ab0c
	v_cndmask_b32_e32 v15, v23, v15, vcc
	v_cndmask_b32_e32 v14, v22, v14, vcc
	v_mul_f64 v[22:23], v[18:19], s[2:3]
	s_mov_b32 s2, 0xfefa39ef
	v_rndne_f64_e32 v[22:23], v[22:23]
	s_mov_b32 s3, 0xbfe62e42
	v_fma_f64 v[24:25], s[2:3], v[22:23], v[18:19]
	s_mov_b32 s2, 0x3b39803f
	s_mov_b32 s3, 0xbc7abc9e
	v_fmac_f64_e32 v[24:25], s[2:3], v[22:23]
	s_mov_b32 s2, 0x6a5dcb37
	v_mov_b32_e32 v27, 0x3e928af3
	s_mov_b32 s3, 0x3e5ade15
	v_fmac_f64_e32 v[26:27], s[2:3], v[24:25]
	v_mov_b32_e32 v28, 0x623fde64
	v_mov_b32_e32 v29, 0x3ec71dee
	v_fmac_f64_e32 v[28:29], v[24:25], v[26:27]
	v_mov_b32_e32 v26, 0x7c89e6b0
	v_mov_b32_e32 v27, 0x3efa0199
	;; [unrolled: 3-line block ×8, first 2 shown]
	s_mov_b32 s2, 0
	v_fmac_f64_e32 v[26:27], v[24:25], v[28:29]
	s_mov_b32 s3, 0x40900000
	v_fma_f64 v[26:27], v[24:25], v[26:27], 1.0
	v_cmp_nlt_f64_e32 vcc, s[2:3], v[18:19]
	s_mov_b32 s2, 0
	v_fma_f64 v[24:25], v[24:25], v[26:27], 1.0
	v_cvt_i32_f64_e32 v7, v[22:23]
	s_mov_b32 s3, 0xc090cc00
	v_ldexp_f64 v[22:23], v[24:25], v7
	v_mov_b32_e32 v7, 0x7ff00000
	v_cmp_ngt_f64_e64 s[2:3], s[2:3], v[18:19]
	v_cndmask_b32_e32 v7, v7, v23, vcc
	s_and_b64 vcc, s[2:3], vcc
	v_add_f64 v[14:15], v[14:15], v[14:15]
	v_cndmask_b32_e64 v19, 0, v7, s[2:3]
	v_cndmask_b32_e32 v18, 0, v22, vcc
	v_mul_f64 v[14:15], v[14:15], v[18:19]
	v_div_scale_f64 v[18:19], s[2:3], v[14:15], v[14:15], v[20:21]
	v_rcp_f64_e32 v[22:23], v[18:19]
	s_mov_b32 s2, 0xfd0a823a
	s_mov_b32 s3, 0x4020a402
	v_fma_f64 v[24:25], -v[18:19], v[22:23], 1.0
	v_fmac_f64_e32 v[22:23], v[22:23], v[24:25]
	v_fma_f64 v[24:25], -v[18:19], v[22:23], 1.0
	v_fmac_f64_e32 v[22:23], v[22:23], v[24:25]
	v_div_scale_f64 v[24:25], vcc, v[20:21], v[14:15], v[20:21]
	v_mul_f64 v[26:27], v[24:25], v[22:23]
	v_fma_f64 v[18:19], -v[18:19], v[26:27], v[24:25]
	s_nop 1
	v_div_fmas_f64 v[18:19], v[18:19], v[22:23], v[26:27]
	v_cmp_nlt_f64_e32 vcc, s[2:3], v[10:11]
	s_andn2_b64 s[2:3], s[12:13], exec
	s_and_b64 s[16:17], vcc, exec
	v_div_fixup_f64 v[14:15], v[18:19], v[14:15], v[20:21]
	s_or_b64 s[2:3], s[2:3], s[16:17]
.LBB0_62:
	s_or_b64 exec, exec, s[14:15]
	s_and_saveexec_b64 s[14:15], s[2:3]
	s_cbranch_execz .LBB0_66
; %bb.63:
	v_mul_f64 v[18:19], v[10:11], v[10:11]
	s_mov_b32 s18, 0
	v_mul_f64 v[20:21], v[10:11], v[18:19]
	v_mov_b64_e32 v[26:27], 1.0
	s_mov_b64 s[16:17], 0
	v_mov_b64_e32 v[24:25], 1.0
	s_mov_b32 s19, 0x3cb00000
	v_mov_b64_e32 v[22:23], v[10:11]
	v_mov_b64_e32 v[18:19], 1.0
.LBB0_64:                               ; =>This Inner Loop Header: Depth=1
	v_mul_f64 v[26:27], v[20:21], v[26:27]
	v_add_f64 v[28:29], v[24:25], 1.0
	v_mul_f64 v[10:11], v[20:21], v[10:11]
	v_div_scale_f64 v[30:31], s[2:3], v[28:29], v[28:29], v[26:27]
	v_add_f64 v[34:35], v[28:29], 1.0
	v_rcp_f64_e32 v[38:39], v[30:31]
	v_div_scale_f64 v[48:49], s[2:3], v[34:35], v[34:35], v[10:11]
	v_rcp_f64_e32 v[52:53], v[48:49]
	v_fma_f64 v[54:55], -v[30:31], v[38:39], 1.0
	v_fmac_f64_e32 v[38:39], v[38:39], v[54:55]
	v_fma_f64 v[64:65], -v[30:31], v[38:39], 1.0
	v_fma_f64 v[54:55], -v[48:49], v[52:53], 1.0
	v_fmac_f64_e32 v[52:53], v[52:53], v[54:55]
	v_div_scale_f64 v[32:33], vcc, v[26:27], v[28:29], v[26:27]
	v_fmac_f64_e32 v[38:39], v[38:39], v[64:65]
	v_fma_f64 v[54:55], -v[48:49], v[52:53], 1.0
	v_div_scale_f64 v[50:51], s[2:3], v[10:11], v[34:35], v[10:11]
	v_mul_f64 v[64:65], v[32:33], v[38:39]
	v_fmac_f64_e32 v[52:53], v[52:53], v[54:55]
	v_fma_f64 v[30:31], -v[30:31], v[64:65], v[32:33]
	v_mul_f64 v[32:33], v[50:51], v[52:53]
	v_div_fmas_f64 v[30:31], v[30:31], v[38:39], v[64:65]
	v_fma_f64 v[38:39], -v[48:49], v[32:33], v[50:51]
	s_mov_b64 vcc, s[2:3]
	v_div_fixup_f64 v[26:27], v[30:31], v[28:29], v[26:27]
	v_div_fmas_f64 v[28:29], v[38:39], v[52:53], v[32:33]
	v_div_fixup_f64 v[10:11], v[28:29], v[34:35], v[10:11]
	v_div_scale_f64 v[28:29], s[2:3], v[34:35], v[34:35], v[26:27]
	v_add_f64 v[24:25], v[34:35], 1.0
	v_rcp_f64_e32 v[32:33], v[28:29]
	v_div_scale_f64 v[38:39], s[2:3], v[24:25], v[24:25], v[10:11]
	v_rcp_f64_e32 v[50:51], v[38:39]
	v_fma_f64 v[52:53], -v[28:29], v[32:33], 1.0
	v_fmac_f64_e32 v[32:33], v[32:33], v[52:53]
	v_fma_f64 v[54:55], -v[28:29], v[32:33], 1.0
	v_fma_f64 v[52:53], -v[38:39], v[50:51], 1.0
	v_div_scale_f64 v[30:31], vcc, v[26:27], v[34:35], v[26:27]
	v_fmac_f64_e32 v[50:51], v[50:51], v[52:53]
	v_fmac_f64_e32 v[32:33], v[32:33], v[54:55]
	v_fma_f64 v[52:53], -v[38:39], v[50:51], 1.0
	v_mul_f64 v[54:55], v[30:31], v[32:33]
	v_div_scale_f64 v[48:49], s[2:3], v[10:11], v[24:25], v[10:11]
	v_fmac_f64_e32 v[50:51], v[50:51], v[52:53]
	v_fma_f64 v[28:29], -v[28:29], v[54:55], v[30:31]
	v_mul_f64 v[30:31], v[48:49], v[50:51]
	v_div_fmas_f64 v[28:29], v[28:29], v[32:33], v[54:55]
	v_fma_f64 v[32:33], -v[38:39], v[30:31], v[48:49]
	v_div_fixup_f64 v[26:27], v[28:29], v[34:35], v[26:27]
	s_mov_b64 vcc, s[2:3]
	v_div_fmas_f64 v[28:29], v[32:33], v[50:51], v[30:31]
	v_add_f64 v[18:19], v[18:19], v[26:27]
	v_div_fixup_f64 v[10:11], v[28:29], v[24:25], v[10:11]
	v_div_scale_f64 v[28:29], s[2:3], v[18:19], v[18:19], v[26:27]
	v_rcp_f64_e32 v[30:31], v[28:29]
	v_div_scale_f64 v[32:33], vcc, v[26:27], v[18:19], v[26:27]
	v_add_f64 v[22:23], v[22:23], v[10:11]
	v_fma_f64 v[34:35], -v[28:29], v[30:31], 1.0
	v_fmac_f64_e32 v[30:31], v[30:31], v[34:35]
	v_fma_f64 v[34:35], -v[28:29], v[30:31], 1.0
	v_fmac_f64_e32 v[30:31], v[30:31], v[34:35]
	v_mul_f64 v[34:35], v[32:33], v[30:31]
	v_fma_f64 v[28:29], -v[28:29], v[34:35], v[32:33]
	v_div_fmas_f64 v[28:29], v[28:29], v[30:31], v[34:35]
	v_div_fixup_f64 v[28:29], v[28:29], v[18:19], v[26:27]
	v_cmp_ngt_f64_e64 s[2:3], |v[28:29]|, s[18:19]
	s_or_b64 s[16:17], s[2:3], s[16:17]
	s_andn2_b64 exec, exec, s[16:17]
	s_cbranch_execnz .LBB0_64
; %bb.65:
	s_or_b64 exec, exec, s[16:17]
	s_mov_b32 s2, 0x42b70f8b
	s_mov_b32 s3, 0xbfd0907f
	v_mul_f64 v[10:11], v[22:23], s[2:3]
	s_mov_b32 s2, 0x962715b8
	s_mov_b32 s3, 0x3fd6b8c7
	v_fmac_f64_e32 v[10:11], s[2:3], v[18:19]
	v_cndmask_b32_e64 v15, v15, v11, s[12:13]
	v_cndmask_b32_e64 v14, v14, v10, s[12:13]
.LBB0_66:
	s_or_b64 exec, exec, s[14:15]
                                        ; implicit-def: $vgpr10_vgpr11
.LBB0_67:
	s_andn2_saveexec_b64 s[10:11], s[10:11]
	s_cbranch_execz .LBB0_77
; %bb.68:
	s_mov_b32 s2, 0
	s_brev_b32 s3, 9
	v_mov_b32_e32 v7, 0x100
	v_cmp_lt_f64_e32 vcc, s[2:3], v[10:11]
	v_mul_f64 v[20:21], v[10:11], -2.0
	s_mov_b32 s12, 0
	v_cndmask_b32_e32 v7, 0, v7, vcc
	v_ldexp_f64 v[14:15], -v[10:11], v7
	v_rsq_f64_e32 v[18:19], v[14:15]
	v_mov_b32_e32 v7, 0xffffff80
	v_cndmask_b32_e32 v7, 0, v7, vcc
	s_mov_b32 s13, 0x40080000
	v_mul_f64 v[10:11], v[14:15], v[18:19]
	v_mul_f64 v[18:19], v[18:19], 0.5
	v_fma_f64 v[22:23], -v[18:19], v[10:11], 0.5
	v_fmac_f64_e32 v[10:11], v[10:11], v[22:23]
	v_fma_f64 v[24:25], -v[10:11], v[10:11], v[14:15]
	v_fmac_f64_e32 v[18:19], v[18:19], v[22:23]
	v_fmac_f64_e32 v[10:11], v[24:25], v[18:19]
	v_fma_f64 v[22:23], -v[10:11], v[10:11], v[14:15]
	v_fmac_f64_e32 v[10:11], v[22:23], v[18:19]
	v_ldexp_f64 v[10:11], v[10:11], v7
	v_mov_b32_e32 v7, 0x260
	v_cmp_class_f64_e32 vcc, v[14:15], v7
	s_mov_b32 s15, 0x3fe921fb
	s_mov_b32 s14, 0x54442d18
	v_cndmask_b32_e32 v11, v11, v15, vcc
	v_cndmask_b32_e32 v10, v10, v14, vcc
	v_mul_f64 v[14:15], v[20:21], v[10:11]
	v_div_scale_f64 v[18:19], s[2:3], s[12:13], s[12:13], v[14:15]
	v_rcp_f64_e32 v[20:21], v[18:19]
	s_movk_i32 s2, 0xff80
                                        ; implicit-def: $vgpr34
                                        ; implicit-def: $vgpr26_vgpr27
	v_fma_f64 v[22:23], -v[18:19], v[20:21], 1.0
	v_fmac_f64_e32 v[20:21], v[20:21], v[22:23]
	v_fma_f64 v[22:23], -v[18:19], v[20:21], 1.0
	v_fmac_f64_e32 v[20:21], v[20:21], v[22:23]
	v_div_scale_f64 v[22:23], vcc, v[14:15], s[12:13], v[14:15]
	v_mul_f64 v[24:25], v[22:23], v[20:21]
	v_fma_f64 v[18:19], -v[18:19], v[24:25], v[22:23]
	s_nop 1
	v_div_fmas_f64 v[18:19], v[18:19], v[20:21], v[24:25]
	v_div_fixup_f64 v[22:23], v[18:19], s[12:13], v[14:15]
	s_mov_b32 s12, 0
	v_add_f64 v[14:15], v[22:23], s[14:15]
	s_mov_b32 s13, 0x41d00000
	v_cmp_nlt_f64_e64 s[12:13], |v[14:15]|, s[12:13]
	v_trig_preop_f64 v[32:33], |v[14:15]|, 0
	v_trig_preop_f64 v[30:31], |v[14:15]|, 1
	;; [unrolled: 1-line block ×3, first 2 shown]
                                        ; implicit-def: $vgpr24_vgpr25
	s_and_saveexec_b64 s[16:17], s[12:13]
	s_xor_b64 s[16:17], exec, s[16:17]
	s_cbranch_execz .LBB0_70
; %bb.69:
	s_mov_b32 s18, 0
	s_mov_b32 s19, 0x7b000000
	v_and_b32_e32 v7, 0x7fffffff, v15
	v_ldexp_f64 v[18:19], |v[14:15]|, s2
	v_cmp_ge_f64_e64 vcc, |v[14:15]|, s[18:19]
	s_mov_b32 s2, 0
	s_mov_b32 s3, 0x7ff00000
	v_cndmask_b32_e32 v19, v7, v19, vcc
	v_cndmask_b32_e32 v18, v14, v18, vcc
	v_mul_f64 v[24:25], v[32:33], v[18:19]
	v_mul_f64 v[20:21], v[30:31], v[18:19]
	v_fma_f64 v[26:27], v[32:33], v[18:19], -v[24:25]
	v_add_f64 v[34:35], v[20:21], v[26:27]
	v_add_f64 v[52:53], v[34:35], -v[20:21]
	v_add_f64 v[26:27], v[26:27], -v[52:53]
	;; [unrolled: 1-line block ×4, first 2 shown]
	v_add_f64 v[26:27], v[26:27], v[52:53]
	v_fma_f64 v[20:21], v[30:31], v[18:19], -v[20:21]
	v_mul_f64 v[52:53], v[28:29], v[18:19]
	v_add_f64 v[54:55], v[52:53], v[20:21]
	v_add_f64 v[38:39], v[24:25], v[34:35]
	;; [unrolled: 1-line block ×3, first 2 shown]
	v_ldexp_f64 v[48:49], v[38:39], -2
	v_add_f64 v[24:25], v[38:39], -v[24:25]
	v_add_f64 v[38:39], v[64:65], -v[54:55]
	;; [unrolled: 1-line block ×5, first 2 shown]
	v_add_f64 v[26:27], v[26:27], v[38:39]
	v_add_f64 v[38:39], v[54:55], -v[52:53]
	v_add_f64 v[20:21], v[20:21], -v[38:39]
	;; [unrolled: 1-line block ×5, first 2 shown]
	v_add_f64 v[20:21], v[20:21], v[38:39]
	v_fract_f64_e32 v[50:51], v[48:49]
	v_add_f64 v[34:35], v[24:25], v[64:65]
	v_add_f64 v[20:21], v[20:21], v[26:27]
	v_fma_f64 v[18:19], v[28:29], v[18:19], -v[52:53]
	v_add_f64 v[24:25], v[34:35], -v[24:25]
	v_add_f64 v[18:19], v[18:19], v[20:21]
	v_ldexp_f64 v[20:21], v[50:51], 2
	v_cmp_neq_f64_e64 vcc, |v[48:49]|, s[2:3]
	v_add_f64 v[24:25], v[64:65], -v[24:25]
	v_add_f64 v[18:19], v[24:25], v[18:19]
	v_cndmask_b32_e32 v21, 0, v21, vcc
	v_cndmask_b32_e32 v20, 0, v20, vcc
	v_add_f64 v[24:25], v[34:35], v[20:21]
	v_mov_b32_e32 v7, 0x40100000
	v_cmp_gt_f64_e32 vcc, 0, v[24:25]
	v_mov_b32_e32 v24, 0
	s_mov_b32 s15, 0x3ff921fb
	v_cndmask_b32_e32 v25, 0, v7, vcc
	v_add_f64 v[20:21], v[20:21], v[24:25]
	v_add_f64 v[26:27], v[34:35], v[20:21]
	v_cvt_i32_f64_e32 v7, v[26:27]
	v_cvt_f64_i32_e32 v[26:27], v7
	v_add_f64 v[20:21], v[20:21], -v[26:27]
	v_add_f64 v[26:27], v[34:35], v[20:21]
	v_add_f64 v[20:21], v[26:27], -v[20:21]
	v_cmp_le_f64_e32 vcc, 0.5, v[26:27]
	v_add_f64 v[20:21], v[34:35], -v[20:21]
	v_add_f64 v[18:19], v[18:19], v[20:21]
	v_addc_co_u32_e64 v34, s[2:3], 0, v7, vcc
	v_mov_b32_e32 v7, 0x3ff00000
	v_cndmask_b32_e32 v25, 0, v7, vcc
	v_add_f64 v[20:21], v[26:27], -v[24:25]
	v_add_f64 v[24:25], v[20:21], v[18:19]
	v_add_f64 v[20:21], v[24:25], -v[20:21]
	v_add_f64 v[18:19], v[18:19], -v[20:21]
	v_mul_f64 v[20:21], v[24:25], s[14:15]
	s_mov_b32 s2, 0x33145c07
	v_fma_f64 v[26:27], v[24:25], s[14:15], -v[20:21]
	s_mov_b32 s3, 0x3c91a626
	v_fmac_f64_e32 v[26:27], s[2:3], v[24:25]
	v_fmac_f64_e32 v[26:27], s[14:15], v[18:19]
	v_add_f64 v[24:25], v[20:21], v[26:27]
	v_add_f64 v[18:19], v[24:25], -v[20:21]
	v_add_f64 v[26:27], v[26:27], -v[18:19]
	s_andn2_saveexec_b64 s[2:3], s[16:17]
	s_cbranch_execz .LBB0_72
	s_branch .LBB0_71
.LBB0_70:
	s_andn2_saveexec_b64 s[2:3], s[16:17]
	s_cbranch_execz .LBB0_72
.LBB0_71:
	s_mov_b32 s14, 0x6dc9c883
	s_mov_b32 s15, 0x3fe45f30
	v_mul_f64 v[18:19], |v[14:15]|, s[14:15]
	s_mov_b32 s14, 0x54442d18
	v_rndne_f64_e32 v[18:19], v[18:19]
	s_mov_b32 s15, 0xbff921fb
	v_fma_f64 v[20:21], v[18:19], s[14:15], |v[14:15]|
	s_mov_b32 s15, 0xbc91a626
	s_mov_b32 s14, 0x33145c00
	v_mul_f64 v[24:25], v[18:19], s[14:15]
	v_add_f64 v[38:39], v[20:21], v[24:25]
	v_fma_f64 v[26:27], s[14:15], v[18:19], v[20:21]
	s_mov_b32 s15, 0x3c91a626
	v_add_f64 v[20:21], v[20:21], -v[38:39]
	v_fma_f64 v[34:35], s[14:15], v[18:19], v[24:25]
	v_add_f64 v[20:21], v[20:21], v[24:25]
	v_add_f64 v[24:25], v[38:39], -v[26:27]
	v_add_f64 v[20:21], v[24:25], v[20:21]
	s_mov_b32 s14, 0x252049c0
	v_add_f64 v[20:21], v[20:21], -v[34:35]
	s_mov_b32 s15, 0xb97b839a
	v_fmac_f64_e32 v[20:21], s[14:15], v[18:19]
	v_add_f64 v[24:25], v[26:27], v[20:21]
	v_add_f64 v[26:27], v[24:25], -v[26:27]
	v_add_f64 v[26:27], v[20:21], -v[26:27]
	v_cvt_i32_f64_e32 v34, v[18:19]
.LBB0_72:
	s_or_b64 exec, exec, s[2:3]
                                        ; implicit-def: $vgpr7
                                        ; implicit-def: $vgpr18_vgpr19
                                        ; implicit-def: $vgpr20_vgpr21
	s_and_saveexec_b64 s[2:3], s[12:13]
	s_xor_b64 s[12:13], exec, s[2:3]
	s_cbranch_execz .LBB0_74
; %bb.73:
	s_mov_b32 s2, 0
	s_mov_b32 s3, 0x7b000000
	s_movk_i32 s14, 0xff80
	v_and_b32_e32 v7, 0x7fffffff, v15
	v_ldexp_f64 v[18:19], |v[14:15]|, s14
	v_cmp_ge_f64_e64 vcc, |v[14:15]|, s[2:3]
	s_mov_b32 s2, 0
	s_mov_b32 s3, 0x7ff00000
	v_cndmask_b32_e32 v19, v7, v19, vcc
	v_cndmask_b32_e32 v18, v14, v18, vcc
	v_mul_f64 v[38:39], v[32:33], v[18:19]
	v_mul_f64 v[20:21], v[30:31], v[18:19]
	v_fma_f64 v[32:33], v[32:33], v[18:19], -v[38:39]
	v_add_f64 v[48:49], v[20:21], v[32:33]
	v_add_f64 v[64:65], v[48:49], -v[20:21]
	v_add_f64 v[32:33], v[32:33], -v[64:65]
	v_add_f64 v[64:65], v[48:49], -v[64:65]
	v_add_f64 v[64:65], v[20:21], -v[64:65]
	v_fma_f64 v[20:21], v[30:31], v[18:19], -v[20:21]
	v_mul_f64 v[30:31], v[28:29], v[18:19]
	v_add_f64 v[32:33], v[32:33], v[64:65]
	v_add_f64 v[64:65], v[30:31], v[20:21]
	;; [unrolled: 1-line block ×4, first 2 shown]
	v_ldexp_f64 v[52:53], v[50:51], -2
	v_add_f64 v[38:39], v[50:51], -v[38:39]
	v_add_f64 v[50:51], v[66:67], -v[64:65]
	;; [unrolled: 1-line block ×5, first 2 shown]
	v_add_f64 v[32:33], v[32:33], v[50:51]
	v_add_f64 v[50:51], v[64:65], -v[30:31]
	v_add_f64 v[20:21], v[20:21], -v[50:51]
	;; [unrolled: 1-line block ×4, first 2 shown]
	v_add_f64 v[20:21], v[20:21], v[50:51]
	v_fract_f64_e32 v[54:55], v[52:53]
	v_add_f64 v[20:21], v[20:21], v[32:33]
	v_fma_f64 v[18:19], v[28:29], v[18:19], -v[30:31]
	v_add_f64 v[38:39], v[48:49], -v[38:39]
	v_add_f64 v[18:19], v[18:19], v[20:21]
	v_ldexp_f64 v[20:21], v[54:55], 2
	v_cmp_neq_f64_e64 vcc, |v[52:53]|, s[2:3]
	v_add_f64 v[48:49], v[38:39], v[66:67]
	v_mov_b32_e32 v7, 0x40100000
	v_cndmask_b32_e32 v21, 0, v21, vcc
	v_cndmask_b32_e32 v20, 0, v20, vcc
	v_add_f64 v[28:29], v[48:49], v[20:21]
	v_cmp_gt_f64_e32 vcc, 0, v[28:29]
	v_mov_b32_e32 v28, 0
	v_add_f64 v[38:39], v[48:49], -v[38:39]
	v_cndmask_b32_e32 v29, 0, v7, vcc
	v_add_f64 v[20:21], v[20:21], v[28:29]
	v_add_f64 v[30:31], v[48:49], v[20:21]
	v_cvt_i32_f64_e32 v7, v[30:31]
	v_cvt_f64_i32_e32 v[30:31], v7
	v_add_f64 v[20:21], v[20:21], -v[30:31]
	v_add_f64 v[30:31], v[48:49], v[20:21]
	v_add_f64 v[38:39], v[66:67], -v[38:39]
	v_add_f64 v[20:21], v[30:31], -v[20:21]
	v_add_f64 v[18:19], v[38:39], v[18:19]
	v_add_f64 v[20:21], v[48:49], -v[20:21]
	v_add_f64 v[18:19], v[18:19], v[20:21]
	v_cmp_le_f64_e32 vcc, 0.5, v[30:31]
	v_mov_b32_e32 v20, 0x3ff00000
	s_mov_b32 s14, 0x33145c07
	v_cndmask_b32_e32 v29, 0, v20, vcc
	v_addc_co_u32_e64 v7, s[2:3], 0, v7, vcc
	v_add_f64 v[20:21], v[30:31], -v[28:29]
	v_add_f64 v[28:29], v[20:21], v[18:19]
	s_mov_b32 s2, 0x54442d18
	v_add_f64 v[20:21], v[28:29], -v[20:21]
	s_mov_b32 s3, 0x3ff921fb
	v_add_f64 v[18:19], v[18:19], -v[20:21]
	v_mul_f64 v[20:21], v[28:29], s[2:3]
	v_fma_f64 v[30:31], v[28:29], s[2:3], -v[20:21]
	s_mov_b32 s15, 0x3c91a626
	v_fmac_f64_e32 v[30:31], s[14:15], v[28:29]
	v_fmac_f64_e32 v[30:31], s[2:3], v[18:19]
	v_add_f64 v[18:19], v[20:21], v[30:31]
	v_add_f64 v[20:21], v[18:19], -v[20:21]
	v_add_f64 v[20:21], v[30:31], -v[20:21]
	s_andn2_saveexec_b64 s[2:3], s[12:13]
	s_cbranch_execnz .LBB0_75
	s_branch .LBB0_76
.LBB0_74:
	s_andn2_saveexec_b64 s[2:3], s[12:13]
	s_cbranch_execz .LBB0_76
.LBB0_75:
	s_mov_b32 s12, 0x6dc9c883
	s_mov_b32 s13, 0x3fe45f30
	v_mul_f64 v[18:19], |v[14:15]|, s[12:13]
	s_mov_b32 s12, 0x54442d18
	v_rndne_f64_e32 v[28:29], v[18:19]
	s_mov_b32 s13, 0xbff921fb
	v_fma_f64 v[18:19], v[28:29], s[12:13], |v[14:15]|
	s_mov_b32 s13, 0xbc91a626
	s_mov_b32 s12, 0x33145c00
	v_mul_f64 v[30:31], v[28:29], s[12:13]
	v_add_f64 v[38:39], v[18:19], v[30:31]
	v_fma_f64 v[20:21], s[12:13], v[28:29], v[18:19]
	s_mov_b32 s13, 0x3c91a626
	v_add_f64 v[18:19], v[18:19], -v[38:39]
	v_fma_f64 v[32:33], s[12:13], v[28:29], v[30:31]
	v_add_f64 v[18:19], v[18:19], v[30:31]
	v_add_f64 v[30:31], v[38:39], -v[20:21]
	v_add_f64 v[18:19], v[30:31], v[18:19]
	s_mov_b32 s12, 0x252049c0
	v_add_f64 v[30:31], v[18:19], -v[32:33]
	s_mov_b32 s13, 0xb97b839a
	v_fmac_f64_e32 v[30:31], s[12:13], v[28:29]
	v_add_f64 v[18:19], v[20:21], v[30:31]
	v_add_f64 v[20:21], v[18:19], -v[20:21]
	v_add_f64 v[20:21], v[30:31], -v[20:21]
	v_cvt_i32_f64_e32 v7, v[28:29]
.LBB0_76:
	s_or_b64 exec, exec, s[2:3]
	v_div_scale_f64 v[28:29], s[2:3], v[22:23], v[22:23], 1.0
	v_rcp_f64_e32 v[30:31], v[28:29]
	v_div_scale_f64 v[32:33], vcc, 1.0, v[22:23], 1.0
	v_mov_b32_e32 v48, 0xb99518a7
	v_fma_f64 v[38:39], -v[28:29], v[30:31], 1.0
	v_fmac_f64_e32 v[30:31], v[30:31], v[38:39]
	v_fma_f64 v[38:39], -v[28:29], v[30:31], 1.0
	v_fmac_f64_e32 v[30:31], v[30:31], v[38:39]
	v_mul_f64 v[38:39], v[32:33], v[30:31]
	v_fma_f64 v[28:29], -v[28:29], v[38:39], v[32:33]
	v_div_fmas_f64 v[28:29], v[28:29], v[30:31], v[38:39]
	v_div_fixup_f64 v[22:23], v[28:29], v[22:23], 1.0
	v_mul_f64 v[28:29], v[22:23], v[22:23]
	v_mov_b32_e32 v30, 0xd50ae6fb
	v_mov_b32_e32 v31, 0xbfc0db6c
	v_fmac_f64_e32 v[30:31], 0, v[28:29]
	v_mov_b32_e32 v32, 0x98566852
	v_mov_b32_e32 v33, 0xbfe40bee
	v_fmac_f64_e32 v[32:33], v[28:29], v[30:31]
	;; [unrolled: 3-line block ×16, first 2 shown]
	v_mov_b32_e32 v49, 0x3e9e52b9
	v_mul_f64 v[50:51], v[24:25], v[24:25]
	v_fmac_f64_e32 v[48:49], v[28:29], v[38:39]
	v_mov_b32_e32 v38, 0xf68ea2d2
	v_mov_b32_e32 v39, 0xbe52041c
	v_mul_f64 v[30:31], v[50:51], 0.5
	v_fmac_f64_e32 v[38:39], v[28:29], v[32:33]
	v_add_f64 v[32:33], -v[30:31], 1.0
	s_mov_b32 s2, 0x9037ab78
	v_add_f64 v[52:53], -v[32:33], 1.0
	s_mov_b32 s3, 0x3e21eeb6
	s_mov_b32 s12, 0x46cc5e42
	v_add_f64 v[52:53], v[52:53], -v[30:31]
	s_mov_b32 s13, 0xbda907db
	v_mov_b64_e32 v[30:31], s[2:3]
	s_mov_b32 s14, 0xa17f65f6
	v_fma_f64 v[64:65], s[12:13], v[50:51], v[30:31]
	s_mov_b32 s15, 0xbe927e4f
	s_mov_b32 s16, 0x19f4ec90
	v_fma_f64 v[64:65], v[50:51], v[64:65], s[14:15]
	s_mov_b32 s17, 0x3efa01a0
	s_mov_b32 s18, 0x16c16967
	v_fma_f64 v[64:65], v[50:51], v[64:65], s[16:17]
	s_mov_b32 s19, 0xbf56c16c
	s_mov_b32 s20, 0x55555555
	v_fma_f64 v[64:65], v[50:51], v[64:65], s[18:19]
	s_mov_b32 s21, 0x3fa55555
	v_mul_f64 v[54:55], v[50:51], v[50:51]
	v_fma_f64 v[64:65], v[50:51], v[64:65], s[20:21]
	v_fma_f64 v[52:53], v[24:25], -v[26:27], v[52:53]
	s_mov_b32 s2, 0xb42fdfa7
	v_fmac_f64_e32 v[52:53], v[54:55], v[64:65]
	s_mov_b32 s3, 0xbe5ae600
	s_mov_b32 s22, 0xf9a43bb8
	v_add_f64 v[52:53], v[32:33], v[52:53]
	s_mov_b32 s23, 0x3de5e0b2
	v_mov_b64_e32 v[32:33], s[2:3]
	s_mov_b32 s24, 0x796cde01
	v_fma_f64 v[54:55], s[22:23], v[50:51], v[32:33]
	s_mov_b32 s25, 0x3ec71de3
	s_mov_b32 s26, 0x19e83e5c
	v_fma_f64 v[54:55], v[50:51], v[54:55], s[24:25]
	s_mov_b32 s27, 0xbf2a01a0
	;; [unrolled: 3-line block ×3, first 2 shown]
	v_fma_f64 v[54:55], v[50:51], v[54:55], s[28:29]
	v_mul_f64 v[64:65], v[24:25], -v[50:51]
	v_mul_f64 v[66:67], v[26:27], 0.5
	v_fmac_f64_e32 v[66:67], v[64:65], v[54:55]
	v_fma_f64 v[26:27], v[50:51], v[66:67], -v[26:27]
	s_mov_b32 s41, 0xbfc55555
	s_mov_b32 s40, s20
	v_fmac_f64_e32 v[26:27], s[40:41], v[64:65]
	v_add_f64 v[24:25], v[24:25], -v[26:27]
	v_and_b32_e32 v26, 1, v34
	v_cmp_eq_u32_e32 vcc, 0, v26
	s_brev_b32 s43, 1
	s_movk_i32 s44, 0x1f8
	v_cndmask_b32_e32 v37, v52, v24, vcc
	v_cndmask_b32_e32 v24, v53, v25, vcc
	v_lshlrev_b32_e32 v25, 30, v34
	v_xor_b32_e32 v25, v25, v15
	v_bitop3_b32 v50, v24, v25, s43 bitop3:0x78
	v_mul_f64 v[24:25], v[28:29], v[38:39]
	v_div_scale_f64 v[26:27], s[2:3], v[48:49], v[48:49], v[24:25]
	v_rcp_f64_e32 v[34:35], v[26:27]
	v_cmp_class_f64_e64 s[2:3], v[14:15], s44
	s_mov_b32 s44, 0
	s_brev_b32 s45, 8
	v_fma_f64 v[38:39], -v[26:27], v[34:35], 1.0
	v_fmac_f64_e32 v[34:35], v[34:35], v[38:39]
	v_fma_f64 v[38:39], -v[26:27], v[34:35], 1.0
	v_cndmask_b32_e64 v14, 0, v37, s[2:3]
	v_mov_b32_e32 v37, 0x7ff80000
	v_fmac_f64_e32 v[34:35], v[34:35], v[38:39]
	v_div_scale_f64 v[38:39], vcc, v[24:25], v[48:49], v[24:25]
	v_cndmask_b32_e64 v15, v37, v50, s[2:3]
	v_mul_f64 v[50:51], v[38:39], v[34:35]
	v_fma_f64 v[26:27], -v[26:27], v[50:51], v[38:39]
	s_nop 0
	v_div_fmas_f64 v[26:27], v[26:27], v[34:35], v[50:51]
	v_div_fixup_f64 v[24:25], v[26:27], v[48:49], v[24:25]
	v_mov_b32_e32 v26, 0xddcfbbde
	v_mov_b32_e32 v27, 0x3f943525
	v_fmac_f64_e32 v[26:27], 0, v[28:29]
	v_mov_b32_e32 v34, 0x6437b7
	v_mov_b32_e32 v35, 0x3fd907d5
	v_fmac_f64_e32 v[34:35], v[28:29], v[26:27]
	;; [unrolled: 3-line block ×19, first 2 shown]
	v_mov_b32_e32 v34, 0x100
	v_cmp_gt_f64_e32 vcc, s[44:45], v[10:11]
	v_mov_b32_e32 v48, 0xdb0724e8
	v_mov_b32_e32 v49, 0x3eb3a845
	v_cndmask_b32_e32 v34, 0, v34, vcc
	v_ldexp_f64 v[10:11], v[10:11], v34
	v_rsq_f64_e32 v[34:35], v[10:11]
	v_fmac_f64_e32 v[48:49], v[28:29], v[38:39]
	s_mov_b32 s44, 0x50429b6d
	s_mov_b32 s45, 0x3fe20dd7
	v_mul_f64 v[38:39], v[10:11], v[34:35]
	v_mul_f64 v[34:35], v[34:35], 0.5
	v_fma_f64 v[50:51], -v[34:35], v[38:39], 0.5
	v_fmac_f64_e32 v[38:39], v[38:39], v[50:51]
	v_fma_f64 v[52:53], -v[38:39], v[38:39], v[10:11]
	v_fmac_f64_e32 v[34:35], v[34:35], v[50:51]
	v_fmac_f64_e32 v[38:39], v[52:53], v[34:35]
	v_fma_f64 v[50:51], -v[38:39], v[38:39], v[10:11]
	v_fmac_f64_e32 v[38:39], v[50:51], v[34:35]
	v_mov_b32_e32 v34, 0xffffff80
	v_cndmask_b32_e32 v34, 0, v34, vcc
	v_ldexp_f64 v[34:35], v[38:39], v34
	v_mov_b32_e32 v38, 0x260
	v_cmp_class_f64_e32 vcc, v[10:11], v38
	v_mov_b32_e32 v50, 0x3dd589d4
	v_mov_b32_e32 v51, 0x3e351fc7
	v_cndmask_b32_e32 v11, v35, v11, vcc
	v_cndmask_b32_e32 v10, v34, v10, vcc
	v_div_scale_f64 v[34:35], s[46:47], v[10:11], v[10:11], s[44:45]
	v_rcp_f64_e32 v[38:39], v[34:35]
	v_fmac_f64_e32 v[50:51], v[28:29], v[48:49]
	v_add_f64 v[24:25], v[24:25], 1.0
	v_fma_f64 v[28:29], -v[34:35], v[38:39], 1.0
	v_fmac_f64_e32 v[38:39], v[38:39], v[28:29]
	v_fma_f64 v[28:29], -v[34:35], v[38:39], 1.0
	v_fmac_f64_e32 v[38:39], v[38:39], v[28:29]
	v_div_scale_f64 v[28:29], vcc, s[44:45], v[10:11], s[44:45]
	v_mul_f64 v[48:49], v[28:29], v[38:39]
	v_fma_f64 v[28:29], -v[34:35], v[48:49], v[28:29]
	s_nop 1
	v_div_fmas_f64 v[28:29], v[28:29], v[38:39], v[48:49]
	v_div_fixup_f64 v[10:11], v[28:29], v[10:11], s[44:45]
	v_mul_f64 v[28:29], v[18:19], v[18:19]
	v_mul_f64 v[34:35], v[28:29], 0.5
	v_fmac_f64_e32 v[30:31], s[12:13], v[28:29]
	v_add_f64 v[38:39], -v[34:35], 1.0
	v_fma_f64 v[30:31], v[28:29], v[30:31], s[14:15]
	v_add_f64 v[48:49], -v[38:39], 1.0
	v_fma_f64 v[30:31], v[28:29], v[30:31], s[16:17]
	v_add_f64 v[34:35], v[48:49], -v[34:35]
	v_fma_f64 v[30:31], v[28:29], v[30:31], s[18:19]
	v_fmac_f64_e32 v[32:33], s[22:23], v[28:29]
	v_mul_f64 v[48:49], v[28:29], v[28:29]
	v_fma_f64 v[30:31], v[28:29], v[30:31], s[20:21]
	v_fma_f64 v[34:35], v[18:19], -v[20:21], v[34:35]
	v_fma_f64 v[32:33], v[28:29], v[32:33], s[24:25]
	v_fmac_f64_e32 v[34:35], v[48:49], v[30:31]
	v_fma_f64 v[32:33], v[28:29], v[32:33], s[26:27]
	v_add_f64 v[30:31], v[38:39], v[34:35]
	v_fma_f64 v[32:33], v[28:29], v[32:33], s[28:29]
	v_mul_f64 v[34:35], v[18:19], -v[28:29]
	v_mul_f64 v[38:39], v[20:21], 0.5
	v_fmac_f64_e32 v[38:39], v[34:35], v[32:33]
	v_fma_f64 v[20:21], v[28:29], v[38:39], -v[20:21]
	v_fmac_f64_e32 v[20:21], s[40:41], v[34:35]
	v_add_f64 v[18:19], v[18:19], -v[20:21]
	v_and_b32_e32 v20, 1, v7
	v_xor_b32_e32 v19, 0x80000000, v19
	v_cmp_eq_u32_e32 vcc, 0, v20
	v_lshlrev_b32_e32 v7, 30, v7
	s_nop 0
	v_cndmask_b32_e32 v28, v18, v30, vcc
	v_cndmask_b32_e32 v29, v19, v31, vcc
	v_mul_f64 v[18:19], v[22:23], v[26:27]
	v_div_scale_f64 v[20:21], s[12:13], v[50:51], v[50:51], v[18:19]
	v_rcp_f64_e32 v[22:23], v[20:21]
	v_bitop3_b32 v7, v29, v7, s43 bitop3:0x78
	v_cndmask_b32_e64 v26, 0, v28, s[2:3]
	v_cndmask_b32_e64 v27, v37, v7, s[2:3]
	v_fma_f64 v[28:29], -v[20:21], v[22:23], 1.0
	v_fmac_f64_e32 v[22:23], v[22:23], v[28:29]
	v_fma_f64 v[28:29], -v[20:21], v[22:23], 1.0
	v_fmac_f64_e32 v[22:23], v[22:23], v[28:29]
	v_div_scale_f64 v[28:29], vcc, v[18:19], v[50:51], v[18:19]
	v_mul_f64 v[30:31], v[28:29], v[22:23]
	v_fma_f64 v[20:21], -v[20:21], v[30:31], v[28:29]
	s_nop 1
	v_div_fmas_f64 v[20:21], v[20:21], v[22:23], v[30:31]
	v_div_fixup_f64 v[18:19], v[20:21], v[50:51], v[18:19]
	v_mul_f64 v[18:19], v[18:19], v[26:27]
	v_fma_f64 v[14:15], v[24:25], v[14:15], -v[18:19]
	v_mul_f64 v[14:15], v[10:11], v[14:15]
.LBB0_77:
	s_or_b64 exec, exec, s[10:11]
.LBB0_78:
	s_or_b64 exec, exec, s[8:9]
.LBB0_79:
	s_or_b64 exec, exec, s[6:7]
.LBB0_80:
	s_or_b64 exec, exec, s[4:5]
	v_add_u32_e32 v7, 0x300, v5
	v_cmp_lt_i32_e32 vcc, v7, v4
	s_and_saveexec_b64 s[4:5], vcc
	s_cbranch_execz .LBB0_94
; %bb.81:
	s_mov_b32 s2, 0
	s_mov_b32 s3, 0x7ff00000
	v_mov_b32_e32 v12, 0
	s_waitcnt vmcnt(0) lgkmcnt(0)
	v_cmp_neq_f64_e64 s[2:3], |v[8:9]|, s[2:3]
	v_mov_b32_e32 v13, 0x7ff80000
	s_and_saveexec_b64 s[6:7], s[2:3]
	s_cbranch_execz .LBB0_108
; %bb.82:
	s_mov_b32 s2, 0x872b020c
	s_mov_b32 s3, 0x4059f916
	v_cmp_nlt_f64_e32 vcc, s[2:3], v[8:9]
	v_mov_b64_e32 v[12:13], 0
	s_and_saveexec_b64 s[8:9], vcc
	s_cbranch_execz .LBB0_107
; %bb.83:
	s_mov_b32 s3, 0xc000b851
	s_mov_b32 s2, 0xeb851eb8
	v_cmp_ngt_f64_e32 vcc, s[2:3], v[8:9]
	s_and_saveexec_b64 s[10:11], vcc
	s_xor_b64 s[10:11], exec, s[10:11]
                                        ; implicit-def: $vgpr12_vgpr13
	s_cbranch_execz .LBB0_91
; %bb.84:
	s_mov_b32 s3, 0x4000b851
	v_cmp_nle_f64_e64 s[12:13], s[2:3], v[8:9]
	v_cmp_le_f64_e32 vcc, s[2:3], v[8:9]
	v_mov_b64_e32 v[12:13], 0
	s_mov_b64 s[2:3], s[12:13]
	s_and_saveexec_b64 s[14:15], vcc
	s_cbranch_execz .LBB0_86
; %bb.85:
	s_mov_b32 s2, 0
	s_brev_b32 s3, 8
	v_mov_b32_e32 v7, 0x100
	v_cmp_gt_f64_e32 vcc, s[2:3], v[8:9]
	v_mov_b32_e32 v30, 0xffffff80
	v_mov_b32_e32 v31, 0x260
	v_cndmask_b32_e32 v10, 0, v7, vcc
	v_ldexp_f64 v[10:11], v[8:9], v10
	v_rsq_f64_e32 v[12:13], v[10:11]
	v_add_f64 v[18:19], v[8:9], v[8:9]
	s_mov_b32 s16, 0
	s_mov_b32 s17, 0x40080000
	v_mul_f64 v[20:21], v[10:11], v[12:13]
	v_mul_f64 v[12:13], v[12:13], 0.5
	v_fma_f64 v[22:23], -v[12:13], v[20:21], 0.5
	v_fmac_f64_e32 v[20:21], v[20:21], v[22:23]
	v_fma_f64 v[24:25], -v[20:21], v[20:21], v[10:11]
	v_fmac_f64_e32 v[12:13], v[12:13], v[22:23]
	v_fmac_f64_e32 v[20:21], v[24:25], v[12:13]
	v_fma_f64 v[22:23], -v[20:21], v[20:21], v[10:11]
	v_fmac_f64_e32 v[20:21], v[22:23], v[12:13]
	v_cndmask_b32_e32 v12, 0, v30, vcc
	v_ldexp_f64 v[12:13], v[20:21], v12
	v_cmp_class_f64_e32 vcc, v[10:11], v31
	s_nop 1
	v_cndmask_b32_e32 v11, v13, v11, vcc
	v_cndmask_b32_e32 v10, v12, v10, vcc
	v_mul_f64 v[12:13], v[18:19], v[10:11]
	v_div_scale_f64 v[18:19], s[18:19], s[16:17], s[16:17], v[12:13]
	v_rcp_f64_e32 v[20:21], v[18:19]
	s_nop 0
	v_fma_f64 v[22:23], -v[18:19], v[20:21], 1.0
	v_fmac_f64_e32 v[20:21], v[20:21], v[22:23]
	v_fma_f64 v[22:23], -v[18:19], v[20:21], 1.0
	v_fmac_f64_e32 v[20:21], v[20:21], v[22:23]
	v_div_scale_f64 v[22:23], vcc, v[12:13], s[16:17], v[12:13]
	v_mul_f64 v[24:25], v[22:23], v[20:21]
	v_fma_f64 v[18:19], -v[18:19], v[24:25], v[22:23]
	s_nop 1
	v_div_fmas_f64 v[18:19], v[18:19], v[20:21], v[24:25]
	v_div_fixup_f64 v[12:13], v[18:19], s[16:17], v[12:13]
	v_div_scale_f64 v[18:19], s[16:17], v[12:13], v[12:13], 1.0
	v_rcp_f64_e32 v[20:21], v[18:19]
	s_nop 0
	v_fma_f64 v[22:23], -v[18:19], v[20:21], 1.0
	v_fmac_f64_e32 v[20:21], v[20:21], v[22:23]
	v_fma_f64 v[22:23], -v[18:19], v[20:21], 1.0
	v_fmac_f64_e32 v[20:21], v[20:21], v[22:23]
	v_div_scale_f64 v[22:23], vcc, 1.0, v[12:13], 1.0
	v_mul_f64 v[24:25], v[22:23], v[20:21]
	v_fma_f64 v[18:19], -v[18:19], v[24:25], v[22:23]
	v_mov_b32_e32 v22, 0x871a9067
	s_nop 0
	v_div_fmas_f64 v[18:19], v[18:19], v[20:21], v[24:25]
	v_div_fixup_f64 v[18:19], v[18:19], v[12:13], 1.0
	v_mov_b32_e32 v20, 0x2537b658
	v_mov_b32_e32 v21, 0x3fd62dae
	v_fmac_f64_e32 v[20:21], 0, v[18:19]
	v_mov_b32_e32 v23, 0x402803e3
	v_fmac_f64_e32 v[22:23], v[18:19], v[20:21]
	v_mov_b32_e32 v20, 0xde2e1e3
	v_mov_b32_e32 v21, 0x405311e5
	v_fmac_f64_e32 v[20:21], v[18:19], v[22:23]
	v_mov_b32_e32 v22, 0xee40073c
	;; [unrolled: 3-line block ×12, first 2 shown]
	v_mov_b32_e32 v23, 0x402c311b
	v_fmac_f64_e32 v[22:23], v[18:19], v[24:25]
	v_fma_f64 v[22:23], v[18:19], v[22:23], 1.0
	v_fma_f64 v[18:19], v[18:19], v[20:21], 1.0
	v_div_scale_f64 v[20:21], s[16:17], v[22:23], v[22:23], v[18:19]
	v_rcp_f64_e32 v[24:25], v[20:21]
	s_nop 0
	v_fma_f64 v[26:27], -v[20:21], v[24:25], 1.0
	v_fmac_f64_e32 v[24:25], v[24:25], v[26:27]
	v_fma_f64 v[26:27], -v[20:21], v[24:25], 1.0
	v_fmac_f64_e32 v[24:25], v[24:25], v[26:27]
	v_div_scale_f64 v[26:27], vcc, v[18:19], v[22:23], v[18:19]
	v_mul_f64 v[28:29], v[26:27], v[24:25]
	v_fma_f64 v[20:21], -v[20:21], v[28:29], v[26:27]
	s_nop 1
	v_div_fmas_f64 v[20:21], v[20:21], v[24:25], v[28:29]
	v_cmp_gt_f64_e32 vcc, s[2:3], v[10:11]
	v_div_fixup_f64 v[18:19], v[20:21], v[22:23], v[18:19]
	s_mov_b32 s2, 0x50429b6d
	v_cndmask_b32_e32 v7, 0, v7, vcc
	v_ldexp_f64 v[10:11], v[10:11], v7
	v_rsq_f64_e32 v[20:21], v[10:11]
	s_mov_b32 s3, 0x3fe20dd7
	v_mul_f64 v[18:19], v[18:19], s[2:3]
	v_cndmask_b32_e32 v7, 0, v30, vcc
	v_mul_f64 v[22:23], v[10:11], v[20:21]
	v_mul_f64 v[20:21], v[20:21], 0.5
	v_fma_f64 v[24:25], -v[20:21], v[22:23], 0.5
	v_fmac_f64_e32 v[22:23], v[22:23], v[24:25]
	v_fma_f64 v[26:27], -v[22:23], v[22:23], v[10:11]
	v_fmac_f64_e32 v[20:21], v[20:21], v[24:25]
	v_fmac_f64_e32 v[22:23], v[26:27], v[20:21]
	v_fma_f64 v[24:25], -v[22:23], v[22:23], v[10:11]
	v_fmac_f64_e32 v[22:23], v[24:25], v[20:21]
	s_mov_b32 s2, 0x652b82fe
	v_ldexp_f64 v[20:21], v[22:23], v7
	v_cmp_class_f64_e32 vcc, v[10:11], v31
	s_mov_b32 s3, 0x3ff71547
	v_mov_b32_e32 v24, 0xfca7ab0c
	v_cndmask_b32_e32 v11, v21, v11, vcc
	v_cndmask_b32_e32 v10, v20, v10, vcc
	v_mul_f64 v[20:21], v[12:13], s[2:3]
	s_mov_b32 s2, 0xfefa39ef
	v_rndne_f64_e32 v[20:21], v[20:21]
	s_mov_b32 s3, 0xbfe62e42
	v_fma_f64 v[22:23], s[2:3], v[20:21], v[12:13]
	s_mov_b32 s2, 0x3b39803f
	s_mov_b32 s3, 0xbc7abc9e
	v_fmac_f64_e32 v[22:23], s[2:3], v[20:21]
	s_mov_b32 s2, 0x6a5dcb37
	v_mov_b32_e32 v25, 0x3e928af3
	s_mov_b32 s3, 0x3e5ade15
	v_fmac_f64_e32 v[24:25], s[2:3], v[22:23]
	v_mov_b32_e32 v26, 0x623fde64
	v_mov_b32_e32 v27, 0x3ec71dee
	v_fmac_f64_e32 v[26:27], v[22:23], v[24:25]
	v_mov_b32_e32 v24, 0x7c89e6b0
	v_mov_b32_e32 v25, 0x3efa0199
	;; [unrolled: 3-line block ×8, first 2 shown]
	s_mov_b32 s2, 0
	v_fmac_f64_e32 v[24:25], v[22:23], v[26:27]
	s_mov_b32 s3, 0x40900000
	v_fma_f64 v[24:25], v[22:23], v[24:25], 1.0
	v_cmp_nlt_f64_e32 vcc, s[2:3], v[12:13]
	s_mov_b32 s2, 0
	v_fma_f64 v[22:23], v[22:23], v[24:25], 1.0
	v_cvt_i32_f64_e32 v7, v[20:21]
	s_mov_b32 s3, 0xc090cc00
	v_ldexp_f64 v[20:21], v[22:23], v7
	v_mov_b32_e32 v7, 0x7ff00000
	v_cmp_ngt_f64_e64 s[2:3], s[2:3], v[12:13]
	v_cndmask_b32_e32 v7, v7, v21, vcc
	s_and_b64 vcc, s[2:3], vcc
	v_add_f64 v[10:11], v[10:11], v[10:11]
	v_cndmask_b32_e64 v13, 0, v7, s[2:3]
	v_cndmask_b32_e32 v12, 0, v20, vcc
	v_mul_f64 v[10:11], v[10:11], v[12:13]
	v_div_scale_f64 v[12:13], s[2:3], v[10:11], v[10:11], v[18:19]
	v_rcp_f64_e32 v[20:21], v[12:13]
	s_mov_b32 s2, 0xfd0a823a
	s_mov_b32 s3, 0x4020a402
	v_fma_f64 v[22:23], -v[12:13], v[20:21], 1.0
	v_fmac_f64_e32 v[20:21], v[20:21], v[22:23]
	v_fma_f64 v[22:23], -v[12:13], v[20:21], 1.0
	v_fmac_f64_e32 v[20:21], v[20:21], v[22:23]
	v_div_scale_f64 v[22:23], vcc, v[18:19], v[10:11], v[18:19]
	v_mul_f64 v[24:25], v[22:23], v[20:21]
	v_fma_f64 v[12:13], -v[12:13], v[24:25], v[22:23]
	s_nop 1
	v_div_fmas_f64 v[12:13], v[12:13], v[20:21], v[24:25]
	v_cmp_nlt_f64_e32 vcc, s[2:3], v[8:9]
	s_andn2_b64 s[2:3], s[12:13], exec
	s_and_b64 s[16:17], vcc, exec
	v_div_fixup_f64 v[12:13], v[12:13], v[10:11], v[18:19]
	s_or_b64 s[2:3], s[2:3], s[16:17]
.LBB0_86:
	s_or_b64 exec, exec, s[14:15]
	s_and_saveexec_b64 s[14:15], s[2:3]
	s_cbranch_execz .LBB0_90
; %bb.87:
	v_mul_f64 v[10:11], v[8:9], v[8:9]
	s_mov_b32 s18, 0
	v_mul_f64 v[18:19], v[8:9], v[10:11]
	v_mov_b64_e32 v[24:25], 1.0
	s_mov_b64 s[16:17], 0
	v_mov_b64_e32 v[22:23], 1.0
	s_mov_b32 s19, 0x3cb00000
	v_mov_b64_e32 v[20:21], v[8:9]
	v_mov_b64_e32 v[10:11], 1.0
.LBB0_88:                               ; =>This Inner Loop Header: Depth=1
	v_mul_f64 v[24:25], v[18:19], v[24:25]
	v_add_f64 v[26:27], v[22:23], 1.0
	v_mul_f64 v[8:9], v[18:19], v[8:9]
	v_div_scale_f64 v[28:29], s[2:3], v[26:27], v[26:27], v[24:25]
	v_add_f64 v[32:33], v[26:27], 1.0
	v_rcp_f64_e32 v[34:35], v[28:29]
	v_div_scale_f64 v[38:39], s[2:3], v[32:33], v[32:33], v[8:9]
	v_rcp_f64_e32 v[50:51], v[38:39]
	v_fma_f64 v[52:53], -v[28:29], v[34:35], 1.0
	v_fmac_f64_e32 v[34:35], v[34:35], v[52:53]
	v_fma_f64 v[54:55], -v[28:29], v[34:35], 1.0
	v_fma_f64 v[52:53], -v[38:39], v[50:51], 1.0
	v_fmac_f64_e32 v[50:51], v[50:51], v[52:53]
	v_div_scale_f64 v[30:31], vcc, v[24:25], v[26:27], v[24:25]
	v_fmac_f64_e32 v[34:35], v[34:35], v[54:55]
	v_fma_f64 v[52:53], -v[38:39], v[50:51], 1.0
	v_div_scale_f64 v[48:49], s[2:3], v[8:9], v[32:33], v[8:9]
	v_mul_f64 v[54:55], v[30:31], v[34:35]
	v_fmac_f64_e32 v[50:51], v[50:51], v[52:53]
	v_fma_f64 v[28:29], -v[28:29], v[54:55], v[30:31]
	v_mul_f64 v[30:31], v[48:49], v[50:51]
	v_div_fmas_f64 v[28:29], v[28:29], v[34:35], v[54:55]
	v_fma_f64 v[34:35], -v[38:39], v[30:31], v[48:49]
	s_mov_b64 vcc, s[2:3]
	v_div_fixup_f64 v[24:25], v[28:29], v[26:27], v[24:25]
	v_div_fmas_f64 v[26:27], v[34:35], v[50:51], v[30:31]
	v_div_fixup_f64 v[8:9], v[26:27], v[32:33], v[8:9]
	v_div_scale_f64 v[26:27], s[2:3], v[32:33], v[32:33], v[24:25]
	v_add_f64 v[22:23], v[32:33], 1.0
	v_rcp_f64_e32 v[30:31], v[26:27]
	v_div_scale_f64 v[34:35], s[2:3], v[22:23], v[22:23], v[8:9]
	v_rcp_f64_e32 v[48:49], v[34:35]
	v_fma_f64 v[50:51], -v[26:27], v[30:31], 1.0
	v_fmac_f64_e32 v[30:31], v[30:31], v[50:51]
	v_fma_f64 v[52:53], -v[26:27], v[30:31], 1.0
	v_fma_f64 v[50:51], -v[34:35], v[48:49], 1.0
	v_div_scale_f64 v[28:29], vcc, v[24:25], v[32:33], v[24:25]
	v_fmac_f64_e32 v[48:49], v[48:49], v[50:51]
	v_fmac_f64_e32 v[30:31], v[30:31], v[52:53]
	v_fma_f64 v[50:51], -v[34:35], v[48:49], 1.0
	v_mul_f64 v[52:53], v[28:29], v[30:31]
	v_div_scale_f64 v[38:39], s[2:3], v[8:9], v[22:23], v[8:9]
	v_fmac_f64_e32 v[48:49], v[48:49], v[50:51]
	v_fma_f64 v[26:27], -v[26:27], v[52:53], v[28:29]
	v_mul_f64 v[28:29], v[38:39], v[48:49]
	v_div_fmas_f64 v[26:27], v[26:27], v[30:31], v[52:53]
	v_fma_f64 v[30:31], -v[34:35], v[28:29], v[38:39]
	v_div_fixup_f64 v[24:25], v[26:27], v[32:33], v[24:25]
	s_mov_b64 vcc, s[2:3]
	v_div_fmas_f64 v[26:27], v[30:31], v[48:49], v[28:29]
	v_add_f64 v[10:11], v[10:11], v[24:25]
	v_div_fixup_f64 v[8:9], v[26:27], v[22:23], v[8:9]
	v_div_scale_f64 v[26:27], s[2:3], v[10:11], v[10:11], v[24:25]
	v_rcp_f64_e32 v[28:29], v[26:27]
	v_div_scale_f64 v[30:31], vcc, v[24:25], v[10:11], v[24:25]
	v_add_f64 v[20:21], v[20:21], v[8:9]
	v_fma_f64 v[32:33], -v[26:27], v[28:29], 1.0
	v_fmac_f64_e32 v[28:29], v[28:29], v[32:33]
	v_fma_f64 v[32:33], -v[26:27], v[28:29], 1.0
	v_fmac_f64_e32 v[28:29], v[28:29], v[32:33]
	v_mul_f64 v[32:33], v[30:31], v[28:29]
	v_fma_f64 v[26:27], -v[26:27], v[32:33], v[30:31]
	v_div_fmas_f64 v[26:27], v[26:27], v[28:29], v[32:33]
	v_div_fixup_f64 v[26:27], v[26:27], v[10:11], v[24:25]
	v_cmp_ngt_f64_e64 s[2:3], |v[26:27]|, s[18:19]
	s_or_b64 s[16:17], s[2:3], s[16:17]
	s_andn2_b64 exec, exec, s[16:17]
	s_cbranch_execnz .LBB0_88
; %bb.89:
	s_or_b64 exec, exec, s[16:17]
	s_mov_b32 s2, 0x42b70f8b
	s_mov_b32 s3, 0xbfd0907f
	v_mul_f64 v[8:9], v[20:21], s[2:3]
	s_mov_b32 s2, 0x962715b8
	s_mov_b32 s3, 0x3fd6b8c7
	v_fmac_f64_e32 v[8:9], s[2:3], v[10:11]
	v_cndmask_b32_e64 v13, v13, v9, s[12:13]
	v_cndmask_b32_e64 v12, v12, v8, s[12:13]
.LBB0_90:
	s_or_b64 exec, exec, s[14:15]
                                        ; implicit-def: $vgpr8_vgpr9
.LBB0_91:
	s_andn2_saveexec_b64 s[10:11], s[10:11]
	s_cbranch_execz .LBB0_106
; %bb.92:
	s_mov_b32 s2, 0
	s_brev_b32 s3, 9
	v_mov_b32_e32 v7, 0x100
	v_cmp_lt_f64_e32 vcc, s[2:3], v[8:9]
	v_mul_f64 v[18:19], v[8:9], -2.0
	s_mov_b32 s12, 0
	v_cndmask_b32_e32 v7, 0, v7, vcc
	v_ldexp_f64 v[10:11], -v[8:9], v7
	v_rsq_f64_e32 v[12:13], v[10:11]
	v_mov_b32_e32 v7, 0xffffff80
	v_cndmask_b32_e32 v7, 0, v7, vcc
	s_mov_b32 s13, 0x40080000
	v_mul_f64 v[8:9], v[10:11], v[12:13]
	v_mul_f64 v[12:13], v[12:13], 0.5
	v_fma_f64 v[20:21], -v[12:13], v[8:9], 0.5
	v_fmac_f64_e32 v[8:9], v[8:9], v[20:21]
	v_fma_f64 v[22:23], -v[8:9], v[8:9], v[10:11]
	v_fmac_f64_e32 v[12:13], v[12:13], v[20:21]
	v_fmac_f64_e32 v[8:9], v[22:23], v[12:13]
	v_fma_f64 v[20:21], -v[8:9], v[8:9], v[10:11]
	v_fmac_f64_e32 v[8:9], v[20:21], v[12:13]
	v_ldexp_f64 v[8:9], v[8:9], v7
	v_mov_b32_e32 v7, 0x260
	v_cmp_class_f64_e32 vcc, v[10:11], v7
	s_mov_b32 s15, 0x3fe921fb
	s_mov_b32 s14, 0x54442d18
	v_cndmask_b32_e32 v9, v9, v11, vcc
	v_cndmask_b32_e32 v8, v8, v10, vcc
	v_mul_f64 v[10:11], v[18:19], v[8:9]
	v_div_scale_f64 v[12:13], s[2:3], s[12:13], s[12:13], v[10:11]
	v_rcp_f64_e32 v[18:19], v[12:13]
	s_movk_i32 s2, 0xff80
                                        ; implicit-def: $vgpr32
                                        ; implicit-def: $vgpr24_vgpr25
	v_fma_f64 v[20:21], -v[12:13], v[18:19], 1.0
	v_fmac_f64_e32 v[18:19], v[18:19], v[20:21]
	v_fma_f64 v[20:21], -v[12:13], v[18:19], 1.0
	v_fmac_f64_e32 v[18:19], v[18:19], v[20:21]
	v_div_scale_f64 v[20:21], vcc, v[10:11], s[12:13], v[10:11]
	v_mul_f64 v[22:23], v[20:21], v[18:19]
	v_fma_f64 v[12:13], -v[12:13], v[22:23], v[20:21]
	s_nop 1
	v_div_fmas_f64 v[12:13], v[12:13], v[18:19], v[22:23]
	v_div_fixup_f64 v[20:21], v[12:13], s[12:13], v[10:11]
	s_mov_b32 s12, 0
	v_add_f64 v[10:11], v[20:21], s[14:15]
	s_mov_b32 s13, 0x41d00000
	v_cmp_nlt_f64_e64 s[12:13], |v[10:11]|, s[12:13]
	v_trig_preop_f64 v[30:31], |v[10:11]|, 0
	v_trig_preop_f64 v[28:29], |v[10:11]|, 1
	;; [unrolled: 1-line block ×3, first 2 shown]
                                        ; implicit-def: $vgpr22_vgpr23
	s_and_saveexec_b64 s[16:17], s[12:13]
	s_xor_b64 s[16:17], exec, s[16:17]
	s_cbranch_execz .LBB0_99
; %bb.93:
	s_mov_b32 s18, 0
	s_mov_b32 s19, 0x7b000000
	v_and_b32_e32 v7, 0x7fffffff, v11
	v_ldexp_f64 v[12:13], |v[10:11]|, s2
	v_cmp_ge_f64_e64 vcc, |v[10:11]|, s[18:19]
	s_mov_b32 s2, 0
	s_mov_b32 s3, 0x7ff00000
	v_cndmask_b32_e32 v13, v7, v13, vcc
	v_cndmask_b32_e32 v12, v10, v12, vcc
	v_mul_f64 v[22:23], v[30:31], v[12:13]
	v_mul_f64 v[18:19], v[28:29], v[12:13]
	v_fma_f64 v[24:25], v[30:31], v[12:13], -v[22:23]
	v_add_f64 v[32:33], v[18:19], v[24:25]
	v_add_f64 v[50:51], v[32:33], -v[18:19]
	v_add_f64 v[24:25], v[24:25], -v[50:51]
	;; [unrolled: 1-line block ×4, first 2 shown]
	v_add_f64 v[24:25], v[24:25], v[50:51]
	v_fma_f64 v[18:19], v[28:29], v[12:13], -v[18:19]
	v_mul_f64 v[50:51], v[26:27], v[12:13]
	v_add_f64 v[52:53], v[50:51], v[18:19]
	v_add_f64 v[34:35], v[22:23], v[32:33]
	;; [unrolled: 1-line block ×3, first 2 shown]
	v_ldexp_f64 v[38:39], v[34:35], -2
	v_add_f64 v[22:23], v[34:35], -v[22:23]
	v_add_f64 v[34:35], v[54:55], -v[52:53]
	;; [unrolled: 1-line block ×5, first 2 shown]
	v_add_f64 v[24:25], v[24:25], v[34:35]
	v_add_f64 v[34:35], v[52:53], -v[50:51]
	v_add_f64 v[18:19], v[18:19], -v[34:35]
	;; [unrolled: 1-line block ×5, first 2 shown]
	v_add_f64 v[18:19], v[18:19], v[34:35]
	v_fract_f64_e32 v[48:49], v[38:39]
	v_add_f64 v[32:33], v[22:23], v[54:55]
	v_add_f64 v[18:19], v[18:19], v[24:25]
	v_fma_f64 v[12:13], v[26:27], v[12:13], -v[50:51]
	v_add_f64 v[22:23], v[32:33], -v[22:23]
	v_add_f64 v[12:13], v[12:13], v[18:19]
	v_ldexp_f64 v[18:19], v[48:49], 2
	v_cmp_neq_f64_e64 vcc, |v[38:39]|, s[2:3]
	v_add_f64 v[22:23], v[54:55], -v[22:23]
	v_add_f64 v[12:13], v[22:23], v[12:13]
	v_cndmask_b32_e32 v19, 0, v19, vcc
	v_cndmask_b32_e32 v18, 0, v18, vcc
	v_add_f64 v[22:23], v[32:33], v[18:19]
	v_mov_b32_e32 v7, 0x40100000
	v_cmp_gt_f64_e32 vcc, 0, v[22:23]
	v_mov_b32_e32 v22, 0
	s_mov_b32 s15, 0x3ff921fb
	v_cndmask_b32_e32 v23, 0, v7, vcc
	v_add_f64 v[18:19], v[18:19], v[22:23]
	v_add_f64 v[24:25], v[32:33], v[18:19]
	v_cvt_i32_f64_e32 v7, v[24:25]
	v_cvt_f64_i32_e32 v[24:25], v7
	v_add_f64 v[18:19], v[18:19], -v[24:25]
	v_add_f64 v[24:25], v[32:33], v[18:19]
	v_add_f64 v[18:19], v[24:25], -v[18:19]
	v_cmp_le_f64_e32 vcc, 0.5, v[24:25]
	v_add_f64 v[18:19], v[32:33], -v[18:19]
	v_add_f64 v[12:13], v[12:13], v[18:19]
	v_addc_co_u32_e64 v32, s[2:3], 0, v7, vcc
	v_mov_b32_e32 v7, 0x3ff00000
	v_cndmask_b32_e32 v23, 0, v7, vcc
	v_add_f64 v[18:19], v[24:25], -v[22:23]
	v_add_f64 v[22:23], v[18:19], v[12:13]
	v_add_f64 v[18:19], v[22:23], -v[18:19]
	v_add_f64 v[12:13], v[12:13], -v[18:19]
	v_mul_f64 v[18:19], v[22:23], s[14:15]
	s_mov_b32 s2, 0x33145c07
	v_fma_f64 v[24:25], v[22:23], s[14:15], -v[18:19]
	s_mov_b32 s3, 0x3c91a626
	v_fmac_f64_e32 v[24:25], s[2:3], v[22:23]
	v_fmac_f64_e32 v[24:25], s[14:15], v[12:13]
	v_add_f64 v[22:23], v[18:19], v[24:25]
	v_add_f64 v[12:13], v[22:23], -v[18:19]
	v_add_f64 v[24:25], v[24:25], -v[12:13]
	s_andn2_saveexec_b64 s[2:3], s[16:17]
	s_cbranch_execz .LBB0_101
	s_branch .LBB0_100
.LBB0_94:
	s_or_b64 exec, exec, s[4:5]
	s_and_saveexec_b64 s[2:3], s[0:1]
	s_xor_b64 s[0:1], exec, s[2:3]
	s_cbranch_execz .LBB0_109
.LBB0_95:
	v_mov_b32_e32 v7, 0
	v_lshl_add_u64 v[6:7], v[6:7], 3, v[0:1]
	v_mov_b32_e32 v5, v36
	flat_store_dwordx2 v[6:7], v[2:3]
	s_or_b64 exec, exec, s[0:1]
	v_cmp_lt_i32_e32 vcc, v5, v4
	s_and_saveexec_b64 s[0:1], vcc
	s_cbranch_execnz .LBB0_110
.LBB0_96:
	s_or_b64 exec, exec, s[0:1]
	v_cmp_lt_i32_e32 vcc, v5, v4
	s_and_saveexec_b64 s[0:1], vcc
	s_cbranch_execz .LBB0_111
.LBB0_97:
	v_add_u32_e32 v2, s42, v5
	v_mov_b32_e32 v3, 0
	v_lshl_add_u64 v[2:3], v[2:3], 3, v[0:1]
	v_add_u32_e32 v5, 0x100, v5
	flat_store_dwordx2 v[2:3], v[14:15]
	s_or_b64 exec, exec, s[0:1]
	v_cmp_lt_i32_e32 vcc, v5, v4
	s_and_saveexec_b64 s[0:1], vcc
	s_cbranch_execnz .LBB0_112
.LBB0_98:
	s_or_b64 exec, exec, s[0:1]
	s_waitcnt vmcnt(0) lgkmcnt(0)
	s_setpc_b64 s[30:31]
.LBB0_99:
	s_andn2_saveexec_b64 s[2:3], s[16:17]
	s_cbranch_execz .LBB0_101
.LBB0_100:
	s_mov_b32 s14, 0x6dc9c883
	s_mov_b32 s15, 0x3fe45f30
	v_mul_f64 v[12:13], |v[10:11]|, s[14:15]
	s_mov_b32 s14, 0x54442d18
	v_rndne_f64_e32 v[12:13], v[12:13]
	s_mov_b32 s15, 0xbff921fb
	v_fma_f64 v[18:19], v[12:13], s[14:15], |v[10:11]|
	s_mov_b32 s15, 0xbc91a626
	s_mov_b32 s14, 0x33145c00
	v_mul_f64 v[22:23], v[12:13], s[14:15]
	v_add_f64 v[34:35], v[18:19], v[22:23]
	v_fma_f64 v[24:25], s[14:15], v[12:13], v[18:19]
	s_mov_b32 s15, 0x3c91a626
	v_add_f64 v[18:19], v[18:19], -v[34:35]
	v_fma_f64 v[32:33], s[14:15], v[12:13], v[22:23]
	v_add_f64 v[18:19], v[18:19], v[22:23]
	v_add_f64 v[22:23], v[34:35], -v[24:25]
	v_add_f64 v[18:19], v[22:23], v[18:19]
	s_mov_b32 s14, 0x252049c0
	v_add_f64 v[18:19], v[18:19], -v[32:33]
	s_mov_b32 s15, 0xb97b839a
	v_fmac_f64_e32 v[18:19], s[14:15], v[12:13]
	v_add_f64 v[22:23], v[24:25], v[18:19]
	v_add_f64 v[24:25], v[22:23], -v[24:25]
	v_add_f64 v[24:25], v[18:19], -v[24:25]
	v_cvt_i32_f64_e32 v32, v[12:13]
.LBB0_101:
	s_or_b64 exec, exec, s[2:3]
                                        ; implicit-def: $vgpr7
                                        ; implicit-def: $vgpr12_vgpr13
                                        ; implicit-def: $vgpr18_vgpr19
	s_and_saveexec_b64 s[2:3], s[12:13]
	s_xor_b64 s[12:13], exec, s[2:3]
	s_cbranch_execz .LBB0_103
; %bb.102:
	s_mov_b32 s2, 0
	s_mov_b32 s3, 0x7b000000
	s_movk_i32 s14, 0xff80
	v_and_b32_e32 v7, 0x7fffffff, v11
	v_ldexp_f64 v[12:13], |v[10:11]|, s14
	v_cmp_ge_f64_e64 vcc, |v[10:11]|, s[2:3]
	s_mov_b32 s2, 0
	s_mov_b32 s3, 0x7ff00000
	v_cndmask_b32_e32 v13, v7, v13, vcc
	v_cndmask_b32_e32 v12, v10, v12, vcc
	v_mul_f64 v[34:35], v[30:31], v[12:13]
	v_mul_f64 v[18:19], v[28:29], v[12:13]
	v_fma_f64 v[30:31], v[30:31], v[12:13], -v[34:35]
	v_add_f64 v[38:39], v[18:19], v[30:31]
	v_add_f64 v[54:55], v[38:39], -v[18:19]
	v_add_f64 v[30:31], v[30:31], -v[54:55]
	v_add_f64 v[54:55], v[38:39], -v[54:55]
	v_add_f64 v[54:55], v[18:19], -v[54:55]
	v_fma_f64 v[18:19], v[28:29], v[12:13], -v[18:19]
	v_mul_f64 v[28:29], v[26:27], v[12:13]
	v_add_f64 v[30:31], v[30:31], v[54:55]
	v_add_f64 v[54:55], v[28:29], v[18:19]
	v_add_f64 v[48:49], v[34:35], v[38:39]
	v_add_f64 v[64:65], v[54:55], v[30:31]
	v_ldexp_f64 v[50:51], v[48:49], -2
	v_add_f64 v[34:35], v[48:49], -v[34:35]
	v_add_f64 v[48:49], v[64:65], -v[54:55]
	;; [unrolled: 1-line block ×5, first 2 shown]
	v_add_f64 v[30:31], v[30:31], v[48:49]
	v_add_f64 v[48:49], v[54:55], -v[28:29]
	v_add_f64 v[18:19], v[18:19], -v[48:49]
	;; [unrolled: 1-line block ×4, first 2 shown]
	v_add_f64 v[18:19], v[18:19], v[48:49]
	v_fract_f64_e32 v[52:53], v[50:51]
	v_add_f64 v[18:19], v[18:19], v[30:31]
	v_fma_f64 v[12:13], v[26:27], v[12:13], -v[28:29]
	v_add_f64 v[34:35], v[38:39], -v[34:35]
	v_add_f64 v[12:13], v[12:13], v[18:19]
	v_ldexp_f64 v[18:19], v[52:53], 2
	v_cmp_neq_f64_e64 vcc, |v[50:51]|, s[2:3]
	v_add_f64 v[38:39], v[34:35], v[64:65]
	v_mov_b32_e32 v7, 0x40100000
	v_cndmask_b32_e32 v19, 0, v19, vcc
	v_cndmask_b32_e32 v18, 0, v18, vcc
	v_add_f64 v[26:27], v[38:39], v[18:19]
	v_cmp_gt_f64_e32 vcc, 0, v[26:27]
	v_mov_b32_e32 v26, 0
	v_add_f64 v[34:35], v[38:39], -v[34:35]
	v_cndmask_b32_e32 v27, 0, v7, vcc
	v_add_f64 v[18:19], v[18:19], v[26:27]
	v_add_f64 v[28:29], v[38:39], v[18:19]
	v_cvt_i32_f64_e32 v7, v[28:29]
	v_cvt_f64_i32_e32 v[28:29], v7
	v_add_f64 v[18:19], v[18:19], -v[28:29]
	v_add_f64 v[28:29], v[38:39], v[18:19]
	v_add_f64 v[34:35], v[64:65], -v[34:35]
	v_add_f64 v[18:19], v[28:29], -v[18:19]
	v_add_f64 v[12:13], v[34:35], v[12:13]
	v_add_f64 v[18:19], v[38:39], -v[18:19]
	v_add_f64 v[12:13], v[12:13], v[18:19]
	v_cmp_le_f64_e32 vcc, 0.5, v[28:29]
	v_mov_b32_e32 v18, 0x3ff00000
	s_mov_b32 s14, 0x33145c07
	v_cndmask_b32_e32 v27, 0, v18, vcc
	v_addc_co_u32_e64 v7, s[2:3], 0, v7, vcc
	v_add_f64 v[18:19], v[28:29], -v[26:27]
	v_add_f64 v[26:27], v[18:19], v[12:13]
	s_mov_b32 s2, 0x54442d18
	v_add_f64 v[18:19], v[26:27], -v[18:19]
	s_mov_b32 s3, 0x3ff921fb
	v_add_f64 v[12:13], v[12:13], -v[18:19]
	v_mul_f64 v[18:19], v[26:27], s[2:3]
	v_fma_f64 v[28:29], v[26:27], s[2:3], -v[18:19]
	s_mov_b32 s15, 0x3c91a626
	v_fmac_f64_e32 v[28:29], s[14:15], v[26:27]
	v_fmac_f64_e32 v[28:29], s[2:3], v[12:13]
	v_add_f64 v[12:13], v[18:19], v[28:29]
	v_add_f64 v[18:19], v[12:13], -v[18:19]
	v_add_f64 v[18:19], v[28:29], -v[18:19]
	s_andn2_saveexec_b64 s[2:3], s[12:13]
	s_cbranch_execnz .LBB0_104
	s_branch .LBB0_105
.LBB0_103:
	s_andn2_saveexec_b64 s[2:3], s[12:13]
	s_cbranch_execz .LBB0_105
.LBB0_104:
	s_mov_b32 s12, 0x6dc9c883
	s_mov_b32 s13, 0x3fe45f30
	v_mul_f64 v[12:13], |v[10:11]|, s[12:13]
	s_mov_b32 s12, 0x54442d18
	v_rndne_f64_e32 v[26:27], v[12:13]
	s_mov_b32 s13, 0xbff921fb
	v_fma_f64 v[12:13], v[26:27], s[12:13], |v[10:11]|
	s_mov_b32 s13, 0xbc91a626
	s_mov_b32 s12, 0x33145c00
	v_mul_f64 v[28:29], v[26:27], s[12:13]
	v_add_f64 v[34:35], v[12:13], v[28:29]
	v_fma_f64 v[18:19], s[12:13], v[26:27], v[12:13]
	s_mov_b32 s13, 0x3c91a626
	v_add_f64 v[12:13], v[12:13], -v[34:35]
	v_fma_f64 v[30:31], s[12:13], v[26:27], v[28:29]
	v_add_f64 v[12:13], v[12:13], v[28:29]
	v_add_f64 v[28:29], v[34:35], -v[18:19]
	v_add_f64 v[12:13], v[28:29], v[12:13]
	s_mov_b32 s12, 0x252049c0
	v_add_f64 v[28:29], v[12:13], -v[30:31]
	s_mov_b32 s13, 0xb97b839a
	v_fmac_f64_e32 v[28:29], s[12:13], v[26:27]
	v_add_f64 v[12:13], v[18:19], v[28:29]
	v_add_f64 v[18:19], v[12:13], -v[18:19]
	v_add_f64 v[18:19], v[28:29], -v[18:19]
	v_cvt_i32_f64_e32 v7, v[26:27]
.LBB0_105:
	s_or_b64 exec, exec, s[2:3]
	v_div_scale_f64 v[26:27], s[2:3], v[20:21], v[20:21], 1.0
	v_rcp_f64_e32 v[28:29], v[26:27]
	v_div_scale_f64 v[30:31], vcc, 1.0, v[20:21], 1.0
	v_mov_b32_e32 v38, 0xb99518a7
	v_fma_f64 v[34:35], -v[26:27], v[28:29], 1.0
	v_fmac_f64_e32 v[28:29], v[28:29], v[34:35]
	v_fma_f64 v[34:35], -v[26:27], v[28:29], 1.0
	v_fmac_f64_e32 v[28:29], v[28:29], v[34:35]
	v_mul_f64 v[34:35], v[30:31], v[28:29]
	v_fma_f64 v[26:27], -v[26:27], v[34:35], v[30:31]
	v_div_fmas_f64 v[26:27], v[26:27], v[28:29], v[34:35]
	v_div_fixup_f64 v[20:21], v[26:27], v[20:21], 1.0
	v_mul_f64 v[26:27], v[20:21], v[20:21]
	v_mov_b32_e32 v28, 0xd50ae6fb
	v_mov_b32_e32 v29, 0xbfc0db6c
	v_fmac_f64_e32 v[28:29], 0, v[26:27]
	v_mov_b32_e32 v30, 0x98566852
	v_mov_b32_e32 v31, 0xbfe40bee
	v_fmac_f64_e32 v[30:31], v[26:27], v[28:29]
	;; [unrolled: 3-line block ×16, first 2 shown]
	v_mov_b32_e32 v39, 0x3e9e52b9
	v_mul_f64 v[48:49], v[22:23], v[22:23]
	v_fmac_f64_e32 v[38:39], v[26:27], v[34:35]
	v_mov_b32_e32 v34, 0xf68ea2d2
	v_mov_b32_e32 v35, 0xbe52041c
	v_mul_f64 v[28:29], v[48:49], 0.5
	v_fmac_f64_e32 v[34:35], v[26:27], v[30:31]
	v_add_f64 v[30:31], -v[28:29], 1.0
	s_mov_b32 s2, 0x9037ab78
	v_add_f64 v[50:51], -v[30:31], 1.0
	s_mov_b32 s3, 0x3e21eeb6
	s_mov_b32 s12, 0x46cc5e42
	v_add_f64 v[50:51], v[50:51], -v[28:29]
	s_mov_b32 s13, 0xbda907db
	v_mov_b64_e32 v[28:29], s[2:3]
	s_mov_b32 s14, 0xa17f65f6
	v_fma_f64 v[54:55], s[12:13], v[48:49], v[28:29]
	s_mov_b32 s15, 0xbe927e4f
	s_mov_b32 s16, 0x19f4ec90
	v_fma_f64 v[54:55], v[48:49], v[54:55], s[14:15]
	s_mov_b32 s17, 0x3efa01a0
	;; [unrolled: 3-line block ×4, first 2 shown]
	v_mul_f64 v[52:53], v[48:49], v[48:49]
	v_fma_f64 v[54:55], v[48:49], v[54:55], s[20:21]
	v_fma_f64 v[50:51], v[22:23], -v[24:25], v[50:51]
	s_mov_b32 s2, 0xb42fdfa7
	v_fmac_f64_e32 v[50:51], v[52:53], v[54:55]
	s_mov_b32 s3, 0xbe5ae600
	s_mov_b32 s22, 0xf9a43bb8
	v_add_f64 v[50:51], v[30:31], v[50:51]
	s_mov_b32 s23, 0x3de5e0b2
	v_mov_b64_e32 v[30:31], s[2:3]
	s_mov_b32 s24, 0x796cde01
	v_fma_f64 v[52:53], s[22:23], v[48:49], v[30:31]
	s_mov_b32 s25, 0x3ec71de3
	s_mov_b32 s26, 0x19e83e5c
	v_fma_f64 v[52:53], v[48:49], v[52:53], s[24:25]
	s_mov_b32 s27, 0xbf2a01a0
	;; [unrolled: 3-line block ×3, first 2 shown]
	v_fma_f64 v[52:53], v[48:49], v[52:53], s[28:29]
	v_mul_f64 v[54:55], v[22:23], -v[48:49]
	v_mul_f64 v[64:65], v[24:25], 0.5
	v_fmac_f64_e32 v[64:65], v[54:55], v[52:53]
	v_fma_f64 v[24:25], v[48:49], v[64:65], -v[24:25]
	s_mov_b32 s41, 0xbfc55555
	s_mov_b32 s40, s20
	v_fmac_f64_e32 v[24:25], s[40:41], v[54:55]
	v_add_f64 v[22:23], v[22:23], -v[24:25]
	v_and_b32_e32 v24, 1, v32
	v_cmp_eq_u32_e32 vcc, 0, v24
	s_brev_b32 s43, 1
	s_movk_i32 s44, 0x1f8
	v_cndmask_b32_e32 v37, v50, v22, vcc
	v_cndmask_b32_e32 v22, v51, v23, vcc
	v_lshlrev_b32_e32 v23, 30, v32
	v_xor_b32_e32 v23, v23, v11
	v_bitop3_b32 v48, v22, v23, s43 bitop3:0x78
	v_mul_f64 v[22:23], v[26:27], v[34:35]
	v_div_scale_f64 v[24:25], s[2:3], v[38:39], v[38:39], v[22:23]
	v_rcp_f64_e32 v[32:33], v[24:25]
	v_cmp_class_f64_e64 s[2:3], v[10:11], s44
	s_mov_b32 s44, 0
	s_brev_b32 s45, 8
	v_fma_f64 v[34:35], -v[24:25], v[32:33], 1.0
	v_fmac_f64_e32 v[32:33], v[32:33], v[34:35]
	v_fma_f64 v[34:35], -v[24:25], v[32:33], 1.0
	v_cndmask_b32_e64 v10, 0, v37, s[2:3]
	v_mov_b32_e32 v37, 0x7ff80000
	v_fmac_f64_e32 v[32:33], v[32:33], v[34:35]
	v_div_scale_f64 v[34:35], vcc, v[22:23], v[38:39], v[22:23]
	v_cndmask_b32_e64 v11, v37, v48, s[2:3]
	v_mul_f64 v[48:49], v[34:35], v[32:33]
	v_fma_f64 v[24:25], -v[24:25], v[48:49], v[34:35]
	s_nop 0
	v_div_fmas_f64 v[24:25], v[24:25], v[32:33], v[48:49]
	v_div_fixup_f64 v[22:23], v[24:25], v[38:39], v[22:23]
	v_mov_b32_e32 v24, 0xddcfbbde
	v_mov_b32_e32 v25, 0x3f943525
	v_fmac_f64_e32 v[24:25], 0, v[26:27]
	v_mov_b32_e32 v32, 0x6437b7
	v_mov_b32_e32 v33, 0x3fd907d5
	v_fmac_f64_e32 v[32:33], v[26:27], v[24:25]
	;; [unrolled: 3-line block ×19, first 2 shown]
	v_mov_b32_e32 v32, 0x100
	v_cmp_gt_f64_e32 vcc, s[44:45], v[8:9]
	v_mov_b32_e32 v38, 0xdb0724e8
	v_mov_b32_e32 v39, 0x3eb3a845
	v_cndmask_b32_e32 v32, 0, v32, vcc
	v_ldexp_f64 v[8:9], v[8:9], v32
	v_rsq_f64_e32 v[32:33], v[8:9]
	v_fmac_f64_e32 v[38:39], v[26:27], v[34:35]
	s_mov_b32 s44, 0x50429b6d
	s_mov_b32 s45, 0x3fe20dd7
	v_mul_f64 v[34:35], v[8:9], v[32:33]
	v_mul_f64 v[32:33], v[32:33], 0.5
	v_fma_f64 v[48:49], -v[32:33], v[34:35], 0.5
	v_fmac_f64_e32 v[34:35], v[34:35], v[48:49]
	v_fma_f64 v[50:51], -v[34:35], v[34:35], v[8:9]
	v_fmac_f64_e32 v[32:33], v[32:33], v[48:49]
	v_fmac_f64_e32 v[34:35], v[50:51], v[32:33]
	v_fma_f64 v[48:49], -v[34:35], v[34:35], v[8:9]
	v_fmac_f64_e32 v[34:35], v[48:49], v[32:33]
	v_mov_b32_e32 v32, 0xffffff80
	v_cndmask_b32_e32 v32, 0, v32, vcc
	v_ldexp_f64 v[32:33], v[34:35], v32
	v_mov_b32_e32 v34, 0x260
	v_cmp_class_f64_e32 vcc, v[8:9], v34
	v_mov_b32_e32 v48, 0x3dd589d4
	v_mov_b32_e32 v49, 0x3e351fc7
	v_cndmask_b32_e32 v9, v33, v9, vcc
	v_cndmask_b32_e32 v8, v32, v8, vcc
	v_div_scale_f64 v[32:33], s[46:47], v[8:9], v[8:9], s[44:45]
	v_rcp_f64_e32 v[34:35], v[32:33]
	v_fmac_f64_e32 v[48:49], v[26:27], v[38:39]
	v_add_f64 v[22:23], v[22:23], 1.0
	v_fma_f64 v[26:27], -v[32:33], v[34:35], 1.0
	v_fmac_f64_e32 v[34:35], v[34:35], v[26:27]
	v_fma_f64 v[26:27], -v[32:33], v[34:35], 1.0
	v_fmac_f64_e32 v[34:35], v[34:35], v[26:27]
	v_div_scale_f64 v[26:27], vcc, s[44:45], v[8:9], s[44:45]
	v_mul_f64 v[38:39], v[26:27], v[34:35]
	v_fma_f64 v[26:27], -v[32:33], v[38:39], v[26:27]
	s_nop 1
	v_div_fmas_f64 v[26:27], v[26:27], v[34:35], v[38:39]
	v_div_fixup_f64 v[8:9], v[26:27], v[8:9], s[44:45]
	v_mul_f64 v[26:27], v[12:13], v[12:13]
	v_mul_f64 v[32:33], v[26:27], 0.5
	v_fmac_f64_e32 v[28:29], s[12:13], v[26:27]
	v_add_f64 v[34:35], -v[32:33], 1.0
	v_fma_f64 v[28:29], v[26:27], v[28:29], s[14:15]
	v_add_f64 v[38:39], -v[34:35], 1.0
	v_fma_f64 v[28:29], v[26:27], v[28:29], s[16:17]
	v_add_f64 v[32:33], v[38:39], -v[32:33]
	v_fma_f64 v[28:29], v[26:27], v[28:29], s[18:19]
	v_fmac_f64_e32 v[30:31], s[22:23], v[26:27]
	v_mul_f64 v[38:39], v[26:27], v[26:27]
	v_fma_f64 v[28:29], v[26:27], v[28:29], s[20:21]
	v_fma_f64 v[32:33], v[12:13], -v[18:19], v[32:33]
	v_fma_f64 v[30:31], v[26:27], v[30:31], s[24:25]
	v_fmac_f64_e32 v[32:33], v[38:39], v[28:29]
	v_fma_f64 v[30:31], v[26:27], v[30:31], s[26:27]
	v_add_f64 v[28:29], v[34:35], v[32:33]
	v_fma_f64 v[30:31], v[26:27], v[30:31], s[28:29]
	v_mul_f64 v[32:33], v[12:13], -v[26:27]
	v_mul_f64 v[34:35], v[18:19], 0.5
	v_fmac_f64_e32 v[34:35], v[32:33], v[30:31]
	v_fma_f64 v[18:19], v[26:27], v[34:35], -v[18:19]
	v_fmac_f64_e32 v[18:19], s[40:41], v[32:33]
	v_add_f64 v[12:13], v[12:13], -v[18:19]
	v_and_b32_e32 v18, 1, v7
	v_xor_b32_e32 v13, 0x80000000, v13
	v_cmp_eq_u32_e32 vcc, 0, v18
	v_lshlrev_b32_e32 v7, 30, v7
	s_nop 0
	v_cndmask_b32_e32 v26, v12, v28, vcc
	v_cndmask_b32_e32 v27, v13, v29, vcc
	v_mul_f64 v[12:13], v[20:21], v[24:25]
	v_div_scale_f64 v[18:19], s[12:13], v[48:49], v[48:49], v[12:13]
	v_rcp_f64_e32 v[20:21], v[18:19]
	v_bitop3_b32 v7, v27, v7, s43 bitop3:0x78
	v_cndmask_b32_e64 v24, 0, v26, s[2:3]
	v_cndmask_b32_e64 v25, v37, v7, s[2:3]
	v_fma_f64 v[26:27], -v[18:19], v[20:21], 1.0
	v_fmac_f64_e32 v[20:21], v[20:21], v[26:27]
	v_fma_f64 v[26:27], -v[18:19], v[20:21], 1.0
	v_fmac_f64_e32 v[20:21], v[20:21], v[26:27]
	v_div_scale_f64 v[26:27], vcc, v[12:13], v[48:49], v[12:13]
	v_mul_f64 v[28:29], v[26:27], v[20:21]
	v_fma_f64 v[18:19], -v[18:19], v[28:29], v[26:27]
	s_nop 1
	v_div_fmas_f64 v[18:19], v[18:19], v[20:21], v[28:29]
	v_div_fixup_f64 v[12:13], v[18:19], v[48:49], v[12:13]
	v_mul_f64 v[12:13], v[12:13], v[24:25]
	v_fma_f64 v[10:11], v[22:23], v[10:11], -v[12:13]
	v_mul_f64 v[12:13], v[8:9], v[10:11]
.LBB0_106:
	s_or_b64 exec, exec, s[10:11]
.LBB0_107:
	s_or_b64 exec, exec, s[8:9]
.LBB0_108:
	s_or_b64 exec, exec, s[6:7]
	s_or_b64 exec, exec, s[4:5]
	s_and_saveexec_b64 s[2:3], s[0:1]
	s_xor_b64 s[0:1], exec, s[2:3]
	s_cbranch_execnz .LBB0_95
.LBB0_109:
	s_or_b64 exec, exec, s[0:1]
	v_cmp_lt_i32_e32 vcc, v5, v4
	s_and_saveexec_b64 s[0:1], vcc
	s_cbranch_execz .LBB0_96
.LBB0_110:
	v_add_u32_e32 v2, s42, v5
	v_mov_b32_e32 v3, 0
	v_lshl_add_u64 v[2:3], v[2:3], 3, v[0:1]
	v_add_u32_e32 v5, 0x100, v5
	flat_store_dwordx2 v[2:3], v[16:17]
	s_or_b64 exec, exec, s[0:1]
	v_cmp_lt_i32_e32 vcc, v5, v4
	s_and_saveexec_b64 s[0:1], vcc
	s_cbranch_execnz .LBB0_97
.LBB0_111:
	s_or_b64 exec, exec, s[0:1]
	v_cmp_lt_i32_e32 vcc, v5, v4
	s_and_saveexec_b64 s[0:1], vcc
	s_cbranch_execz .LBB0_98
.LBB0_112:
	v_add_u32_e32 v2, s42, v5
	v_mov_b32_e32 v3, 0
	v_lshl_add_u64 v[0:1], v[2:3], 3, v[0:1]
	flat_store_dwordx2 v[0:1], v[12:13]
	s_or_b64 exec, exec, s[0:1]
	s_waitcnt vmcnt(0) lgkmcnt(0)
	s_setpc_b64 s[30:31]
.Lfunc_end0:
	.size	_ZN2at6native25elementwise_kernel_helperILb0EZZZNS0_12_GLOBAL__N_119airy_ai_kernel_cudaERNS_18TensorIteratorBaseEENKUlvE_clEvENKUlvE_clEvEUldE_NS0_6memory8policies11unroll_baseILi256ESt5arrayIPcLm2EE23TrivialOffsetCalculatorILi1EjESF_NS8_15LoadWithoutCastENS8_16StoreWithoutCastELi4ELi1EEEEEvT0_T1_, .Lfunc_end0-_ZN2at6native25elementwise_kernel_helperILb0EZZZNS0_12_GLOBAL__N_119airy_ai_kernel_cudaERNS_18TensorIteratorBaseEENKUlvE_clEvENKUlvE_clEvEUldE_NS0_6memory8policies11unroll_baseILi256ESt5arrayIPcLm2EE23TrivialOffsetCalculatorILi1EjESF_NS8_15LoadWithoutCastENS8_16StoreWithoutCastELi4ELi1EEEEEvT0_T1_
                                        ; -- End function
	.set .L_ZN2at6native25elementwise_kernel_helperILb0EZZZNS0_12_GLOBAL__N_119airy_ai_kernel_cudaERNS_18TensorIteratorBaseEENKUlvE_clEvENKUlvE_clEvEUldE_NS0_6memory8policies11unroll_baseILi256ESt5arrayIPcLm2EE23TrivialOffsetCalculatorILi1EjESF_NS8_15LoadWithoutCastENS8_16StoreWithoutCastELi4ELi1EEEEEvT0_T1_.num_vgpr, 68
	.set .L_ZN2at6native25elementwise_kernel_helperILb0EZZZNS0_12_GLOBAL__N_119airy_ai_kernel_cudaERNS_18TensorIteratorBaseEENKUlvE_clEvENKUlvE_clEvEUldE_NS0_6memory8policies11unroll_baseILi256ESt5arrayIPcLm2EE23TrivialOffsetCalculatorILi1EjESF_NS8_15LoadWithoutCastENS8_16StoreWithoutCastELi4ELi1EEEEEvT0_T1_.num_agpr, 0
	.set .L_ZN2at6native25elementwise_kernel_helperILb0EZZZNS0_12_GLOBAL__N_119airy_ai_kernel_cudaERNS_18TensorIteratorBaseEENKUlvE_clEvENKUlvE_clEvEUldE_NS0_6memory8policies11unroll_baseILi256ESt5arrayIPcLm2EE23TrivialOffsetCalculatorILi1EjESF_NS8_15LoadWithoutCastENS8_16StoreWithoutCastELi4ELi1EEEEEvT0_T1_.numbered_sgpr, 48
	.set .L_ZN2at6native25elementwise_kernel_helperILb0EZZZNS0_12_GLOBAL__N_119airy_ai_kernel_cudaERNS_18TensorIteratorBaseEENKUlvE_clEvENKUlvE_clEvEUldE_NS0_6memory8policies11unroll_baseILi256ESt5arrayIPcLm2EE23TrivialOffsetCalculatorILi1EjESF_NS8_15LoadWithoutCastENS8_16StoreWithoutCastELi4ELi1EEEEEvT0_T1_.num_named_barrier, 0
	.set .L_ZN2at6native25elementwise_kernel_helperILb0EZZZNS0_12_GLOBAL__N_119airy_ai_kernel_cudaERNS_18TensorIteratorBaseEENKUlvE_clEvENKUlvE_clEvEUldE_NS0_6memory8policies11unroll_baseILi256ESt5arrayIPcLm2EE23TrivialOffsetCalculatorILi1EjESF_NS8_15LoadWithoutCastENS8_16StoreWithoutCastELi4ELi1EEEEEvT0_T1_.private_seg_size, 0
	.set .L_ZN2at6native25elementwise_kernel_helperILb0EZZZNS0_12_GLOBAL__N_119airy_ai_kernel_cudaERNS_18TensorIteratorBaseEENKUlvE_clEvENKUlvE_clEvEUldE_NS0_6memory8policies11unroll_baseILi256ESt5arrayIPcLm2EE23TrivialOffsetCalculatorILi1EjESF_NS8_15LoadWithoutCastENS8_16StoreWithoutCastELi4ELi1EEEEEvT0_T1_.uses_vcc, 1
	.set .L_ZN2at6native25elementwise_kernel_helperILb0EZZZNS0_12_GLOBAL__N_119airy_ai_kernel_cudaERNS_18TensorIteratorBaseEENKUlvE_clEvENKUlvE_clEvEUldE_NS0_6memory8policies11unroll_baseILi256ESt5arrayIPcLm2EE23TrivialOffsetCalculatorILi1EjESF_NS8_15LoadWithoutCastENS8_16StoreWithoutCastELi4ELi1EEEEEvT0_T1_.uses_flat_scratch, 0
	.set .L_ZN2at6native25elementwise_kernel_helperILb0EZZZNS0_12_GLOBAL__N_119airy_ai_kernel_cudaERNS_18TensorIteratorBaseEENKUlvE_clEvENKUlvE_clEvEUldE_NS0_6memory8policies11unroll_baseILi256ESt5arrayIPcLm2EE23TrivialOffsetCalculatorILi1EjESF_NS8_15LoadWithoutCastENS8_16StoreWithoutCastELi4ELi1EEEEEvT0_T1_.has_dyn_sized_stack, 0
	.set .L_ZN2at6native25elementwise_kernel_helperILb0EZZZNS0_12_GLOBAL__N_119airy_ai_kernel_cudaERNS_18TensorIteratorBaseEENKUlvE_clEvENKUlvE_clEvEUldE_NS0_6memory8policies11unroll_baseILi256ESt5arrayIPcLm2EE23TrivialOffsetCalculatorILi1EjESF_NS8_15LoadWithoutCastENS8_16StoreWithoutCastELi4ELi1EEEEEvT0_T1_.has_recursion, 0
	.set .L_ZN2at6native25elementwise_kernel_helperILb0EZZZNS0_12_GLOBAL__N_119airy_ai_kernel_cudaERNS_18TensorIteratorBaseEENKUlvE_clEvENKUlvE_clEvEUldE_NS0_6memory8policies11unroll_baseILi256ESt5arrayIPcLm2EE23TrivialOffsetCalculatorILi1EjESF_NS8_15LoadWithoutCastENS8_16StoreWithoutCastELi4ELi1EEEEEvT0_T1_.has_indirect_call, 0
	.section	.AMDGPU.csdata,"",@progbits
; Function info:
; codeLenInByte = 24588
; TotalNumSgprs: 54
; NumVgprs: 68
; NumAgprs: 0
; TotalNumVgprs: 68
; ScratchSize: 0
; MemoryBound: 0
	.text
	.p2align	2                               ; -- Begin function _ZN2at6native25elementwise_kernel_helperILb0EZZZNS0_12_GLOBAL__N_119airy_ai_kernel_cudaERNS_18TensorIteratorBaseEENKUlvE_clEvENKUlvE_clEvEUldE_NS0_6memory8policies10vectorizedILi4ESt5arrayIPcLm2EELi4EEEEEvT0_T1_
	.type	_ZN2at6native25elementwise_kernel_helperILb0EZZZNS0_12_GLOBAL__N_119airy_ai_kernel_cudaERNS_18TensorIteratorBaseEENKUlvE_clEvENKUlvE_clEvEUldE_NS0_6memory8policies10vectorizedILi4ESt5arrayIPcLm2EELi4EEEEEvT0_T1_,@function
_ZN2at6native25elementwise_kernel_helperILb0EZZZNS0_12_GLOBAL__N_119airy_ai_kernel_cudaERNS_18TensorIteratorBaseEENKUlvE_clEvENKUlvE_clEvEUldE_NS0_6memory8policies10vectorizedILi4ESt5arrayIPcLm2EELi4EEEEEvT0_T1_: ; @_ZN2at6native25elementwise_kernel_helperILb0EZZZNS0_12_GLOBAL__N_119airy_ai_kernel_cudaERNS_18TensorIteratorBaseEENKUlvE_clEvENKUlvE_clEvEUldE_NS0_6memory8policies10vectorizedILi4ESt5arrayIPcLm2EELi4EEEEEvT0_T1_
; %bb.0:
	s_waitcnt vmcnt(0) expcnt(0) lgkmcnt(0)
	s_lshl_b32 s2, s12, 10
	s_ashr_i32 s3, s2, 31
	v_and_b32_e32 v4, 0x3ff, v31
	v_lshl_add_u64 v[2:3], s[2:3], 3, v[2:3]
	v_mov_b32_e32 v15, 0
	v_lshlrev_b32_e32 v14, 5, v4
	v_lshl_add_u64 v[2:3], v[2:3], 0, v[14:15]
	flat_load_dwordx4 v[10:13], v[2:3]
	flat_load_dwordx4 v[6:9], v[2:3] offset:16
	s_mov_b32 s4, 0
	s_mov_b32 s5, 0x7ff00000
	v_mov_b32_e32 v4, 0
	v_mov_b32_e32 v2, 0
	;; [unrolled: 1-line block ×4, first 2 shown]
	s_waitcnt vmcnt(0) lgkmcnt(0)
	v_cmp_neq_f64_e64 s[0:1], |v[10:11]|, s[4:5]
	s_and_saveexec_b64 s[6:7], s[0:1]
	s_cbranch_execz .LBB1_22
; %bb.1:
	s_mov_b32 s0, 0x872b020c
	s_mov_b32 s1, 0x4059f916
	v_cmp_nlt_f64_e32 vcc, s[0:1], v[10:11]
	v_mov_b64_e32 v[2:3], 0
	s_and_saveexec_b64 s[8:9], vcc
	s_cbranch_execz .LBB1_21
; %bb.2:
	s_mov_b32 s1, 0xc000b851
	s_mov_b32 s0, 0xeb851eb8
	v_cmp_ngt_f64_e32 vcc, s[0:1], v[10:11]
	s_and_saveexec_b64 s[10:11], vcc
	s_xor_b64 s[10:11], exec, s[10:11]
	s_cbranch_execz .LBB1_10
; %bb.3:
	s_mov_b32 s1, 0x4000b851
	v_cmp_nle_f64_e64 s[12:13], s[0:1], v[10:11]
	v_cmp_le_f64_e32 vcc, s[0:1], v[10:11]
	v_mov_b64_e32 v[2:3], 0
	s_mov_b64 s[0:1], s[12:13]
	s_and_saveexec_b64 s[14:15], vcc
	s_cbranch_execz .LBB1_5
; %bb.4:
	s_mov_b32 s0, 0
	s_brev_b32 s1, 8
	v_mov_b32_e32 v15, 0x100
	v_cmp_gt_f64_e32 vcc, s[0:1], v[10:11]
	v_mov_b32_e32 v30, 0xffffff80
	v_mov_b32_e32 v31, 0x260
	v_cndmask_b32_e32 v2, 0, v15, vcc
	v_ldexp_f64 v[2:3], v[10:11], v2
	v_rsq_f64_e32 v[16:17], v[2:3]
	v_add_f64 v[18:19], v[10:11], v[10:11]
	s_mov_b32 s16, 0
	s_mov_b32 s17, 0x40080000
	v_mul_f64 v[20:21], v[2:3], v[16:17]
	v_mul_f64 v[16:17], v[16:17], 0.5
	v_fma_f64 v[22:23], -v[16:17], v[20:21], 0.5
	v_fmac_f64_e32 v[20:21], v[20:21], v[22:23]
	v_fma_f64 v[24:25], -v[20:21], v[20:21], v[2:3]
	v_fmac_f64_e32 v[16:17], v[16:17], v[22:23]
	v_fmac_f64_e32 v[20:21], v[24:25], v[16:17]
	v_fma_f64 v[22:23], -v[20:21], v[20:21], v[2:3]
	v_fmac_f64_e32 v[20:21], v[22:23], v[16:17]
	v_cndmask_b32_e32 v16, 0, v30, vcc
	v_ldexp_f64 v[16:17], v[20:21], v16
	v_cmp_class_f64_e32 vcc, v[2:3], v31
	s_nop 1
	v_cndmask_b32_e32 v3, v17, v3, vcc
	v_cndmask_b32_e32 v2, v16, v2, vcc
	v_mul_f64 v[16:17], v[18:19], v[2:3]
	v_div_scale_f64 v[18:19], s[18:19], s[16:17], s[16:17], v[16:17]
	v_rcp_f64_e32 v[20:21], v[18:19]
	s_nop 0
	v_fma_f64 v[22:23], -v[18:19], v[20:21], 1.0
	v_fmac_f64_e32 v[20:21], v[20:21], v[22:23]
	v_fma_f64 v[22:23], -v[18:19], v[20:21], 1.0
	v_fmac_f64_e32 v[20:21], v[20:21], v[22:23]
	v_div_scale_f64 v[22:23], vcc, v[16:17], s[16:17], v[16:17]
	v_mul_f64 v[24:25], v[22:23], v[20:21]
	v_fma_f64 v[18:19], -v[18:19], v[24:25], v[22:23]
	s_nop 1
	v_div_fmas_f64 v[18:19], v[18:19], v[20:21], v[24:25]
	v_div_fixup_f64 v[16:17], v[18:19], s[16:17], v[16:17]
	v_div_scale_f64 v[18:19], s[16:17], v[16:17], v[16:17], 1.0
	v_rcp_f64_e32 v[20:21], v[18:19]
	s_nop 0
	v_fma_f64 v[22:23], -v[18:19], v[20:21], 1.0
	v_fmac_f64_e32 v[20:21], v[20:21], v[22:23]
	v_fma_f64 v[22:23], -v[18:19], v[20:21], 1.0
	v_fmac_f64_e32 v[20:21], v[20:21], v[22:23]
	v_div_scale_f64 v[22:23], vcc, 1.0, v[16:17], 1.0
	v_mul_f64 v[24:25], v[22:23], v[20:21]
	v_fma_f64 v[18:19], -v[18:19], v[24:25], v[22:23]
	v_mov_b32_e32 v22, 0x871a9067
	s_nop 0
	v_div_fmas_f64 v[18:19], v[18:19], v[20:21], v[24:25]
	v_div_fixup_f64 v[18:19], v[18:19], v[16:17], 1.0
	v_mov_b32_e32 v20, 0x2537b658
	v_mov_b32_e32 v21, 0x3fd62dae
	v_fmac_f64_e32 v[20:21], 0, v[18:19]
	v_mov_b32_e32 v23, 0x402803e3
	v_fmac_f64_e32 v[22:23], v[18:19], v[20:21]
	v_mov_b32_e32 v20, 0xde2e1e3
	v_mov_b32_e32 v21, 0x405311e5
	v_fmac_f64_e32 v[20:21], v[18:19], v[22:23]
	v_mov_b32_e32 v22, 0xee40073c
	;; [unrolled: 3-line block ×12, first 2 shown]
	v_mov_b32_e32 v23, 0x402c311b
	v_fmac_f64_e32 v[22:23], v[18:19], v[24:25]
	v_fma_f64 v[22:23], v[18:19], v[22:23], 1.0
	v_fma_f64 v[18:19], v[18:19], v[20:21], 1.0
	v_div_scale_f64 v[20:21], s[16:17], v[22:23], v[22:23], v[18:19]
	v_rcp_f64_e32 v[24:25], v[20:21]
	s_nop 0
	v_fma_f64 v[26:27], -v[20:21], v[24:25], 1.0
	v_fmac_f64_e32 v[24:25], v[24:25], v[26:27]
	v_fma_f64 v[26:27], -v[20:21], v[24:25], 1.0
	v_fmac_f64_e32 v[24:25], v[24:25], v[26:27]
	v_div_scale_f64 v[26:27], vcc, v[18:19], v[22:23], v[18:19]
	v_mul_f64 v[28:29], v[26:27], v[24:25]
	v_fma_f64 v[20:21], -v[20:21], v[28:29], v[26:27]
	s_nop 1
	v_div_fmas_f64 v[20:21], v[20:21], v[24:25], v[28:29]
	v_cmp_gt_f64_e32 vcc, s[0:1], v[2:3]
	v_div_fixup_f64 v[18:19], v[20:21], v[22:23], v[18:19]
	s_mov_b32 s0, 0x50429b6d
	v_cndmask_b32_e32 v15, 0, v15, vcc
	v_ldexp_f64 v[2:3], v[2:3], v15
	v_rsq_f64_e32 v[20:21], v[2:3]
	s_mov_b32 s1, 0x3fe20dd7
	v_mul_f64 v[18:19], v[18:19], s[0:1]
	v_cndmask_b32_e32 v15, 0, v30, vcc
	v_mul_f64 v[22:23], v[2:3], v[20:21]
	v_mul_f64 v[20:21], v[20:21], 0.5
	v_fma_f64 v[24:25], -v[20:21], v[22:23], 0.5
	v_fmac_f64_e32 v[22:23], v[22:23], v[24:25]
	v_fma_f64 v[26:27], -v[22:23], v[22:23], v[2:3]
	v_fmac_f64_e32 v[20:21], v[20:21], v[24:25]
	v_fmac_f64_e32 v[22:23], v[26:27], v[20:21]
	v_fma_f64 v[24:25], -v[22:23], v[22:23], v[2:3]
	v_fmac_f64_e32 v[22:23], v[24:25], v[20:21]
	s_mov_b32 s0, 0x652b82fe
	v_ldexp_f64 v[20:21], v[22:23], v15
	v_cmp_class_f64_e32 vcc, v[2:3], v31
	s_mov_b32 s1, 0x3ff71547
	v_mov_b32_e32 v24, 0xfca7ab0c
	v_cndmask_b32_e32 v3, v21, v3, vcc
	v_cndmask_b32_e32 v2, v20, v2, vcc
	v_mul_f64 v[20:21], v[16:17], s[0:1]
	s_mov_b32 s0, 0xfefa39ef
	v_rndne_f64_e32 v[20:21], v[20:21]
	s_mov_b32 s1, 0xbfe62e42
	v_fma_f64 v[22:23], s[0:1], v[20:21], v[16:17]
	s_mov_b32 s0, 0x3b39803f
	s_mov_b32 s1, 0xbc7abc9e
	v_fmac_f64_e32 v[22:23], s[0:1], v[20:21]
	s_mov_b32 s0, 0x6a5dcb37
	v_mov_b32_e32 v25, 0x3e928af3
	s_mov_b32 s1, 0x3e5ade15
	v_fmac_f64_e32 v[24:25], s[0:1], v[22:23]
	v_mov_b32_e32 v26, 0x623fde64
	v_mov_b32_e32 v27, 0x3ec71dee
	v_fmac_f64_e32 v[26:27], v[22:23], v[24:25]
	v_mov_b32_e32 v24, 0x7c89e6b0
	v_mov_b32_e32 v25, 0x3efa0199
	;; [unrolled: 3-line block ×8, first 2 shown]
	s_mov_b32 s0, 0
	v_fmac_f64_e32 v[24:25], v[22:23], v[26:27]
	s_mov_b32 s1, 0x40900000
	v_fma_f64 v[24:25], v[22:23], v[24:25], 1.0
	v_cmp_nlt_f64_e32 vcc, s[0:1], v[16:17]
	s_mov_b32 s0, 0
	v_fma_f64 v[22:23], v[22:23], v[24:25], 1.0
	v_cvt_i32_f64_e32 v15, v[20:21]
	s_mov_b32 s1, 0xc090cc00
	v_ldexp_f64 v[20:21], v[22:23], v15
	v_mov_b32_e32 v15, 0x7ff00000
	v_cmp_ngt_f64_e64 s[0:1], s[0:1], v[16:17]
	v_cndmask_b32_e32 v15, v15, v21, vcc
	s_and_b64 vcc, s[0:1], vcc
	v_add_f64 v[2:3], v[2:3], v[2:3]
	v_cndmask_b32_e64 v17, 0, v15, s[0:1]
	v_cndmask_b32_e32 v16, 0, v20, vcc
	v_mul_f64 v[2:3], v[2:3], v[16:17]
	v_div_scale_f64 v[16:17], s[0:1], v[2:3], v[2:3], v[18:19]
	v_rcp_f64_e32 v[20:21], v[16:17]
	s_mov_b32 s0, 0xfd0a823a
	s_mov_b32 s1, 0x4020a402
	v_fma_f64 v[22:23], -v[16:17], v[20:21], 1.0
	v_fmac_f64_e32 v[20:21], v[20:21], v[22:23]
	v_fma_f64 v[22:23], -v[16:17], v[20:21], 1.0
	v_fmac_f64_e32 v[20:21], v[20:21], v[22:23]
	v_div_scale_f64 v[22:23], vcc, v[18:19], v[2:3], v[18:19]
	v_mul_f64 v[24:25], v[22:23], v[20:21]
	v_fma_f64 v[16:17], -v[16:17], v[24:25], v[22:23]
	s_nop 1
	v_div_fmas_f64 v[16:17], v[16:17], v[20:21], v[24:25]
	v_cmp_nlt_f64_e32 vcc, s[0:1], v[10:11]
	s_andn2_b64 s[0:1], s[12:13], exec
	s_and_b64 s[16:17], vcc, exec
	v_div_fixup_f64 v[2:3], v[16:17], v[2:3], v[18:19]
	s_or_b64 s[0:1], s[0:1], s[16:17]
.LBB1_5:
	s_or_b64 exec, exec, s[14:15]
	s_and_saveexec_b64 s[14:15], s[0:1]
	s_cbranch_execz .LBB1_9
; %bb.6:
	v_mul_f64 v[16:17], v[10:11], v[10:11]
	s_mov_b32 s18, 0
	v_mul_f64 v[18:19], v[10:11], v[16:17]
	v_mov_b64_e32 v[24:25], 1.0
	s_mov_b64 s[16:17], 0
	v_mov_b64_e32 v[22:23], 1.0
	s_mov_b32 s19, 0x3cb00000
	v_mov_b64_e32 v[20:21], v[10:11]
	v_mov_b64_e32 v[16:17], 1.0
.LBB1_7:                                ; =>This Inner Loop Header: Depth=1
	v_mul_f64 v[24:25], v[18:19], v[24:25]
	v_add_f64 v[26:27], v[22:23], 1.0
	v_mul_f64 v[10:11], v[18:19], v[10:11]
	v_div_scale_f64 v[28:29], s[0:1], v[26:27], v[26:27], v[24:25]
	v_add_f64 v[32:33], v[26:27], 1.0
	v_rcp_f64_e32 v[34:35], v[28:29]
	v_div_scale_f64 v[36:37], s[0:1], v[32:33], v[32:33], v[10:11]
	v_rcp_f64_e32 v[48:49], v[36:37]
	v_fma_f64 v[50:51], -v[28:29], v[34:35], 1.0
	v_fmac_f64_e32 v[34:35], v[34:35], v[50:51]
	v_fma_f64 v[52:53], -v[28:29], v[34:35], 1.0
	v_fma_f64 v[50:51], -v[36:37], v[48:49], 1.0
	v_fmac_f64_e32 v[48:49], v[48:49], v[50:51]
	v_div_scale_f64 v[30:31], vcc, v[24:25], v[26:27], v[24:25]
	v_fmac_f64_e32 v[34:35], v[34:35], v[52:53]
	v_fma_f64 v[50:51], -v[36:37], v[48:49], 1.0
	v_div_scale_f64 v[38:39], s[0:1], v[10:11], v[32:33], v[10:11]
	v_mul_f64 v[52:53], v[30:31], v[34:35]
	v_fmac_f64_e32 v[48:49], v[48:49], v[50:51]
	v_fma_f64 v[28:29], -v[28:29], v[52:53], v[30:31]
	v_mul_f64 v[30:31], v[38:39], v[48:49]
	v_div_fmas_f64 v[28:29], v[28:29], v[34:35], v[52:53]
	v_fma_f64 v[34:35], -v[36:37], v[30:31], v[38:39]
	s_mov_b64 vcc, s[0:1]
	v_div_fixup_f64 v[24:25], v[28:29], v[26:27], v[24:25]
	v_div_fmas_f64 v[26:27], v[34:35], v[48:49], v[30:31]
	v_div_fixup_f64 v[10:11], v[26:27], v[32:33], v[10:11]
	v_div_scale_f64 v[26:27], s[0:1], v[32:33], v[32:33], v[24:25]
	v_add_f64 v[22:23], v[32:33], 1.0
	v_rcp_f64_e32 v[30:31], v[26:27]
	v_div_scale_f64 v[34:35], s[0:1], v[22:23], v[22:23], v[10:11]
	v_rcp_f64_e32 v[38:39], v[34:35]
	v_fma_f64 v[48:49], -v[26:27], v[30:31], 1.0
	v_fmac_f64_e32 v[30:31], v[30:31], v[48:49]
	v_fma_f64 v[50:51], -v[26:27], v[30:31], 1.0
	v_fma_f64 v[48:49], -v[34:35], v[38:39], 1.0
	v_div_scale_f64 v[28:29], vcc, v[24:25], v[32:33], v[24:25]
	v_fmac_f64_e32 v[38:39], v[38:39], v[48:49]
	v_fmac_f64_e32 v[30:31], v[30:31], v[50:51]
	v_fma_f64 v[48:49], -v[34:35], v[38:39], 1.0
	v_mul_f64 v[50:51], v[28:29], v[30:31]
	v_div_scale_f64 v[36:37], s[0:1], v[10:11], v[22:23], v[10:11]
	v_fmac_f64_e32 v[38:39], v[38:39], v[48:49]
	v_fma_f64 v[26:27], -v[26:27], v[50:51], v[28:29]
	v_mul_f64 v[28:29], v[36:37], v[38:39]
	v_div_fmas_f64 v[26:27], v[26:27], v[30:31], v[50:51]
	v_fma_f64 v[30:31], -v[34:35], v[28:29], v[36:37]
	v_div_fixup_f64 v[24:25], v[26:27], v[32:33], v[24:25]
	s_mov_b64 vcc, s[0:1]
	v_div_fmas_f64 v[26:27], v[30:31], v[38:39], v[28:29]
	v_add_f64 v[16:17], v[16:17], v[24:25]
	v_div_fixup_f64 v[10:11], v[26:27], v[22:23], v[10:11]
	v_div_scale_f64 v[26:27], s[0:1], v[16:17], v[16:17], v[24:25]
	v_rcp_f64_e32 v[28:29], v[26:27]
	v_div_scale_f64 v[30:31], vcc, v[24:25], v[16:17], v[24:25]
	v_add_f64 v[20:21], v[20:21], v[10:11]
	v_fma_f64 v[32:33], -v[26:27], v[28:29], 1.0
	v_fmac_f64_e32 v[28:29], v[28:29], v[32:33]
	v_fma_f64 v[32:33], -v[26:27], v[28:29], 1.0
	v_fmac_f64_e32 v[28:29], v[28:29], v[32:33]
	v_mul_f64 v[32:33], v[30:31], v[28:29]
	v_fma_f64 v[26:27], -v[26:27], v[32:33], v[30:31]
	v_div_fmas_f64 v[26:27], v[26:27], v[28:29], v[32:33]
	v_div_fixup_f64 v[26:27], v[26:27], v[16:17], v[24:25]
	v_cmp_ngt_f64_e64 s[0:1], |v[26:27]|, s[18:19]
	s_or_b64 s[16:17], s[0:1], s[16:17]
	s_andn2_b64 exec, exec, s[16:17]
	s_cbranch_execnz .LBB1_7
; %bb.8:
	s_or_b64 exec, exec, s[16:17]
	s_mov_b32 s0, 0x42b70f8b
	s_mov_b32 s1, 0xbfd0907f
	v_mul_f64 v[18:19], v[20:21], s[0:1]
	s_mov_b32 s0, 0x962715b8
	s_mov_b32 s1, 0x3fd6b8c7
	v_fmac_f64_e32 v[18:19], s[0:1], v[16:17]
	v_cndmask_b32_e64 v3, v3, v19, s[12:13]
	v_cndmask_b32_e64 v2, v2, v18, s[12:13]
.LBB1_9:
	s_or_b64 exec, exec, s[14:15]
.LBB1_10:
	s_andn2_saveexec_b64 s[10:11], s[10:11]
	s_cbranch_execz .LBB1_20
; %bb.11:
	s_mov_b32 s0, 0
	s_brev_b32 s1, 9
	v_mov_b32_e32 v2, 0x100
	v_cmp_lt_f64_e32 vcc, s[0:1], v[10:11]
	v_mov_b32_e32 v15, 0xffffff80
	s_mov_b32 s12, 0
	v_cndmask_b32_e32 v2, 0, v2, vcc
	v_ldexp_f64 v[2:3], -v[10:11], v2
	v_rsq_f64_e32 v[16:17], v[2:3]
	v_cndmask_b32_e32 v15, 0, v15, vcc
	v_mul_f64 v[10:11], v[10:11], -2.0
	s_mov_b32 s13, 0x40080000
	v_mul_f64 v[18:19], v[2:3], v[16:17]
	v_mul_f64 v[16:17], v[16:17], 0.5
	v_fma_f64 v[20:21], -v[16:17], v[18:19], 0.5
	v_fmac_f64_e32 v[18:19], v[18:19], v[20:21]
	v_fma_f64 v[22:23], -v[18:19], v[18:19], v[2:3]
	v_fmac_f64_e32 v[16:17], v[16:17], v[20:21]
	v_fmac_f64_e32 v[18:19], v[22:23], v[16:17]
	v_fma_f64 v[20:21], -v[18:19], v[18:19], v[2:3]
	v_fmac_f64_e32 v[18:19], v[20:21], v[16:17]
	v_ldexp_f64 v[16:17], v[18:19], v15
	v_mov_b32_e32 v15, 0x260
	v_cmp_class_f64_e32 vcc, v[2:3], v15
	s_mov_b32 s15, 0x3fe921fb
	s_mov_b32 s14, 0x54442d18
	v_cndmask_b32_e32 v3, v17, v3, vcc
	v_cndmask_b32_e32 v2, v16, v2, vcc
	v_mul_f64 v[10:11], v[10:11], v[2:3]
	v_div_scale_f64 v[16:17], s[0:1], s[12:13], s[12:13], v[10:11]
	v_rcp_f64_e32 v[18:19], v[16:17]
	s_movk_i32 s0, 0xff80
                                        ; implicit-def: $vgpr32
                                        ; implicit-def: $vgpr24_vgpr25
	v_fma_f64 v[20:21], -v[16:17], v[18:19], 1.0
	v_fmac_f64_e32 v[18:19], v[18:19], v[20:21]
	v_fma_f64 v[20:21], -v[16:17], v[18:19], 1.0
	v_fmac_f64_e32 v[18:19], v[18:19], v[20:21]
	v_div_scale_f64 v[20:21], vcc, v[10:11], s[12:13], v[10:11]
	v_mul_f64 v[22:23], v[20:21], v[18:19]
	v_fma_f64 v[16:17], -v[16:17], v[22:23], v[20:21]
	s_nop 1
	v_div_fmas_f64 v[16:17], v[16:17], v[18:19], v[22:23]
	v_div_fixup_f64 v[20:21], v[16:17], s[12:13], v[10:11]
	s_mov_b32 s12, 0
	v_add_f64 v[10:11], v[20:21], s[14:15]
	s_mov_b32 s13, 0x41d00000
	v_cmp_nlt_f64_e64 s[12:13], |v[10:11]|, s[12:13]
	v_trig_preop_f64 v[30:31], |v[10:11]|, 0
	v_trig_preop_f64 v[28:29], |v[10:11]|, 1
	;; [unrolled: 1-line block ×3, first 2 shown]
                                        ; implicit-def: $vgpr22_vgpr23
	s_and_saveexec_b64 s[16:17], s[12:13]
	s_xor_b64 s[16:17], exec, s[16:17]
	s_cbranch_execz .LBB1_13
; %bb.12:
	s_mov_b32 s18, 0
	s_mov_b32 s19, 0x7b000000
	v_and_b32_e32 v15, 0x7fffffff, v11
	v_ldexp_f64 v[16:17], |v[10:11]|, s0
	v_cmp_ge_f64_e64 vcc, |v[10:11]|, s[18:19]
	s_mov_b32 s0, 0
	s_mov_b32 s1, 0x7ff00000
	v_cndmask_b32_e32 v17, v15, v17, vcc
	v_cndmask_b32_e32 v16, v10, v16, vcc
	v_mul_f64 v[22:23], v[30:31], v[16:17]
	v_mul_f64 v[18:19], v[28:29], v[16:17]
	v_fma_f64 v[24:25], v[30:31], v[16:17], -v[22:23]
	v_add_f64 v[32:33], v[18:19], v[24:25]
	v_add_f64 v[48:49], v[32:33], -v[18:19]
	v_add_f64 v[24:25], v[24:25], -v[48:49]
	;; [unrolled: 1-line block ×4, first 2 shown]
	v_add_f64 v[24:25], v[24:25], v[48:49]
	v_fma_f64 v[18:19], v[28:29], v[16:17], -v[18:19]
	v_mul_f64 v[48:49], v[26:27], v[16:17]
	v_add_f64 v[50:51], v[48:49], v[18:19]
	v_add_f64 v[34:35], v[22:23], v[32:33]
	;; [unrolled: 1-line block ×3, first 2 shown]
	v_ldexp_f64 v[36:37], v[34:35], -2
	v_add_f64 v[22:23], v[34:35], -v[22:23]
	v_add_f64 v[34:35], v[52:53], -v[50:51]
	;; [unrolled: 1-line block ×5, first 2 shown]
	v_add_f64 v[24:25], v[24:25], v[34:35]
	v_add_f64 v[34:35], v[50:51], -v[48:49]
	v_add_f64 v[18:19], v[18:19], -v[34:35]
	;; [unrolled: 1-line block ×5, first 2 shown]
	v_add_f64 v[18:19], v[18:19], v[34:35]
	v_fract_f64_e32 v[38:39], v[36:37]
	v_add_f64 v[32:33], v[22:23], v[52:53]
	v_add_f64 v[18:19], v[18:19], v[24:25]
	v_fma_f64 v[16:17], v[26:27], v[16:17], -v[48:49]
	v_add_f64 v[22:23], v[32:33], -v[22:23]
	v_add_f64 v[16:17], v[16:17], v[18:19]
	v_ldexp_f64 v[18:19], v[38:39], 2
	v_cmp_neq_f64_e64 vcc, |v[36:37]|, s[0:1]
	v_add_f64 v[22:23], v[52:53], -v[22:23]
	v_add_f64 v[16:17], v[22:23], v[16:17]
	v_cndmask_b32_e32 v19, 0, v19, vcc
	v_cndmask_b32_e32 v18, 0, v18, vcc
	v_add_f64 v[22:23], v[32:33], v[18:19]
	v_mov_b32_e32 v15, 0x40100000
	v_cmp_gt_f64_e32 vcc, 0, v[22:23]
	v_mov_b32_e32 v22, 0
	s_mov_b32 s15, 0x3ff921fb
	v_cndmask_b32_e32 v23, 0, v15, vcc
	v_add_f64 v[18:19], v[18:19], v[22:23]
	v_add_f64 v[24:25], v[32:33], v[18:19]
	v_cvt_i32_f64_e32 v15, v[24:25]
	v_cvt_f64_i32_e32 v[24:25], v15
	v_add_f64 v[18:19], v[18:19], -v[24:25]
	v_add_f64 v[24:25], v[32:33], v[18:19]
	v_add_f64 v[18:19], v[24:25], -v[18:19]
	v_cmp_le_f64_e32 vcc, 0.5, v[24:25]
	v_add_f64 v[18:19], v[32:33], -v[18:19]
	v_add_f64 v[16:17], v[16:17], v[18:19]
	v_addc_co_u32_e64 v32, s[0:1], 0, v15, vcc
	v_mov_b32_e32 v15, 0x3ff00000
	v_cndmask_b32_e32 v23, 0, v15, vcc
	v_add_f64 v[18:19], v[24:25], -v[22:23]
	v_add_f64 v[22:23], v[18:19], v[16:17]
	v_add_f64 v[18:19], v[22:23], -v[18:19]
	v_add_f64 v[16:17], v[16:17], -v[18:19]
	v_mul_f64 v[18:19], v[22:23], s[14:15]
	s_mov_b32 s0, 0x33145c07
	v_fma_f64 v[24:25], v[22:23], s[14:15], -v[18:19]
	s_mov_b32 s1, 0x3c91a626
	v_fmac_f64_e32 v[24:25], s[0:1], v[22:23]
	v_fmac_f64_e32 v[24:25], s[14:15], v[16:17]
	v_add_f64 v[22:23], v[18:19], v[24:25]
	v_add_f64 v[16:17], v[22:23], -v[18:19]
	v_add_f64 v[24:25], v[24:25], -v[16:17]
	s_andn2_saveexec_b64 s[0:1], s[16:17]
	s_cbranch_execz .LBB1_15
	s_branch .LBB1_14
.LBB1_13:
	s_andn2_saveexec_b64 s[0:1], s[16:17]
	s_cbranch_execz .LBB1_15
.LBB1_14:
	s_mov_b32 s14, 0x6dc9c883
	s_mov_b32 s15, 0x3fe45f30
	v_mul_f64 v[16:17], |v[10:11]|, s[14:15]
	s_mov_b32 s14, 0x54442d18
	v_rndne_f64_e32 v[16:17], v[16:17]
	s_mov_b32 s15, 0xbff921fb
	v_fma_f64 v[18:19], v[16:17], s[14:15], |v[10:11]|
	s_mov_b32 s15, 0xbc91a626
	s_mov_b32 s14, 0x33145c00
	v_mul_f64 v[22:23], v[16:17], s[14:15]
	v_add_f64 v[34:35], v[18:19], v[22:23]
	v_fma_f64 v[24:25], s[14:15], v[16:17], v[18:19]
	s_mov_b32 s15, 0x3c91a626
	v_add_f64 v[18:19], v[18:19], -v[34:35]
	v_fma_f64 v[32:33], s[14:15], v[16:17], v[22:23]
	v_add_f64 v[18:19], v[18:19], v[22:23]
	v_add_f64 v[22:23], v[34:35], -v[24:25]
	v_add_f64 v[18:19], v[22:23], v[18:19]
	s_mov_b32 s14, 0x252049c0
	v_add_f64 v[18:19], v[18:19], -v[32:33]
	s_mov_b32 s15, 0xb97b839a
	v_fmac_f64_e32 v[18:19], s[14:15], v[16:17]
	v_add_f64 v[22:23], v[24:25], v[18:19]
	v_add_f64 v[24:25], v[22:23], -v[24:25]
	v_add_f64 v[24:25], v[18:19], -v[24:25]
	v_cvt_i32_f64_e32 v32, v[16:17]
.LBB1_15:
	s_or_b64 exec, exec, s[0:1]
                                        ; implicit-def: $vgpr15
                                        ; implicit-def: $vgpr16_vgpr17
                                        ; implicit-def: $vgpr18_vgpr19
	s_and_saveexec_b64 s[0:1], s[12:13]
	s_xor_b64 s[12:13], exec, s[0:1]
	s_cbranch_execz .LBB1_17
; %bb.16:
	s_mov_b32 s0, 0
	s_mov_b32 s1, 0x7b000000
	s_movk_i32 s14, 0xff80
	v_and_b32_e32 v15, 0x7fffffff, v11
	v_ldexp_f64 v[16:17], |v[10:11]|, s14
	v_cmp_ge_f64_e64 vcc, |v[10:11]|, s[0:1]
	s_mov_b32 s0, 0
	s_mov_b32 s1, 0x7ff00000
	v_cndmask_b32_e32 v17, v15, v17, vcc
	v_cndmask_b32_e32 v16, v10, v16, vcc
	v_mul_f64 v[34:35], v[30:31], v[16:17]
	v_mul_f64 v[18:19], v[28:29], v[16:17]
	v_fma_f64 v[30:31], v[30:31], v[16:17], -v[34:35]
	v_add_f64 v[36:37], v[18:19], v[30:31]
	v_add_f64 v[52:53], v[36:37], -v[18:19]
	v_add_f64 v[30:31], v[30:31], -v[52:53]
	;; [unrolled: 1-line block ×4, first 2 shown]
	v_fma_f64 v[18:19], v[28:29], v[16:17], -v[18:19]
	v_mul_f64 v[28:29], v[26:27], v[16:17]
	v_add_f64 v[30:31], v[30:31], v[52:53]
	v_add_f64 v[52:53], v[28:29], v[18:19]
	;; [unrolled: 1-line block ×4, first 2 shown]
	v_ldexp_f64 v[48:49], v[38:39], -2
	v_add_f64 v[34:35], v[38:39], -v[34:35]
	v_add_f64 v[38:39], v[54:55], -v[52:53]
	;; [unrolled: 1-line block ×5, first 2 shown]
	v_add_f64 v[30:31], v[30:31], v[38:39]
	v_add_f64 v[38:39], v[52:53], -v[28:29]
	v_add_f64 v[18:19], v[18:19], -v[38:39]
	;; [unrolled: 1-line block ×4, first 2 shown]
	v_add_f64 v[18:19], v[18:19], v[38:39]
	v_fract_f64_e32 v[50:51], v[48:49]
	v_add_f64 v[18:19], v[18:19], v[30:31]
	v_fma_f64 v[16:17], v[26:27], v[16:17], -v[28:29]
	v_add_f64 v[34:35], v[36:37], -v[34:35]
	v_add_f64 v[16:17], v[16:17], v[18:19]
	v_ldexp_f64 v[18:19], v[50:51], 2
	v_cmp_neq_f64_e64 vcc, |v[48:49]|, s[0:1]
	v_add_f64 v[36:37], v[34:35], v[54:55]
	v_mov_b32_e32 v15, 0x40100000
	v_cndmask_b32_e32 v19, 0, v19, vcc
	v_cndmask_b32_e32 v18, 0, v18, vcc
	v_add_f64 v[26:27], v[36:37], v[18:19]
	v_cmp_gt_f64_e32 vcc, 0, v[26:27]
	v_mov_b32_e32 v26, 0
	v_add_f64 v[34:35], v[36:37], -v[34:35]
	v_cndmask_b32_e32 v27, 0, v15, vcc
	v_add_f64 v[18:19], v[18:19], v[26:27]
	v_add_f64 v[28:29], v[36:37], v[18:19]
	v_cvt_i32_f64_e32 v15, v[28:29]
	v_cvt_f64_i32_e32 v[28:29], v15
	v_add_f64 v[18:19], v[18:19], -v[28:29]
	v_add_f64 v[28:29], v[36:37], v[18:19]
	v_add_f64 v[34:35], v[54:55], -v[34:35]
	v_add_f64 v[18:19], v[28:29], -v[18:19]
	v_add_f64 v[16:17], v[34:35], v[16:17]
	v_add_f64 v[18:19], v[36:37], -v[18:19]
	v_add_f64 v[16:17], v[16:17], v[18:19]
	v_cmp_le_f64_e32 vcc, 0.5, v[28:29]
	v_mov_b32_e32 v18, 0x3ff00000
	s_mov_b32 s14, 0x33145c07
	v_cndmask_b32_e32 v27, 0, v18, vcc
	v_addc_co_u32_e64 v15, s[0:1], 0, v15, vcc
	v_add_f64 v[18:19], v[28:29], -v[26:27]
	v_add_f64 v[26:27], v[18:19], v[16:17]
	s_mov_b32 s0, 0x54442d18
	v_add_f64 v[18:19], v[26:27], -v[18:19]
	s_mov_b32 s1, 0x3ff921fb
	v_add_f64 v[16:17], v[16:17], -v[18:19]
	v_mul_f64 v[18:19], v[26:27], s[0:1]
	v_fma_f64 v[28:29], v[26:27], s[0:1], -v[18:19]
	s_mov_b32 s15, 0x3c91a626
	v_fmac_f64_e32 v[28:29], s[14:15], v[26:27]
	v_fmac_f64_e32 v[28:29], s[0:1], v[16:17]
	v_add_f64 v[16:17], v[18:19], v[28:29]
	v_add_f64 v[18:19], v[16:17], -v[18:19]
	v_add_f64 v[18:19], v[28:29], -v[18:19]
	s_andn2_saveexec_b64 s[0:1], s[12:13]
	s_cbranch_execnz .LBB1_18
	s_branch .LBB1_19
.LBB1_17:
	s_andn2_saveexec_b64 s[0:1], s[12:13]
	s_cbranch_execz .LBB1_19
.LBB1_18:
	s_mov_b32 s12, 0x6dc9c883
	s_mov_b32 s13, 0x3fe45f30
	v_mul_f64 v[16:17], |v[10:11]|, s[12:13]
	s_mov_b32 s12, 0x54442d18
	v_rndne_f64_e32 v[26:27], v[16:17]
	s_mov_b32 s13, 0xbff921fb
	v_fma_f64 v[16:17], v[26:27], s[12:13], |v[10:11]|
	s_mov_b32 s13, 0xbc91a626
	s_mov_b32 s12, 0x33145c00
	v_mul_f64 v[28:29], v[26:27], s[12:13]
	v_add_f64 v[34:35], v[16:17], v[28:29]
	v_fma_f64 v[18:19], s[12:13], v[26:27], v[16:17]
	s_mov_b32 s13, 0x3c91a626
	v_add_f64 v[16:17], v[16:17], -v[34:35]
	v_fma_f64 v[30:31], s[12:13], v[26:27], v[28:29]
	v_add_f64 v[16:17], v[16:17], v[28:29]
	v_add_f64 v[28:29], v[34:35], -v[18:19]
	v_add_f64 v[16:17], v[28:29], v[16:17]
	s_mov_b32 s12, 0x252049c0
	v_add_f64 v[28:29], v[16:17], -v[30:31]
	s_mov_b32 s13, 0xb97b839a
	v_fmac_f64_e32 v[28:29], s[12:13], v[26:27]
	v_add_f64 v[16:17], v[18:19], v[28:29]
	v_add_f64 v[18:19], v[16:17], -v[18:19]
	v_add_f64 v[18:19], v[28:29], -v[18:19]
	v_cvt_i32_f64_e32 v15, v[26:27]
.LBB1_19:
	s_or_b64 exec, exec, s[0:1]
	v_div_scale_f64 v[26:27], s[0:1], v[20:21], v[20:21], 1.0
	v_rcp_f64_e32 v[28:29], v[26:27]
	v_div_scale_f64 v[30:31], vcc, 1.0, v[20:21], 1.0
	v_mov_b32_e32 v36, 0xb99518a7
	v_fma_f64 v[34:35], -v[26:27], v[28:29], 1.0
	v_fmac_f64_e32 v[28:29], v[28:29], v[34:35]
	v_fma_f64 v[34:35], -v[26:27], v[28:29], 1.0
	v_fmac_f64_e32 v[28:29], v[28:29], v[34:35]
	v_mul_f64 v[34:35], v[30:31], v[28:29]
	v_fma_f64 v[26:27], -v[26:27], v[34:35], v[30:31]
	v_div_fmas_f64 v[26:27], v[26:27], v[28:29], v[34:35]
	v_div_fixup_f64 v[20:21], v[26:27], v[20:21], 1.0
	v_mul_f64 v[26:27], v[20:21], v[20:21]
	v_mov_b32_e32 v28, 0xd50ae6fb
	v_mov_b32_e32 v29, 0xbfc0db6c
	v_fmac_f64_e32 v[28:29], 0, v[26:27]
	v_mov_b32_e32 v30, 0x98566852
	v_mov_b32_e32 v31, 0xbfe40bee
	v_fmac_f64_e32 v[30:31], v[26:27], v[28:29]
	;; [unrolled: 3-line block ×16, first 2 shown]
	v_mov_b32_e32 v37, 0x3e9e52b9
	v_mul_f64 v[38:39], v[22:23], v[22:23]
	v_fmac_f64_e32 v[36:37], v[26:27], v[34:35]
	v_mov_b32_e32 v34, 0xf68ea2d2
	v_mov_b32_e32 v35, 0xbe52041c
	v_mul_f64 v[28:29], v[38:39], 0.5
	v_fmac_f64_e32 v[34:35], v[26:27], v[30:31]
	v_add_f64 v[30:31], -v[28:29], 1.0
	s_mov_b32 s0, 0x9037ab78
	v_add_f64 v[48:49], -v[30:31], 1.0
	s_mov_b32 s1, 0x3e21eeb6
	s_mov_b32 s12, 0x46cc5e42
	v_add_f64 v[48:49], v[48:49], -v[28:29]
	s_mov_b32 s13, 0xbda907db
	v_mov_b64_e32 v[28:29], s[0:1]
	s_mov_b32 s14, 0xa17f65f6
	v_fma_f64 v[52:53], s[12:13], v[38:39], v[28:29]
	s_mov_b32 s15, 0xbe927e4f
	s_mov_b32 s16, 0x19f4ec90
	v_fma_f64 v[52:53], v[38:39], v[52:53], s[14:15]
	s_mov_b32 s17, 0x3efa01a0
	;; [unrolled: 3-line block ×4, first 2 shown]
	v_mul_f64 v[50:51], v[38:39], v[38:39]
	v_fma_f64 v[52:53], v[38:39], v[52:53], s[20:21]
	v_fma_f64 v[48:49], v[22:23], -v[24:25], v[48:49]
	s_mov_b32 s0, 0xb42fdfa7
	v_fmac_f64_e32 v[48:49], v[50:51], v[52:53]
	s_mov_b32 s1, 0xbe5ae600
	s_mov_b32 s22, 0xf9a43bb8
	v_add_f64 v[48:49], v[30:31], v[48:49]
	s_mov_b32 s23, 0x3de5e0b2
	v_mov_b64_e32 v[30:31], s[0:1]
	s_mov_b32 s24, 0x796cde01
	v_fma_f64 v[50:51], s[22:23], v[38:39], v[30:31]
	s_mov_b32 s25, 0x3ec71de3
	s_mov_b32 s26, 0x19e83e5c
	v_fma_f64 v[50:51], v[38:39], v[50:51], s[24:25]
	s_mov_b32 s27, 0xbf2a01a0
	;; [unrolled: 3-line block ×3, first 2 shown]
	v_fma_f64 v[50:51], v[38:39], v[50:51], s[28:29]
	v_mul_f64 v[52:53], v[22:23], -v[38:39]
	v_mul_f64 v[54:55], v[24:25], 0.5
	v_fmac_f64_e32 v[54:55], v[52:53], v[50:51]
	v_fma_f64 v[24:25], v[38:39], v[54:55], -v[24:25]
	s_mov_b32 s41, 0xbfc55555
	s_mov_b32 s40, s20
	v_fmac_f64_e32 v[24:25], s[40:41], v[52:53]
	v_add_f64 v[22:23], v[22:23], -v[24:25]
	v_and_b32_e32 v24, 1, v32
	v_cmp_eq_u32_e32 vcc, 0, v24
	s_brev_b32 s42, 1
	s_movk_i32 s43, 0x1f8
	v_cndmask_b32_e32 v38, v48, v22, vcc
	v_cndmask_b32_e32 v22, v49, v23, vcc
	v_lshlrev_b32_e32 v23, 30, v32
	v_xor_b32_e32 v23, v23, v11
	v_bitop3_b32 v39, v22, v23, s42 bitop3:0x78
	v_mul_f64 v[22:23], v[26:27], v[34:35]
	v_div_scale_f64 v[24:25], s[0:1], v[36:37], v[36:37], v[22:23]
	v_rcp_f64_e32 v[32:33], v[24:25]
	v_cmp_class_f64_e64 s[0:1], v[10:11], s43
	v_mov_b32_e32 v50, 0x7ff80000
	s_mov_b32 s44, 0
	v_fma_f64 v[34:35], -v[24:25], v[32:33], 1.0
	v_fmac_f64_e32 v[32:33], v[32:33], v[34:35]
	v_fma_f64 v[34:35], -v[24:25], v[32:33], 1.0
	v_fmac_f64_e32 v[32:33], v[32:33], v[34:35]
	v_div_scale_f64 v[34:35], vcc, v[22:23], v[36:37], v[22:23]
	v_cndmask_b32_e64 v10, 0, v38, s[0:1]
	v_cndmask_b32_e64 v11, v50, v39, s[0:1]
	v_mul_f64 v[38:39], v[34:35], v[32:33]
	v_fma_f64 v[24:25], -v[24:25], v[38:39], v[34:35]
	v_div_fmas_f64 v[24:25], v[24:25], v[32:33], v[38:39]
	v_div_fixup_f64 v[22:23], v[24:25], v[36:37], v[22:23]
	v_mov_b32_e32 v24, 0xddcfbbde
	v_mov_b32_e32 v25, 0x3f943525
	v_fmac_f64_e32 v[24:25], 0, v[26:27]
	v_mov_b32_e32 v32, 0x6437b7
	v_mov_b32_e32 v33, 0x3fd907d5
	v_fmac_f64_e32 v[32:33], v[26:27], v[24:25]
	;; [unrolled: 3-line block ×18, first 2 shown]
	v_mov_b32_e32 v34, 0xd603a5a0
	v_mov_b32_e32 v35, 0x3f1a8b61
	s_brev_b32 s45, 8
	v_fmac_f64_e32 v[34:35], v[26:27], v[32:33]
	v_mov_b32_e32 v32, 0x100
	v_cmp_gt_f64_e32 vcc, s[44:45], v[2:3]
	v_mov_b32_e32 v36, 0xdb0724e8
	v_mov_b32_e32 v37, 0x3eb3a845
	v_cndmask_b32_e32 v32, 0, v32, vcc
	v_ldexp_f64 v[2:3], v[2:3], v32
	v_rsq_f64_e32 v[32:33], v[2:3]
	v_fmac_f64_e32 v[36:37], v[26:27], v[34:35]
	s_mov_b32 s44, 0x50429b6d
	s_mov_b32 s45, 0x3fe20dd7
	v_mul_f64 v[34:35], v[2:3], v[32:33]
	v_mul_f64 v[32:33], v[32:33], 0.5
	v_fma_f64 v[38:39], -v[32:33], v[34:35], 0.5
	v_fmac_f64_e32 v[34:35], v[34:35], v[38:39]
	v_fma_f64 v[48:49], -v[34:35], v[34:35], v[2:3]
	v_fmac_f64_e32 v[32:33], v[32:33], v[38:39]
	v_fmac_f64_e32 v[34:35], v[48:49], v[32:33]
	v_fma_f64 v[38:39], -v[34:35], v[34:35], v[2:3]
	v_fmac_f64_e32 v[34:35], v[38:39], v[32:33]
	v_mov_b32_e32 v32, 0xffffff80
	v_cndmask_b32_e32 v32, 0, v32, vcc
	v_ldexp_f64 v[32:33], v[34:35], v32
	v_mov_b32_e32 v34, 0x260
	v_cmp_class_f64_e32 vcc, v[2:3], v34
	v_mov_b32_e32 v38, 0x3dd589d4
	v_mov_b32_e32 v39, 0x3e351fc7
	v_cndmask_b32_e32 v3, v33, v3, vcc
	v_cndmask_b32_e32 v2, v32, v2, vcc
	v_div_scale_f64 v[32:33], s[46:47], v[2:3], v[2:3], s[44:45]
	v_rcp_f64_e32 v[34:35], v[32:33]
	v_fmac_f64_e32 v[38:39], v[26:27], v[36:37]
	v_add_f64 v[22:23], v[22:23], 1.0
	v_fma_f64 v[26:27], -v[32:33], v[34:35], 1.0
	v_fmac_f64_e32 v[34:35], v[34:35], v[26:27]
	v_fma_f64 v[26:27], -v[32:33], v[34:35], 1.0
	v_fmac_f64_e32 v[34:35], v[34:35], v[26:27]
	v_div_scale_f64 v[26:27], vcc, s[44:45], v[2:3], s[44:45]
	v_mul_f64 v[36:37], v[26:27], v[34:35]
	v_fma_f64 v[26:27], -v[32:33], v[36:37], v[26:27]
	s_nop 1
	v_div_fmas_f64 v[26:27], v[26:27], v[34:35], v[36:37]
	v_div_fixup_f64 v[2:3], v[26:27], v[2:3], s[44:45]
	v_mul_f64 v[26:27], v[16:17], v[16:17]
	v_mul_f64 v[32:33], v[26:27], 0.5
	v_fmac_f64_e32 v[28:29], s[12:13], v[26:27]
	v_add_f64 v[34:35], -v[32:33], 1.0
	v_fma_f64 v[28:29], v[26:27], v[28:29], s[14:15]
	v_add_f64 v[36:37], -v[34:35], 1.0
	v_fma_f64 v[28:29], v[26:27], v[28:29], s[16:17]
	v_add_f64 v[32:33], v[36:37], -v[32:33]
	v_fma_f64 v[28:29], v[26:27], v[28:29], s[18:19]
	v_fmac_f64_e32 v[30:31], s[22:23], v[26:27]
	v_mul_f64 v[36:37], v[26:27], v[26:27]
	v_fma_f64 v[28:29], v[26:27], v[28:29], s[20:21]
	v_fma_f64 v[32:33], v[16:17], -v[18:19], v[32:33]
	v_fma_f64 v[30:31], v[26:27], v[30:31], s[24:25]
	v_fmac_f64_e32 v[32:33], v[36:37], v[28:29]
	v_fma_f64 v[30:31], v[26:27], v[30:31], s[26:27]
	v_add_f64 v[28:29], v[34:35], v[32:33]
	v_fma_f64 v[30:31], v[26:27], v[30:31], s[28:29]
	v_mul_f64 v[32:33], v[16:17], -v[26:27]
	v_mul_f64 v[34:35], v[18:19], 0.5
	v_fmac_f64_e32 v[34:35], v[32:33], v[30:31]
	v_fma_f64 v[18:19], v[26:27], v[34:35], -v[18:19]
	v_fmac_f64_e32 v[18:19], s[40:41], v[32:33]
	v_add_f64 v[16:17], v[16:17], -v[18:19]
	v_and_b32_e32 v18, 1, v15
	v_xor_b32_e32 v17, 0x80000000, v17
	v_cmp_eq_u32_e32 vcc, 0, v18
	v_lshlrev_b32_e32 v15, 30, v15
	s_nop 0
	v_cndmask_b32_e32 v26, v16, v28, vcc
	v_cndmask_b32_e32 v27, v17, v29, vcc
	v_mul_f64 v[16:17], v[20:21], v[24:25]
	v_div_scale_f64 v[18:19], s[12:13], v[38:39], v[38:39], v[16:17]
	v_rcp_f64_e32 v[20:21], v[18:19]
	v_bitop3_b32 v15, v27, v15, s42 bitop3:0x78
	v_cndmask_b32_e64 v24, 0, v26, s[0:1]
	v_cndmask_b32_e64 v25, v50, v15, s[0:1]
	v_fma_f64 v[26:27], -v[18:19], v[20:21], 1.0
	v_fmac_f64_e32 v[20:21], v[20:21], v[26:27]
	v_fma_f64 v[26:27], -v[18:19], v[20:21], 1.0
	v_fmac_f64_e32 v[20:21], v[20:21], v[26:27]
	v_div_scale_f64 v[26:27], vcc, v[16:17], v[38:39], v[16:17]
	v_mul_f64 v[28:29], v[26:27], v[20:21]
	v_fma_f64 v[18:19], -v[18:19], v[28:29], v[26:27]
	s_nop 1
	v_div_fmas_f64 v[18:19], v[18:19], v[20:21], v[28:29]
	v_div_fixup_f64 v[16:17], v[18:19], v[38:39], v[16:17]
	v_mul_f64 v[16:17], v[16:17], v[24:25]
	v_fma_f64 v[10:11], v[22:23], v[10:11], -v[16:17]
	v_mul_f64 v[2:3], v[2:3], v[10:11]
.LBB1_20:
	s_or_b64 exec, exec, s[10:11]
.LBB1_21:
	s_or_b64 exec, exec, s[8:9]
.LBB1_22:
	s_or_b64 exec, exec, s[6:7]
	v_cmp_neq_f64_e64 s[0:1], |v[12:13]|, s[4:5]
	s_and_saveexec_b64 s[4:5], s[0:1]
	s_cbranch_execz .LBB1_44
; %bb.23:
	s_mov_b32 s0, 0x872b020c
	s_mov_b32 s1, 0x4059f916
	v_cmp_nlt_f64_e32 vcc, s[0:1], v[12:13]
	v_mov_b64_e32 v[4:5], 0
	s_and_saveexec_b64 s[6:7], vcc
	s_cbranch_execz .LBB1_43
; %bb.24:
	s_mov_b32 s1, 0xc000b851
	s_mov_b32 s0, 0xeb851eb8
	v_cmp_ngt_f64_e32 vcc, s[0:1], v[12:13]
	s_and_saveexec_b64 s[8:9], vcc
	s_xor_b64 s[8:9], exec, s[8:9]
	s_cbranch_execz .LBB1_32
; %bb.25:
	s_mov_b32 s1, 0x4000b851
	v_cmp_nle_f64_e64 s[10:11], s[0:1], v[12:13]
	v_cmp_le_f64_e32 vcc, s[0:1], v[12:13]
	v_mov_b64_e32 v[4:5], 0
	s_mov_b64 s[0:1], s[10:11]
	s_and_saveexec_b64 s[12:13], vcc
	s_cbranch_execz .LBB1_27
; %bb.26:
	s_mov_b32 s0, 0
	s_brev_b32 s1, 8
	v_mov_b32_e32 v15, 0x100
	v_cmp_gt_f64_e32 vcc, s[0:1], v[12:13]
	v_mov_b32_e32 v28, 0xffffff80
	v_mov_b32_e32 v29, 0x260
	v_cndmask_b32_e32 v4, 0, v15, vcc
	v_ldexp_f64 v[4:5], v[12:13], v4
	v_rsq_f64_e32 v[10:11], v[4:5]
	v_add_f64 v[16:17], v[12:13], v[12:13]
	s_mov_b32 s14, 0
	s_mov_b32 s15, 0x40080000
	v_mul_f64 v[18:19], v[4:5], v[10:11]
	v_mul_f64 v[10:11], v[10:11], 0.5
	v_fma_f64 v[20:21], -v[10:11], v[18:19], 0.5
	v_fmac_f64_e32 v[18:19], v[18:19], v[20:21]
	v_fma_f64 v[22:23], -v[18:19], v[18:19], v[4:5]
	v_fmac_f64_e32 v[10:11], v[10:11], v[20:21]
	v_fmac_f64_e32 v[18:19], v[22:23], v[10:11]
	v_fma_f64 v[20:21], -v[18:19], v[18:19], v[4:5]
	v_fmac_f64_e32 v[18:19], v[20:21], v[10:11]
	v_cndmask_b32_e32 v10, 0, v28, vcc
	v_ldexp_f64 v[10:11], v[18:19], v10
	v_cmp_class_f64_e32 vcc, v[4:5], v29
	s_nop 1
	v_cndmask_b32_e32 v5, v11, v5, vcc
	v_cndmask_b32_e32 v4, v10, v4, vcc
	v_mul_f64 v[10:11], v[16:17], v[4:5]
	v_div_scale_f64 v[16:17], s[16:17], s[14:15], s[14:15], v[10:11]
	v_rcp_f64_e32 v[18:19], v[16:17]
	s_nop 0
	v_fma_f64 v[20:21], -v[16:17], v[18:19], 1.0
	v_fmac_f64_e32 v[18:19], v[18:19], v[20:21]
	v_fma_f64 v[20:21], -v[16:17], v[18:19], 1.0
	v_fmac_f64_e32 v[18:19], v[18:19], v[20:21]
	v_div_scale_f64 v[20:21], vcc, v[10:11], s[14:15], v[10:11]
	v_mul_f64 v[22:23], v[20:21], v[18:19]
	v_fma_f64 v[16:17], -v[16:17], v[22:23], v[20:21]
	s_nop 1
	v_div_fmas_f64 v[16:17], v[16:17], v[18:19], v[22:23]
	v_div_fixup_f64 v[10:11], v[16:17], s[14:15], v[10:11]
	v_div_scale_f64 v[16:17], s[14:15], v[10:11], v[10:11], 1.0
	v_rcp_f64_e32 v[18:19], v[16:17]
	s_nop 0
	v_fma_f64 v[20:21], -v[16:17], v[18:19], 1.0
	v_fmac_f64_e32 v[18:19], v[18:19], v[20:21]
	v_fma_f64 v[20:21], -v[16:17], v[18:19], 1.0
	v_fmac_f64_e32 v[18:19], v[18:19], v[20:21]
	v_div_scale_f64 v[20:21], vcc, 1.0, v[10:11], 1.0
	v_mul_f64 v[22:23], v[20:21], v[18:19]
	v_fma_f64 v[16:17], -v[16:17], v[22:23], v[20:21]
	v_mov_b32_e32 v20, 0x871a9067
	s_nop 0
	v_div_fmas_f64 v[16:17], v[16:17], v[18:19], v[22:23]
	v_div_fixup_f64 v[16:17], v[16:17], v[10:11], 1.0
	v_mov_b32_e32 v18, 0x2537b658
	v_mov_b32_e32 v19, 0x3fd62dae
	v_fmac_f64_e32 v[18:19], 0, v[16:17]
	v_mov_b32_e32 v21, 0x402803e3
	v_fmac_f64_e32 v[20:21], v[16:17], v[18:19]
	v_mov_b32_e32 v18, 0xde2e1e3
	v_mov_b32_e32 v19, 0x405311e5
	v_fmac_f64_e32 v[18:19], v[16:17], v[20:21]
	v_mov_b32_e32 v20, 0xee40073c
	;; [unrolled: 3-line block ×12, first 2 shown]
	v_mov_b32_e32 v21, 0x402c311b
	v_fmac_f64_e32 v[20:21], v[16:17], v[22:23]
	v_fma_f64 v[20:21], v[16:17], v[20:21], 1.0
	v_fma_f64 v[16:17], v[16:17], v[18:19], 1.0
	v_div_scale_f64 v[18:19], s[14:15], v[20:21], v[20:21], v[16:17]
	v_rcp_f64_e32 v[22:23], v[18:19]
	s_nop 0
	v_fma_f64 v[24:25], -v[18:19], v[22:23], 1.0
	v_fmac_f64_e32 v[22:23], v[22:23], v[24:25]
	v_fma_f64 v[24:25], -v[18:19], v[22:23], 1.0
	v_fmac_f64_e32 v[22:23], v[22:23], v[24:25]
	v_div_scale_f64 v[24:25], vcc, v[16:17], v[20:21], v[16:17]
	v_mul_f64 v[26:27], v[24:25], v[22:23]
	v_fma_f64 v[18:19], -v[18:19], v[26:27], v[24:25]
	s_nop 1
	v_div_fmas_f64 v[18:19], v[18:19], v[22:23], v[26:27]
	v_cmp_gt_f64_e32 vcc, s[0:1], v[4:5]
	v_div_fixup_f64 v[16:17], v[18:19], v[20:21], v[16:17]
	s_mov_b32 s0, 0x50429b6d
	v_cndmask_b32_e32 v15, 0, v15, vcc
	v_ldexp_f64 v[4:5], v[4:5], v15
	v_rsq_f64_e32 v[18:19], v[4:5]
	s_mov_b32 s1, 0x3fe20dd7
	v_mul_f64 v[16:17], v[16:17], s[0:1]
	v_cndmask_b32_e32 v15, 0, v28, vcc
	v_mul_f64 v[20:21], v[4:5], v[18:19]
	v_mul_f64 v[18:19], v[18:19], 0.5
	v_fma_f64 v[22:23], -v[18:19], v[20:21], 0.5
	v_fmac_f64_e32 v[20:21], v[20:21], v[22:23]
	v_fma_f64 v[24:25], -v[20:21], v[20:21], v[4:5]
	v_fmac_f64_e32 v[18:19], v[18:19], v[22:23]
	v_fmac_f64_e32 v[20:21], v[24:25], v[18:19]
	v_fma_f64 v[22:23], -v[20:21], v[20:21], v[4:5]
	v_fmac_f64_e32 v[20:21], v[22:23], v[18:19]
	s_mov_b32 s0, 0x652b82fe
	v_ldexp_f64 v[18:19], v[20:21], v15
	v_cmp_class_f64_e32 vcc, v[4:5], v29
	s_mov_b32 s1, 0x3ff71547
	v_mov_b32_e32 v22, 0xfca7ab0c
	v_cndmask_b32_e32 v5, v19, v5, vcc
	v_cndmask_b32_e32 v4, v18, v4, vcc
	v_mul_f64 v[18:19], v[10:11], s[0:1]
	s_mov_b32 s0, 0xfefa39ef
	v_rndne_f64_e32 v[18:19], v[18:19]
	s_mov_b32 s1, 0xbfe62e42
	v_fma_f64 v[20:21], s[0:1], v[18:19], v[10:11]
	s_mov_b32 s0, 0x3b39803f
	s_mov_b32 s1, 0xbc7abc9e
	v_fmac_f64_e32 v[20:21], s[0:1], v[18:19]
	s_mov_b32 s0, 0x6a5dcb37
	v_mov_b32_e32 v23, 0x3e928af3
	s_mov_b32 s1, 0x3e5ade15
	v_fmac_f64_e32 v[22:23], s[0:1], v[20:21]
	v_mov_b32_e32 v24, 0x623fde64
	v_mov_b32_e32 v25, 0x3ec71dee
	v_fmac_f64_e32 v[24:25], v[20:21], v[22:23]
	v_mov_b32_e32 v22, 0x7c89e6b0
	v_mov_b32_e32 v23, 0x3efa0199
	;; [unrolled: 3-line block ×8, first 2 shown]
	s_mov_b32 s0, 0
	v_fmac_f64_e32 v[22:23], v[20:21], v[24:25]
	s_mov_b32 s1, 0x40900000
	v_fma_f64 v[22:23], v[20:21], v[22:23], 1.0
	v_cmp_nlt_f64_e32 vcc, s[0:1], v[10:11]
	s_mov_b32 s0, 0
	v_fma_f64 v[20:21], v[20:21], v[22:23], 1.0
	v_cvt_i32_f64_e32 v15, v[18:19]
	s_mov_b32 s1, 0xc090cc00
	v_ldexp_f64 v[18:19], v[20:21], v15
	v_mov_b32_e32 v15, 0x7ff00000
	v_cmp_ngt_f64_e64 s[0:1], s[0:1], v[10:11]
	v_cndmask_b32_e32 v15, v15, v19, vcc
	s_and_b64 vcc, s[0:1], vcc
	v_add_f64 v[4:5], v[4:5], v[4:5]
	v_cndmask_b32_e64 v11, 0, v15, s[0:1]
	v_cndmask_b32_e32 v10, 0, v18, vcc
	v_mul_f64 v[4:5], v[4:5], v[10:11]
	v_div_scale_f64 v[10:11], s[0:1], v[4:5], v[4:5], v[16:17]
	v_rcp_f64_e32 v[18:19], v[10:11]
	s_mov_b32 s0, 0xfd0a823a
	s_mov_b32 s1, 0x4020a402
	v_fma_f64 v[20:21], -v[10:11], v[18:19], 1.0
	v_fmac_f64_e32 v[18:19], v[18:19], v[20:21]
	v_fma_f64 v[20:21], -v[10:11], v[18:19], 1.0
	v_fmac_f64_e32 v[18:19], v[18:19], v[20:21]
	v_div_scale_f64 v[20:21], vcc, v[16:17], v[4:5], v[16:17]
	v_mul_f64 v[22:23], v[20:21], v[18:19]
	v_fma_f64 v[10:11], -v[10:11], v[22:23], v[20:21]
	s_nop 1
	v_div_fmas_f64 v[10:11], v[10:11], v[18:19], v[22:23]
	v_cmp_nlt_f64_e32 vcc, s[0:1], v[12:13]
	s_andn2_b64 s[0:1], s[10:11], exec
	s_and_b64 s[14:15], vcc, exec
	v_div_fixup_f64 v[4:5], v[10:11], v[4:5], v[16:17]
	s_or_b64 s[0:1], s[0:1], s[14:15]
.LBB1_27:
	s_or_b64 exec, exec, s[12:13]
	s_and_saveexec_b64 s[12:13], s[0:1]
	s_cbranch_execz .LBB1_31
; %bb.28:
	v_mul_f64 v[10:11], v[12:13], v[12:13]
	s_mov_b32 s16, 0
	v_mul_f64 v[16:17], v[12:13], v[10:11]
	v_mov_b64_e32 v[22:23], 1.0
	s_mov_b64 s[14:15], 0
	v_mov_b64_e32 v[20:21], 1.0
	s_mov_b32 s17, 0x3cb00000
	v_mov_b64_e32 v[18:19], v[12:13]
	v_mov_b64_e32 v[10:11], 1.0
.LBB1_29:                               ; =>This Inner Loop Header: Depth=1
	v_mul_f64 v[22:23], v[16:17], v[22:23]
	v_add_f64 v[24:25], v[20:21], 1.0
	v_mul_f64 v[12:13], v[16:17], v[12:13]
	v_div_scale_f64 v[26:27], s[0:1], v[24:25], v[24:25], v[22:23]
	v_add_f64 v[30:31], v[24:25], 1.0
	v_rcp_f64_e32 v[32:33], v[26:27]
	v_div_scale_f64 v[34:35], s[0:1], v[30:31], v[30:31], v[12:13]
	v_rcp_f64_e32 v[38:39], v[34:35]
	v_fma_f64 v[48:49], -v[26:27], v[32:33], 1.0
	v_fmac_f64_e32 v[32:33], v[32:33], v[48:49]
	v_fma_f64 v[50:51], -v[26:27], v[32:33], 1.0
	v_fma_f64 v[48:49], -v[34:35], v[38:39], 1.0
	v_fmac_f64_e32 v[38:39], v[38:39], v[48:49]
	v_div_scale_f64 v[28:29], vcc, v[22:23], v[24:25], v[22:23]
	v_fmac_f64_e32 v[32:33], v[32:33], v[50:51]
	v_fma_f64 v[48:49], -v[34:35], v[38:39], 1.0
	v_div_scale_f64 v[36:37], s[0:1], v[12:13], v[30:31], v[12:13]
	v_mul_f64 v[50:51], v[28:29], v[32:33]
	v_fmac_f64_e32 v[38:39], v[38:39], v[48:49]
	v_fma_f64 v[26:27], -v[26:27], v[50:51], v[28:29]
	v_mul_f64 v[28:29], v[36:37], v[38:39]
	v_div_fmas_f64 v[26:27], v[26:27], v[32:33], v[50:51]
	v_fma_f64 v[32:33], -v[34:35], v[28:29], v[36:37]
	s_mov_b64 vcc, s[0:1]
	v_div_fixup_f64 v[22:23], v[26:27], v[24:25], v[22:23]
	v_div_fmas_f64 v[24:25], v[32:33], v[38:39], v[28:29]
	v_div_fixup_f64 v[12:13], v[24:25], v[30:31], v[12:13]
	v_div_scale_f64 v[24:25], s[0:1], v[30:31], v[30:31], v[22:23]
	v_add_f64 v[20:21], v[30:31], 1.0
	v_rcp_f64_e32 v[28:29], v[24:25]
	v_div_scale_f64 v[32:33], s[0:1], v[20:21], v[20:21], v[12:13]
	v_rcp_f64_e32 v[36:37], v[32:33]
	v_fma_f64 v[38:39], -v[24:25], v[28:29], 1.0
	v_fmac_f64_e32 v[28:29], v[28:29], v[38:39]
	v_fma_f64 v[48:49], -v[24:25], v[28:29], 1.0
	v_fma_f64 v[38:39], -v[32:33], v[36:37], 1.0
	v_div_scale_f64 v[26:27], vcc, v[22:23], v[30:31], v[22:23]
	v_fmac_f64_e32 v[36:37], v[36:37], v[38:39]
	v_fmac_f64_e32 v[28:29], v[28:29], v[48:49]
	v_fma_f64 v[38:39], -v[32:33], v[36:37], 1.0
	v_mul_f64 v[48:49], v[26:27], v[28:29]
	v_div_scale_f64 v[34:35], s[0:1], v[12:13], v[20:21], v[12:13]
	v_fmac_f64_e32 v[36:37], v[36:37], v[38:39]
	v_fma_f64 v[24:25], -v[24:25], v[48:49], v[26:27]
	v_mul_f64 v[26:27], v[34:35], v[36:37]
	v_div_fmas_f64 v[24:25], v[24:25], v[28:29], v[48:49]
	v_fma_f64 v[28:29], -v[32:33], v[26:27], v[34:35]
	v_div_fixup_f64 v[22:23], v[24:25], v[30:31], v[22:23]
	s_mov_b64 vcc, s[0:1]
	v_div_fmas_f64 v[24:25], v[28:29], v[36:37], v[26:27]
	v_add_f64 v[10:11], v[10:11], v[22:23]
	v_div_fixup_f64 v[12:13], v[24:25], v[20:21], v[12:13]
	v_div_scale_f64 v[24:25], s[0:1], v[10:11], v[10:11], v[22:23]
	v_rcp_f64_e32 v[26:27], v[24:25]
	v_div_scale_f64 v[28:29], vcc, v[22:23], v[10:11], v[22:23]
	v_add_f64 v[18:19], v[18:19], v[12:13]
	v_fma_f64 v[30:31], -v[24:25], v[26:27], 1.0
	v_fmac_f64_e32 v[26:27], v[26:27], v[30:31]
	v_fma_f64 v[30:31], -v[24:25], v[26:27], 1.0
	v_fmac_f64_e32 v[26:27], v[26:27], v[30:31]
	v_mul_f64 v[30:31], v[28:29], v[26:27]
	v_fma_f64 v[24:25], -v[24:25], v[30:31], v[28:29]
	v_div_fmas_f64 v[24:25], v[24:25], v[26:27], v[30:31]
	v_div_fixup_f64 v[24:25], v[24:25], v[10:11], v[22:23]
	v_cmp_ngt_f64_e64 s[0:1], |v[24:25]|, s[16:17]
	s_or_b64 s[14:15], s[0:1], s[14:15]
	s_andn2_b64 exec, exec, s[14:15]
	s_cbranch_execnz .LBB1_29
; %bb.30:
	s_or_b64 exec, exec, s[14:15]
	s_mov_b32 s0, 0x42b70f8b
	s_mov_b32 s1, 0xbfd0907f
	v_mul_f64 v[12:13], v[18:19], s[0:1]
	s_mov_b32 s0, 0x962715b8
	s_mov_b32 s1, 0x3fd6b8c7
	v_fmac_f64_e32 v[12:13], s[0:1], v[10:11]
	v_cndmask_b32_e64 v5, v5, v13, s[10:11]
	v_cndmask_b32_e64 v4, v4, v12, s[10:11]
.LBB1_31:
	s_or_b64 exec, exec, s[12:13]
                                        ; implicit-def: $vgpr12_vgpr13
.LBB1_32:
	s_andn2_saveexec_b64 s[8:9], s[8:9]
	s_cbranch_execz .LBB1_42
; %bb.33:
	s_mov_b32 s0, 0
	s_brev_b32 s1, 9
	v_mov_b32_e32 v4, 0x100
	v_cmp_lt_f64_e32 vcc, s[0:1], v[12:13]
	v_mov_b32_e32 v15, 0x260
	s_mov_b32 s10, 0
	v_cndmask_b32_e32 v4, 0, v4, vcc
	v_ldexp_f64 v[4:5], -v[12:13], v4
	v_rsq_f64_e32 v[10:11], v[4:5]
	v_mul_f64 v[12:13], v[12:13], -2.0
	s_mov_b32 s11, 0x40080000
	s_mov_b32 s13, 0x3fe921fb
	v_mul_f64 v[16:17], v[4:5], v[10:11]
	v_mul_f64 v[10:11], v[10:11], 0.5
	v_fma_f64 v[18:19], -v[10:11], v[16:17], 0.5
	v_fmac_f64_e32 v[16:17], v[16:17], v[18:19]
	v_fma_f64 v[20:21], -v[16:17], v[16:17], v[4:5]
	v_fmac_f64_e32 v[10:11], v[10:11], v[18:19]
	v_fmac_f64_e32 v[16:17], v[20:21], v[10:11]
	v_fma_f64 v[18:19], -v[16:17], v[16:17], v[4:5]
	v_fmac_f64_e32 v[16:17], v[18:19], v[10:11]
	v_mov_b32_e32 v10, 0xffffff80
	v_cndmask_b32_e32 v10, 0, v10, vcc
	v_ldexp_f64 v[10:11], v[16:17], v10
	v_cmp_class_f64_e32 vcc, v[4:5], v15
	s_mov_b32 s12, 0x54442d18
                                        ; implicit-def: $vgpr30
                                        ; implicit-def: $vgpr22_vgpr23
	s_nop 0
	v_cndmask_b32_e32 v5, v11, v5, vcc
	v_cndmask_b32_e32 v4, v10, v4, vcc
	v_mul_f64 v[10:11], v[12:13], v[4:5]
	v_div_scale_f64 v[12:13], s[0:1], s[10:11], s[10:11], v[10:11]
	v_rcp_f64_e32 v[16:17], v[12:13]
	s_movk_i32 s0, 0xff80
	v_fma_f64 v[18:19], -v[12:13], v[16:17], 1.0
	v_fmac_f64_e32 v[16:17], v[16:17], v[18:19]
	v_fma_f64 v[18:19], -v[12:13], v[16:17], 1.0
	v_fmac_f64_e32 v[16:17], v[16:17], v[18:19]
	v_div_scale_f64 v[18:19], vcc, v[10:11], s[10:11], v[10:11]
	v_mul_f64 v[20:21], v[18:19], v[16:17]
	v_fma_f64 v[12:13], -v[12:13], v[20:21], v[18:19]
	s_nop 1
	v_div_fmas_f64 v[12:13], v[12:13], v[16:17], v[20:21]
	v_div_fixup_f64 v[18:19], v[12:13], s[10:11], v[10:11]
	s_mov_b32 s10, 0
	v_add_f64 v[10:11], v[18:19], s[12:13]
	s_mov_b32 s11, 0x41d00000
	v_cmp_nlt_f64_e64 s[10:11], |v[10:11]|, s[10:11]
	v_trig_preop_f64 v[28:29], |v[10:11]|, 0
	v_trig_preop_f64 v[26:27], |v[10:11]|, 1
	;; [unrolled: 1-line block ×3, first 2 shown]
                                        ; implicit-def: $vgpr20_vgpr21
	s_and_saveexec_b64 s[14:15], s[10:11]
	s_xor_b64 s[14:15], exec, s[14:15]
	s_cbranch_execz .LBB1_35
; %bb.34:
	s_mov_b32 s16, 0
	s_mov_b32 s17, 0x7b000000
	v_and_b32_e32 v15, 0x7fffffff, v11
	v_ldexp_f64 v[12:13], |v[10:11]|, s0
	v_cmp_ge_f64_e64 vcc, |v[10:11]|, s[16:17]
	s_mov_b32 s0, 0
	s_mov_b32 s1, 0x7ff00000
	v_cndmask_b32_e32 v13, v15, v13, vcc
	v_cndmask_b32_e32 v12, v10, v12, vcc
	v_mul_f64 v[20:21], v[28:29], v[12:13]
	v_mul_f64 v[16:17], v[26:27], v[12:13]
	v_fma_f64 v[22:23], v[28:29], v[12:13], -v[20:21]
	v_add_f64 v[30:31], v[16:17], v[22:23]
	v_add_f64 v[38:39], v[30:31], -v[16:17]
	v_add_f64 v[22:23], v[22:23], -v[38:39]
	;; [unrolled: 1-line block ×4, first 2 shown]
	v_add_f64 v[22:23], v[22:23], v[38:39]
	v_fma_f64 v[16:17], v[26:27], v[12:13], -v[16:17]
	v_mul_f64 v[38:39], v[24:25], v[12:13]
	v_add_f64 v[48:49], v[38:39], v[16:17]
	v_add_f64 v[32:33], v[20:21], v[30:31]
	;; [unrolled: 1-line block ×3, first 2 shown]
	v_ldexp_f64 v[34:35], v[32:33], -2
	v_add_f64 v[20:21], v[32:33], -v[20:21]
	v_add_f64 v[32:33], v[50:51], -v[48:49]
	;; [unrolled: 1-line block ×5, first 2 shown]
	v_add_f64 v[22:23], v[22:23], v[32:33]
	v_add_f64 v[32:33], v[48:49], -v[38:39]
	v_add_f64 v[16:17], v[16:17], -v[32:33]
	;; [unrolled: 1-line block ×5, first 2 shown]
	v_add_f64 v[16:17], v[16:17], v[32:33]
	v_fract_f64_e32 v[36:37], v[34:35]
	v_add_f64 v[30:31], v[20:21], v[50:51]
	v_add_f64 v[16:17], v[16:17], v[22:23]
	v_fma_f64 v[12:13], v[24:25], v[12:13], -v[38:39]
	v_add_f64 v[20:21], v[30:31], -v[20:21]
	v_add_f64 v[12:13], v[12:13], v[16:17]
	v_ldexp_f64 v[16:17], v[36:37], 2
	v_cmp_neq_f64_e64 vcc, |v[34:35]|, s[0:1]
	v_add_f64 v[20:21], v[50:51], -v[20:21]
	v_add_f64 v[12:13], v[20:21], v[12:13]
	v_cndmask_b32_e32 v17, 0, v17, vcc
	v_cndmask_b32_e32 v16, 0, v16, vcc
	v_add_f64 v[20:21], v[30:31], v[16:17]
	v_mov_b32_e32 v15, 0x40100000
	v_cmp_gt_f64_e32 vcc, 0, v[20:21]
	v_mov_b32_e32 v20, 0
	s_mov_b32 s13, 0x3ff921fb
	v_cndmask_b32_e32 v21, 0, v15, vcc
	v_add_f64 v[16:17], v[16:17], v[20:21]
	v_add_f64 v[22:23], v[30:31], v[16:17]
	v_cvt_i32_f64_e32 v15, v[22:23]
	v_cvt_f64_i32_e32 v[22:23], v15
	v_add_f64 v[16:17], v[16:17], -v[22:23]
	v_add_f64 v[22:23], v[30:31], v[16:17]
	v_add_f64 v[16:17], v[22:23], -v[16:17]
	v_cmp_le_f64_e32 vcc, 0.5, v[22:23]
	v_add_f64 v[16:17], v[30:31], -v[16:17]
	v_add_f64 v[12:13], v[12:13], v[16:17]
	v_addc_co_u32_e64 v30, s[0:1], 0, v15, vcc
	v_mov_b32_e32 v15, 0x3ff00000
	v_cndmask_b32_e32 v21, 0, v15, vcc
	v_add_f64 v[16:17], v[22:23], -v[20:21]
	v_add_f64 v[20:21], v[16:17], v[12:13]
	v_add_f64 v[16:17], v[20:21], -v[16:17]
	v_add_f64 v[12:13], v[12:13], -v[16:17]
	v_mul_f64 v[16:17], v[20:21], s[12:13]
	s_mov_b32 s0, 0x33145c07
	v_fma_f64 v[22:23], v[20:21], s[12:13], -v[16:17]
	s_mov_b32 s1, 0x3c91a626
	v_fmac_f64_e32 v[22:23], s[0:1], v[20:21]
	v_fmac_f64_e32 v[22:23], s[12:13], v[12:13]
	v_add_f64 v[20:21], v[16:17], v[22:23]
	v_add_f64 v[12:13], v[20:21], -v[16:17]
	v_add_f64 v[22:23], v[22:23], -v[12:13]
	s_andn2_saveexec_b64 s[0:1], s[14:15]
	s_cbranch_execz .LBB1_37
	s_branch .LBB1_36
.LBB1_35:
	s_andn2_saveexec_b64 s[0:1], s[14:15]
	s_cbranch_execz .LBB1_37
.LBB1_36:
	s_mov_b32 s12, 0x6dc9c883
	s_mov_b32 s13, 0x3fe45f30
	v_mul_f64 v[12:13], |v[10:11]|, s[12:13]
	s_mov_b32 s12, 0x54442d18
	v_rndne_f64_e32 v[12:13], v[12:13]
	s_mov_b32 s13, 0xbff921fb
	v_fma_f64 v[16:17], v[12:13], s[12:13], |v[10:11]|
	s_mov_b32 s13, 0xbc91a626
	s_mov_b32 s12, 0x33145c00
	v_mul_f64 v[20:21], v[12:13], s[12:13]
	v_add_f64 v[32:33], v[16:17], v[20:21]
	v_fma_f64 v[22:23], s[12:13], v[12:13], v[16:17]
	s_mov_b32 s13, 0x3c91a626
	v_add_f64 v[16:17], v[16:17], -v[32:33]
	v_fma_f64 v[30:31], s[12:13], v[12:13], v[20:21]
	v_add_f64 v[16:17], v[16:17], v[20:21]
	v_add_f64 v[20:21], v[32:33], -v[22:23]
	v_add_f64 v[16:17], v[20:21], v[16:17]
	s_mov_b32 s12, 0x252049c0
	v_add_f64 v[16:17], v[16:17], -v[30:31]
	s_mov_b32 s13, 0xb97b839a
	v_fmac_f64_e32 v[16:17], s[12:13], v[12:13]
	v_add_f64 v[20:21], v[22:23], v[16:17]
	v_add_f64 v[22:23], v[20:21], -v[22:23]
	v_add_f64 v[22:23], v[16:17], -v[22:23]
	v_cvt_i32_f64_e32 v30, v[12:13]
.LBB1_37:
	s_or_b64 exec, exec, s[0:1]
                                        ; implicit-def: $vgpr15
                                        ; implicit-def: $vgpr12_vgpr13
                                        ; implicit-def: $vgpr16_vgpr17
	s_and_saveexec_b64 s[0:1], s[10:11]
	s_xor_b64 s[10:11], exec, s[0:1]
	s_cbranch_execz .LBB1_39
; %bb.38:
	s_mov_b32 s0, 0
	s_mov_b32 s1, 0x7b000000
	s_movk_i32 s12, 0xff80
	v_and_b32_e32 v15, 0x7fffffff, v11
	v_ldexp_f64 v[12:13], |v[10:11]|, s12
	v_cmp_ge_f64_e64 vcc, |v[10:11]|, s[0:1]
	s_mov_b32 s0, 0
	s_mov_b32 s1, 0x7ff00000
	v_cndmask_b32_e32 v13, v15, v13, vcc
	v_cndmask_b32_e32 v12, v10, v12, vcc
	v_mul_f64 v[32:33], v[28:29], v[12:13]
	v_mul_f64 v[16:17], v[26:27], v[12:13]
	v_fma_f64 v[28:29], v[28:29], v[12:13], -v[32:33]
	v_add_f64 v[34:35], v[16:17], v[28:29]
	v_add_f64 v[50:51], v[34:35], -v[16:17]
	v_add_f64 v[28:29], v[28:29], -v[50:51]
	;; [unrolled: 1-line block ×4, first 2 shown]
	v_fma_f64 v[16:17], v[26:27], v[12:13], -v[16:17]
	v_mul_f64 v[26:27], v[24:25], v[12:13]
	v_add_f64 v[28:29], v[28:29], v[50:51]
	v_add_f64 v[50:51], v[26:27], v[16:17]
	;; [unrolled: 1-line block ×4, first 2 shown]
	v_ldexp_f64 v[38:39], v[36:37], -2
	v_add_f64 v[32:33], v[36:37], -v[32:33]
	v_add_f64 v[36:37], v[52:53], -v[50:51]
	;; [unrolled: 1-line block ×5, first 2 shown]
	v_add_f64 v[28:29], v[28:29], v[36:37]
	v_add_f64 v[36:37], v[50:51], -v[26:27]
	v_add_f64 v[16:17], v[16:17], -v[36:37]
	;; [unrolled: 1-line block ×4, first 2 shown]
	v_add_f64 v[16:17], v[16:17], v[36:37]
	v_fract_f64_e32 v[48:49], v[38:39]
	v_add_f64 v[16:17], v[16:17], v[28:29]
	v_fma_f64 v[12:13], v[24:25], v[12:13], -v[26:27]
	v_add_f64 v[32:33], v[34:35], -v[32:33]
	v_add_f64 v[12:13], v[12:13], v[16:17]
	v_ldexp_f64 v[16:17], v[48:49], 2
	v_cmp_neq_f64_e64 vcc, |v[38:39]|, s[0:1]
	v_add_f64 v[34:35], v[32:33], v[52:53]
	v_mov_b32_e32 v15, 0x40100000
	v_cndmask_b32_e32 v17, 0, v17, vcc
	v_cndmask_b32_e32 v16, 0, v16, vcc
	v_add_f64 v[24:25], v[34:35], v[16:17]
	v_cmp_gt_f64_e32 vcc, 0, v[24:25]
	v_mov_b32_e32 v24, 0
	v_add_f64 v[32:33], v[34:35], -v[32:33]
	v_cndmask_b32_e32 v25, 0, v15, vcc
	v_add_f64 v[16:17], v[16:17], v[24:25]
	v_add_f64 v[26:27], v[34:35], v[16:17]
	v_cvt_i32_f64_e32 v15, v[26:27]
	v_cvt_f64_i32_e32 v[26:27], v15
	v_add_f64 v[16:17], v[16:17], -v[26:27]
	v_add_f64 v[26:27], v[34:35], v[16:17]
	v_add_f64 v[32:33], v[52:53], -v[32:33]
	v_add_f64 v[16:17], v[26:27], -v[16:17]
	v_add_f64 v[12:13], v[32:33], v[12:13]
	v_add_f64 v[16:17], v[34:35], -v[16:17]
	v_add_f64 v[12:13], v[12:13], v[16:17]
	v_cmp_le_f64_e32 vcc, 0.5, v[26:27]
	v_mov_b32_e32 v16, 0x3ff00000
	s_mov_b32 s12, 0x33145c07
	v_cndmask_b32_e32 v25, 0, v16, vcc
	v_addc_co_u32_e64 v15, s[0:1], 0, v15, vcc
	v_add_f64 v[16:17], v[26:27], -v[24:25]
	v_add_f64 v[24:25], v[16:17], v[12:13]
	s_mov_b32 s0, 0x54442d18
	v_add_f64 v[16:17], v[24:25], -v[16:17]
	s_mov_b32 s1, 0x3ff921fb
	v_add_f64 v[12:13], v[12:13], -v[16:17]
	v_mul_f64 v[16:17], v[24:25], s[0:1]
	v_fma_f64 v[26:27], v[24:25], s[0:1], -v[16:17]
	s_mov_b32 s13, 0x3c91a626
	v_fmac_f64_e32 v[26:27], s[12:13], v[24:25]
	v_fmac_f64_e32 v[26:27], s[0:1], v[12:13]
	v_add_f64 v[12:13], v[16:17], v[26:27]
	v_add_f64 v[16:17], v[12:13], -v[16:17]
	v_add_f64 v[16:17], v[26:27], -v[16:17]
	s_andn2_saveexec_b64 s[0:1], s[10:11]
	s_cbranch_execnz .LBB1_40
	s_branch .LBB1_41
.LBB1_39:
	s_andn2_saveexec_b64 s[0:1], s[10:11]
	s_cbranch_execz .LBB1_41
.LBB1_40:
	s_mov_b32 s10, 0x6dc9c883
	s_mov_b32 s11, 0x3fe45f30
	v_mul_f64 v[12:13], |v[10:11]|, s[10:11]
	s_mov_b32 s10, 0x54442d18
	v_rndne_f64_e32 v[24:25], v[12:13]
	s_mov_b32 s11, 0xbff921fb
	v_fma_f64 v[12:13], v[24:25], s[10:11], |v[10:11]|
	s_mov_b32 s11, 0xbc91a626
	s_mov_b32 s10, 0x33145c00
	v_mul_f64 v[26:27], v[24:25], s[10:11]
	v_add_f64 v[32:33], v[12:13], v[26:27]
	v_fma_f64 v[16:17], s[10:11], v[24:25], v[12:13]
	s_mov_b32 s11, 0x3c91a626
	v_add_f64 v[12:13], v[12:13], -v[32:33]
	v_fma_f64 v[28:29], s[10:11], v[24:25], v[26:27]
	v_add_f64 v[12:13], v[12:13], v[26:27]
	v_add_f64 v[26:27], v[32:33], -v[16:17]
	v_add_f64 v[12:13], v[26:27], v[12:13]
	s_mov_b32 s10, 0x252049c0
	v_add_f64 v[26:27], v[12:13], -v[28:29]
	s_mov_b32 s11, 0xb97b839a
	v_fmac_f64_e32 v[26:27], s[10:11], v[24:25]
	v_add_f64 v[12:13], v[16:17], v[26:27]
	v_add_f64 v[16:17], v[12:13], -v[16:17]
	v_add_f64 v[16:17], v[26:27], -v[16:17]
	v_cvt_i32_f64_e32 v15, v[24:25]
.LBB1_41:
	s_or_b64 exec, exec, s[0:1]
	v_div_scale_f64 v[24:25], s[0:1], v[18:19], v[18:19], 1.0
	v_rcp_f64_e32 v[26:27], v[24:25]
	v_div_scale_f64 v[28:29], vcc, 1.0, v[18:19], 1.0
	v_mov_b32_e32 v34, 0xb99518a7
	v_fma_f64 v[32:33], -v[24:25], v[26:27], 1.0
	v_fmac_f64_e32 v[26:27], v[26:27], v[32:33]
	v_fma_f64 v[32:33], -v[24:25], v[26:27], 1.0
	v_fmac_f64_e32 v[26:27], v[26:27], v[32:33]
	v_mul_f64 v[32:33], v[28:29], v[26:27]
	v_fma_f64 v[24:25], -v[24:25], v[32:33], v[28:29]
	v_div_fmas_f64 v[24:25], v[24:25], v[26:27], v[32:33]
	v_div_fixup_f64 v[18:19], v[24:25], v[18:19], 1.0
	v_mul_f64 v[24:25], v[18:19], v[18:19]
	v_mov_b32_e32 v26, 0xd50ae6fb
	v_mov_b32_e32 v27, 0xbfc0db6c
	v_fmac_f64_e32 v[26:27], 0, v[24:25]
	v_mov_b32_e32 v28, 0x98566852
	v_mov_b32_e32 v29, 0xbfe40bee
	v_fmac_f64_e32 v[28:29], v[24:25], v[26:27]
	;; [unrolled: 3-line block ×16, first 2 shown]
	v_mov_b32_e32 v35, 0x3e9e52b9
	v_mul_f64 v[36:37], v[20:21], v[20:21]
	v_fmac_f64_e32 v[34:35], v[24:25], v[32:33]
	v_mov_b32_e32 v32, 0xf68ea2d2
	v_mov_b32_e32 v33, 0xbe52041c
	v_mul_f64 v[26:27], v[36:37], 0.5
	v_fmac_f64_e32 v[32:33], v[24:25], v[28:29]
	v_add_f64 v[28:29], -v[26:27], 1.0
	s_mov_b32 s0, 0x9037ab78
	v_add_f64 v[38:39], -v[28:29], 1.0
	s_mov_b32 s1, 0x3e21eeb6
	s_mov_b32 s10, 0x46cc5e42
	v_add_f64 v[38:39], v[38:39], -v[26:27]
	s_mov_b32 s11, 0xbda907db
	v_mov_b64_e32 v[26:27], s[0:1]
	s_mov_b32 s12, 0xa17f65f6
	v_fma_f64 v[50:51], s[10:11], v[36:37], v[26:27]
	s_mov_b32 s13, 0xbe927e4f
	s_mov_b32 s14, 0x19f4ec90
	v_fma_f64 v[50:51], v[36:37], v[50:51], s[12:13]
	s_mov_b32 s15, 0x3efa01a0
	;; [unrolled: 3-line block ×4, first 2 shown]
	v_mul_f64 v[48:49], v[36:37], v[36:37]
	v_fma_f64 v[50:51], v[36:37], v[50:51], s[18:19]
	v_fma_f64 v[38:39], v[20:21], -v[22:23], v[38:39]
	s_mov_b32 s0, 0xb42fdfa7
	v_fmac_f64_e32 v[38:39], v[48:49], v[50:51]
	s_mov_b32 s1, 0xbe5ae600
	s_mov_b32 s20, 0xf9a43bb8
	v_add_f64 v[38:39], v[28:29], v[38:39]
	s_mov_b32 s21, 0x3de5e0b2
	v_mov_b64_e32 v[28:29], s[0:1]
	s_mov_b32 s22, 0x796cde01
	v_fma_f64 v[48:49], s[20:21], v[36:37], v[28:29]
	s_mov_b32 s23, 0x3ec71de3
	s_mov_b32 s24, 0x19e83e5c
	v_fma_f64 v[48:49], v[36:37], v[48:49], s[22:23]
	s_mov_b32 s25, 0xbf2a01a0
	;; [unrolled: 3-line block ×3, first 2 shown]
	v_fma_f64 v[48:49], v[36:37], v[48:49], s[26:27]
	v_mul_f64 v[50:51], v[20:21], -v[36:37]
	v_mul_f64 v[52:53], v[22:23], 0.5
	v_fmac_f64_e32 v[52:53], v[50:51], v[48:49]
	v_fma_f64 v[22:23], v[36:37], v[52:53], -v[22:23]
	s_mov_b32 s29, 0xbfc55555
	s_mov_b32 s28, s18
	v_fmac_f64_e32 v[22:23], s[28:29], v[50:51]
	v_add_f64 v[20:21], v[20:21], -v[22:23]
	v_and_b32_e32 v22, 1, v30
	v_cmp_eq_u32_e32 vcc, 0, v22
	s_brev_b32 s40, 1
	s_movk_i32 s41, 0x1f8
	v_cndmask_b32_e32 v36, v38, v20, vcc
	v_cndmask_b32_e32 v20, v39, v21, vcc
	v_lshlrev_b32_e32 v21, 30, v30
	v_xor_b32_e32 v21, v21, v11
	v_bitop3_b32 v37, v20, v21, s40 bitop3:0x78
	v_mul_f64 v[20:21], v[24:25], v[32:33]
	v_div_scale_f64 v[22:23], s[0:1], v[34:35], v[34:35], v[20:21]
	v_rcp_f64_e32 v[30:31], v[22:23]
	v_cmp_class_f64_e64 s[0:1], v[10:11], s41
	v_mov_b32_e32 v48, 0x7ff80000
	s_mov_b32 s42, 0
	v_fma_f64 v[32:33], -v[22:23], v[30:31], 1.0
	v_fmac_f64_e32 v[30:31], v[30:31], v[32:33]
	v_fma_f64 v[32:33], -v[22:23], v[30:31], 1.0
	v_fmac_f64_e32 v[30:31], v[30:31], v[32:33]
	v_div_scale_f64 v[32:33], vcc, v[20:21], v[34:35], v[20:21]
	v_cndmask_b32_e64 v10, 0, v36, s[0:1]
	v_cndmask_b32_e64 v11, v48, v37, s[0:1]
	v_mul_f64 v[36:37], v[32:33], v[30:31]
	v_fma_f64 v[22:23], -v[22:23], v[36:37], v[32:33]
	v_div_fmas_f64 v[22:23], v[22:23], v[30:31], v[36:37]
	v_div_fixup_f64 v[20:21], v[22:23], v[34:35], v[20:21]
	v_mov_b32_e32 v22, 0xddcfbbde
	v_mov_b32_e32 v23, 0x3f943525
	v_fmac_f64_e32 v[22:23], 0, v[24:25]
	v_mov_b32_e32 v30, 0x6437b7
	v_mov_b32_e32 v31, 0x3fd907d5
	v_fmac_f64_e32 v[30:31], v[24:25], v[22:23]
	;; [unrolled: 3-line block ×18, first 2 shown]
	v_mov_b32_e32 v32, 0xd603a5a0
	v_mov_b32_e32 v33, 0x3f1a8b61
	s_brev_b32 s43, 8
	v_fmac_f64_e32 v[32:33], v[24:25], v[30:31]
	v_mov_b32_e32 v30, 0x100
	v_cmp_gt_f64_e32 vcc, s[42:43], v[4:5]
	v_mov_b32_e32 v34, 0xdb0724e8
	v_mov_b32_e32 v35, 0x3eb3a845
	v_cndmask_b32_e32 v30, 0, v30, vcc
	v_ldexp_f64 v[4:5], v[4:5], v30
	v_rsq_f64_e32 v[30:31], v[4:5]
	v_fmac_f64_e32 v[34:35], v[24:25], v[32:33]
	s_mov_b32 s42, 0x50429b6d
	s_mov_b32 s43, 0x3fe20dd7
	v_mul_f64 v[32:33], v[4:5], v[30:31]
	v_mul_f64 v[30:31], v[30:31], 0.5
	v_fma_f64 v[36:37], -v[30:31], v[32:33], 0.5
	v_fmac_f64_e32 v[32:33], v[32:33], v[36:37]
	v_fma_f64 v[38:39], -v[32:33], v[32:33], v[4:5]
	v_fmac_f64_e32 v[30:31], v[30:31], v[36:37]
	v_fmac_f64_e32 v[32:33], v[38:39], v[30:31]
	v_fma_f64 v[36:37], -v[32:33], v[32:33], v[4:5]
	v_fmac_f64_e32 v[32:33], v[36:37], v[30:31]
	v_mov_b32_e32 v30, 0xffffff80
	v_cndmask_b32_e32 v30, 0, v30, vcc
	v_ldexp_f64 v[30:31], v[32:33], v30
	v_mov_b32_e32 v32, 0x260
	v_cmp_class_f64_e32 vcc, v[4:5], v32
	v_mov_b32_e32 v36, 0x3dd589d4
	v_mov_b32_e32 v37, 0x3e351fc7
	v_cndmask_b32_e32 v5, v31, v5, vcc
	v_cndmask_b32_e32 v4, v30, v4, vcc
	v_div_scale_f64 v[30:31], s[44:45], v[4:5], v[4:5], s[42:43]
	v_rcp_f64_e32 v[32:33], v[30:31]
	v_fmac_f64_e32 v[36:37], v[24:25], v[34:35]
	v_add_f64 v[20:21], v[20:21], 1.0
	v_fma_f64 v[24:25], -v[30:31], v[32:33], 1.0
	v_fmac_f64_e32 v[32:33], v[32:33], v[24:25]
	v_fma_f64 v[24:25], -v[30:31], v[32:33], 1.0
	v_fmac_f64_e32 v[32:33], v[32:33], v[24:25]
	v_div_scale_f64 v[24:25], vcc, s[42:43], v[4:5], s[42:43]
	v_mul_f64 v[34:35], v[24:25], v[32:33]
	v_fma_f64 v[24:25], -v[30:31], v[34:35], v[24:25]
	s_nop 1
	v_div_fmas_f64 v[24:25], v[24:25], v[32:33], v[34:35]
	v_div_fixup_f64 v[4:5], v[24:25], v[4:5], s[42:43]
	v_mul_f64 v[24:25], v[12:13], v[12:13]
	v_mul_f64 v[30:31], v[24:25], 0.5
	v_fmac_f64_e32 v[26:27], s[10:11], v[24:25]
	v_add_f64 v[32:33], -v[30:31], 1.0
	v_fma_f64 v[26:27], v[24:25], v[26:27], s[12:13]
	v_add_f64 v[34:35], -v[32:33], 1.0
	v_fma_f64 v[26:27], v[24:25], v[26:27], s[14:15]
	v_add_f64 v[30:31], v[34:35], -v[30:31]
	v_fma_f64 v[26:27], v[24:25], v[26:27], s[16:17]
	v_fmac_f64_e32 v[28:29], s[20:21], v[24:25]
	v_mul_f64 v[34:35], v[24:25], v[24:25]
	v_fma_f64 v[26:27], v[24:25], v[26:27], s[18:19]
	v_fma_f64 v[30:31], v[12:13], -v[16:17], v[30:31]
	v_fma_f64 v[28:29], v[24:25], v[28:29], s[22:23]
	v_fmac_f64_e32 v[30:31], v[34:35], v[26:27]
	v_fma_f64 v[28:29], v[24:25], v[28:29], s[24:25]
	v_add_f64 v[26:27], v[32:33], v[30:31]
	v_fma_f64 v[28:29], v[24:25], v[28:29], s[26:27]
	v_mul_f64 v[30:31], v[12:13], -v[24:25]
	v_mul_f64 v[32:33], v[16:17], 0.5
	v_fmac_f64_e32 v[32:33], v[30:31], v[28:29]
	v_fma_f64 v[16:17], v[24:25], v[32:33], -v[16:17]
	v_fmac_f64_e32 v[16:17], s[28:29], v[30:31]
	v_add_f64 v[12:13], v[12:13], -v[16:17]
	v_and_b32_e32 v16, 1, v15
	v_xor_b32_e32 v13, 0x80000000, v13
	v_cmp_eq_u32_e32 vcc, 0, v16
	v_lshlrev_b32_e32 v15, 30, v15
	s_nop 0
	v_cndmask_b32_e32 v24, v12, v26, vcc
	v_cndmask_b32_e32 v25, v13, v27, vcc
	v_mul_f64 v[12:13], v[18:19], v[22:23]
	v_div_scale_f64 v[16:17], s[10:11], v[36:37], v[36:37], v[12:13]
	v_rcp_f64_e32 v[18:19], v[16:17]
	v_bitop3_b32 v15, v25, v15, s40 bitop3:0x78
	v_cndmask_b32_e64 v22, 0, v24, s[0:1]
	v_cndmask_b32_e64 v23, v48, v15, s[0:1]
	v_fma_f64 v[24:25], -v[16:17], v[18:19], 1.0
	v_fmac_f64_e32 v[18:19], v[18:19], v[24:25]
	v_fma_f64 v[24:25], -v[16:17], v[18:19], 1.0
	v_fmac_f64_e32 v[18:19], v[18:19], v[24:25]
	v_div_scale_f64 v[24:25], vcc, v[12:13], v[36:37], v[12:13]
	v_mul_f64 v[26:27], v[24:25], v[18:19]
	v_fma_f64 v[16:17], -v[16:17], v[26:27], v[24:25]
	s_nop 1
	v_div_fmas_f64 v[16:17], v[16:17], v[18:19], v[26:27]
	v_div_fixup_f64 v[12:13], v[16:17], v[36:37], v[12:13]
	v_mul_f64 v[12:13], v[12:13], v[22:23]
	v_fma_f64 v[10:11], v[20:21], v[10:11], -v[12:13]
	v_mul_f64 v[4:5], v[4:5], v[10:11]
.LBB1_42:
	s_or_b64 exec, exec, s[8:9]
.LBB1_43:
	s_or_b64 exec, exec, s[6:7]
.LBB1_44:
	s_or_b64 exec, exec, s[4:5]
	s_mov_b32 s4, 0
	s_mov_b32 s5, 0x7ff00000
	v_mov_b32_e32 v12, 0
	v_mov_b32_e32 v10, 0
	v_cmp_neq_f64_e64 s[0:1], |v[6:7]|, s[4:5]
	v_mov_b32_e32 v13, 0x7ff80000
	v_mov_b32_e32 v11, 0x7ff80000
	s_and_saveexec_b64 s[6:7], s[0:1]
	s_cbranch_execz .LBB1_66
; %bb.45:
	s_mov_b32 s0, 0x872b020c
	s_mov_b32 s1, 0x4059f916
	v_cmp_nlt_f64_e32 vcc, s[0:1], v[6:7]
	v_mov_b64_e32 v[10:11], 0
	s_and_saveexec_b64 s[8:9], vcc
	s_cbranch_execz .LBB1_65
; %bb.46:
	s_mov_b32 s1, 0xc000b851
	s_mov_b32 s0, 0xeb851eb8
	v_cmp_ngt_f64_e32 vcc, s[0:1], v[6:7]
	s_and_saveexec_b64 s[10:11], vcc
	s_xor_b64 s[10:11], exec, s[10:11]
	s_cbranch_execz .LBB1_54
; %bb.47:
	s_mov_b32 s1, 0x4000b851
	v_cmp_nle_f64_e64 s[12:13], s[0:1], v[6:7]
	v_cmp_le_f64_e32 vcc, s[0:1], v[6:7]
	v_mov_b64_e32 v[10:11], 0
	s_mov_b64 s[0:1], s[12:13]
	s_and_saveexec_b64 s[14:15], vcc
	s_cbranch_execz .LBB1_49
; %bb.48:
	s_mov_b32 s0, 0
	s_brev_b32 s1, 8
	v_mov_b32_e32 v15, 0x100
	v_cmp_gt_f64_e32 vcc, s[0:1], v[6:7]
	v_mov_b32_e32 v30, 0xffffff80
	v_mov_b32_e32 v31, 0x260
	v_cndmask_b32_e32 v10, 0, v15, vcc
	v_ldexp_f64 v[10:11], v[6:7], v10
	v_rsq_f64_e32 v[16:17], v[10:11]
	v_add_f64 v[18:19], v[6:7], v[6:7]
	s_mov_b32 s16, 0
	s_mov_b32 s17, 0x40080000
	v_mul_f64 v[20:21], v[10:11], v[16:17]
	v_mul_f64 v[16:17], v[16:17], 0.5
	v_fma_f64 v[22:23], -v[16:17], v[20:21], 0.5
	v_fmac_f64_e32 v[20:21], v[20:21], v[22:23]
	v_fma_f64 v[24:25], -v[20:21], v[20:21], v[10:11]
	v_fmac_f64_e32 v[16:17], v[16:17], v[22:23]
	v_fmac_f64_e32 v[20:21], v[24:25], v[16:17]
	v_fma_f64 v[22:23], -v[20:21], v[20:21], v[10:11]
	v_fmac_f64_e32 v[20:21], v[22:23], v[16:17]
	v_cndmask_b32_e32 v16, 0, v30, vcc
	v_ldexp_f64 v[16:17], v[20:21], v16
	v_cmp_class_f64_e32 vcc, v[10:11], v31
	s_nop 1
	v_cndmask_b32_e32 v11, v17, v11, vcc
	v_cndmask_b32_e32 v10, v16, v10, vcc
	v_mul_f64 v[16:17], v[18:19], v[10:11]
	v_div_scale_f64 v[18:19], s[18:19], s[16:17], s[16:17], v[16:17]
	v_rcp_f64_e32 v[20:21], v[18:19]
	s_nop 0
	v_fma_f64 v[22:23], -v[18:19], v[20:21], 1.0
	v_fmac_f64_e32 v[20:21], v[20:21], v[22:23]
	v_fma_f64 v[22:23], -v[18:19], v[20:21], 1.0
	v_fmac_f64_e32 v[20:21], v[20:21], v[22:23]
	v_div_scale_f64 v[22:23], vcc, v[16:17], s[16:17], v[16:17]
	v_mul_f64 v[24:25], v[22:23], v[20:21]
	v_fma_f64 v[18:19], -v[18:19], v[24:25], v[22:23]
	s_nop 1
	v_div_fmas_f64 v[18:19], v[18:19], v[20:21], v[24:25]
	v_div_fixup_f64 v[16:17], v[18:19], s[16:17], v[16:17]
	v_div_scale_f64 v[18:19], s[16:17], v[16:17], v[16:17], 1.0
	v_rcp_f64_e32 v[20:21], v[18:19]
	s_nop 0
	v_fma_f64 v[22:23], -v[18:19], v[20:21], 1.0
	v_fmac_f64_e32 v[20:21], v[20:21], v[22:23]
	v_fma_f64 v[22:23], -v[18:19], v[20:21], 1.0
	v_fmac_f64_e32 v[20:21], v[20:21], v[22:23]
	v_div_scale_f64 v[22:23], vcc, 1.0, v[16:17], 1.0
	v_mul_f64 v[24:25], v[22:23], v[20:21]
	v_fma_f64 v[18:19], -v[18:19], v[24:25], v[22:23]
	v_mov_b32_e32 v22, 0x871a9067
	s_nop 0
	v_div_fmas_f64 v[18:19], v[18:19], v[20:21], v[24:25]
	v_div_fixup_f64 v[18:19], v[18:19], v[16:17], 1.0
	v_mov_b32_e32 v20, 0x2537b658
	v_mov_b32_e32 v21, 0x3fd62dae
	v_fmac_f64_e32 v[20:21], 0, v[18:19]
	v_mov_b32_e32 v23, 0x402803e3
	v_fmac_f64_e32 v[22:23], v[18:19], v[20:21]
	v_mov_b32_e32 v20, 0xde2e1e3
	v_mov_b32_e32 v21, 0x405311e5
	v_fmac_f64_e32 v[20:21], v[18:19], v[22:23]
	v_mov_b32_e32 v22, 0xee40073c
	;; [unrolled: 3-line block ×12, first 2 shown]
	v_mov_b32_e32 v23, 0x402c311b
	v_fmac_f64_e32 v[22:23], v[18:19], v[24:25]
	v_fma_f64 v[22:23], v[18:19], v[22:23], 1.0
	v_fma_f64 v[18:19], v[18:19], v[20:21], 1.0
	v_div_scale_f64 v[20:21], s[16:17], v[22:23], v[22:23], v[18:19]
	v_rcp_f64_e32 v[24:25], v[20:21]
	s_nop 0
	v_fma_f64 v[26:27], -v[20:21], v[24:25], 1.0
	v_fmac_f64_e32 v[24:25], v[24:25], v[26:27]
	v_fma_f64 v[26:27], -v[20:21], v[24:25], 1.0
	v_fmac_f64_e32 v[24:25], v[24:25], v[26:27]
	v_div_scale_f64 v[26:27], vcc, v[18:19], v[22:23], v[18:19]
	v_mul_f64 v[28:29], v[26:27], v[24:25]
	v_fma_f64 v[20:21], -v[20:21], v[28:29], v[26:27]
	s_nop 1
	v_div_fmas_f64 v[20:21], v[20:21], v[24:25], v[28:29]
	v_cmp_gt_f64_e32 vcc, s[0:1], v[10:11]
	v_div_fixup_f64 v[18:19], v[20:21], v[22:23], v[18:19]
	s_mov_b32 s0, 0x50429b6d
	v_cndmask_b32_e32 v15, 0, v15, vcc
	v_ldexp_f64 v[10:11], v[10:11], v15
	v_rsq_f64_e32 v[20:21], v[10:11]
	s_mov_b32 s1, 0x3fe20dd7
	v_mul_f64 v[18:19], v[18:19], s[0:1]
	v_cndmask_b32_e32 v15, 0, v30, vcc
	v_mul_f64 v[22:23], v[10:11], v[20:21]
	v_mul_f64 v[20:21], v[20:21], 0.5
	v_fma_f64 v[24:25], -v[20:21], v[22:23], 0.5
	v_fmac_f64_e32 v[22:23], v[22:23], v[24:25]
	v_fma_f64 v[26:27], -v[22:23], v[22:23], v[10:11]
	v_fmac_f64_e32 v[20:21], v[20:21], v[24:25]
	v_fmac_f64_e32 v[22:23], v[26:27], v[20:21]
	v_fma_f64 v[24:25], -v[22:23], v[22:23], v[10:11]
	v_fmac_f64_e32 v[22:23], v[24:25], v[20:21]
	s_mov_b32 s0, 0x652b82fe
	v_ldexp_f64 v[20:21], v[22:23], v15
	v_cmp_class_f64_e32 vcc, v[10:11], v31
	s_mov_b32 s1, 0x3ff71547
	v_mov_b32_e32 v24, 0xfca7ab0c
	v_cndmask_b32_e32 v11, v21, v11, vcc
	v_cndmask_b32_e32 v10, v20, v10, vcc
	v_mul_f64 v[20:21], v[16:17], s[0:1]
	s_mov_b32 s0, 0xfefa39ef
	v_rndne_f64_e32 v[20:21], v[20:21]
	s_mov_b32 s1, 0xbfe62e42
	v_fma_f64 v[22:23], s[0:1], v[20:21], v[16:17]
	s_mov_b32 s0, 0x3b39803f
	s_mov_b32 s1, 0xbc7abc9e
	v_fmac_f64_e32 v[22:23], s[0:1], v[20:21]
	s_mov_b32 s0, 0x6a5dcb37
	v_mov_b32_e32 v25, 0x3e928af3
	s_mov_b32 s1, 0x3e5ade15
	v_fmac_f64_e32 v[24:25], s[0:1], v[22:23]
	v_mov_b32_e32 v26, 0x623fde64
	v_mov_b32_e32 v27, 0x3ec71dee
	v_fmac_f64_e32 v[26:27], v[22:23], v[24:25]
	v_mov_b32_e32 v24, 0x7c89e6b0
	v_mov_b32_e32 v25, 0x3efa0199
	;; [unrolled: 3-line block ×8, first 2 shown]
	s_mov_b32 s0, 0
	v_fmac_f64_e32 v[24:25], v[22:23], v[26:27]
	s_mov_b32 s1, 0x40900000
	v_fma_f64 v[24:25], v[22:23], v[24:25], 1.0
	v_cmp_nlt_f64_e32 vcc, s[0:1], v[16:17]
	s_mov_b32 s0, 0
	v_fma_f64 v[22:23], v[22:23], v[24:25], 1.0
	v_cvt_i32_f64_e32 v15, v[20:21]
	s_mov_b32 s1, 0xc090cc00
	v_ldexp_f64 v[20:21], v[22:23], v15
	v_mov_b32_e32 v15, 0x7ff00000
	v_cmp_ngt_f64_e64 s[0:1], s[0:1], v[16:17]
	v_cndmask_b32_e32 v15, v15, v21, vcc
	s_and_b64 vcc, s[0:1], vcc
	v_add_f64 v[10:11], v[10:11], v[10:11]
	v_cndmask_b32_e64 v17, 0, v15, s[0:1]
	v_cndmask_b32_e32 v16, 0, v20, vcc
	v_mul_f64 v[10:11], v[10:11], v[16:17]
	v_div_scale_f64 v[16:17], s[0:1], v[10:11], v[10:11], v[18:19]
	v_rcp_f64_e32 v[20:21], v[16:17]
	s_mov_b32 s0, 0xfd0a823a
	s_mov_b32 s1, 0x4020a402
	v_fma_f64 v[22:23], -v[16:17], v[20:21], 1.0
	v_fmac_f64_e32 v[20:21], v[20:21], v[22:23]
	v_fma_f64 v[22:23], -v[16:17], v[20:21], 1.0
	v_fmac_f64_e32 v[20:21], v[20:21], v[22:23]
	v_div_scale_f64 v[22:23], vcc, v[18:19], v[10:11], v[18:19]
	v_mul_f64 v[24:25], v[22:23], v[20:21]
	v_fma_f64 v[16:17], -v[16:17], v[24:25], v[22:23]
	s_nop 1
	v_div_fmas_f64 v[16:17], v[16:17], v[20:21], v[24:25]
	v_cmp_nlt_f64_e32 vcc, s[0:1], v[6:7]
	s_andn2_b64 s[0:1], s[12:13], exec
	s_and_b64 s[16:17], vcc, exec
	v_div_fixup_f64 v[10:11], v[16:17], v[10:11], v[18:19]
	s_or_b64 s[0:1], s[0:1], s[16:17]
.LBB1_49:
	s_or_b64 exec, exec, s[14:15]
	s_and_saveexec_b64 s[14:15], s[0:1]
	s_cbranch_execz .LBB1_53
; %bb.50:
	v_mul_f64 v[16:17], v[6:7], v[6:7]
	s_mov_b32 s18, 0
	v_mul_f64 v[18:19], v[6:7], v[16:17]
	v_mov_b64_e32 v[24:25], 1.0
	s_mov_b64 s[16:17], 0
	v_mov_b64_e32 v[22:23], 1.0
	s_mov_b32 s19, 0x3cb00000
	v_mov_b64_e32 v[20:21], v[6:7]
	v_mov_b64_e32 v[16:17], 1.0
.LBB1_51:                               ; =>This Inner Loop Header: Depth=1
	v_mul_f64 v[24:25], v[18:19], v[24:25]
	v_add_f64 v[26:27], v[22:23], 1.0
	v_mul_f64 v[6:7], v[18:19], v[6:7]
	v_div_scale_f64 v[28:29], s[0:1], v[26:27], v[26:27], v[24:25]
	v_add_f64 v[32:33], v[26:27], 1.0
	v_rcp_f64_e32 v[34:35], v[28:29]
	v_div_scale_f64 v[36:37], s[0:1], v[32:33], v[32:33], v[6:7]
	v_rcp_f64_e32 v[48:49], v[36:37]
	v_fma_f64 v[50:51], -v[28:29], v[34:35], 1.0
	v_fmac_f64_e32 v[34:35], v[34:35], v[50:51]
	v_fma_f64 v[52:53], -v[28:29], v[34:35], 1.0
	v_fma_f64 v[50:51], -v[36:37], v[48:49], 1.0
	v_fmac_f64_e32 v[48:49], v[48:49], v[50:51]
	v_div_scale_f64 v[30:31], vcc, v[24:25], v[26:27], v[24:25]
	v_fmac_f64_e32 v[34:35], v[34:35], v[52:53]
	v_fma_f64 v[50:51], -v[36:37], v[48:49], 1.0
	v_div_scale_f64 v[38:39], s[0:1], v[6:7], v[32:33], v[6:7]
	v_mul_f64 v[52:53], v[30:31], v[34:35]
	v_fmac_f64_e32 v[48:49], v[48:49], v[50:51]
	v_fma_f64 v[28:29], -v[28:29], v[52:53], v[30:31]
	v_mul_f64 v[30:31], v[38:39], v[48:49]
	v_div_fmas_f64 v[28:29], v[28:29], v[34:35], v[52:53]
	v_fma_f64 v[34:35], -v[36:37], v[30:31], v[38:39]
	s_mov_b64 vcc, s[0:1]
	v_div_fixup_f64 v[24:25], v[28:29], v[26:27], v[24:25]
	v_div_fmas_f64 v[26:27], v[34:35], v[48:49], v[30:31]
	v_div_fixup_f64 v[6:7], v[26:27], v[32:33], v[6:7]
	v_div_scale_f64 v[26:27], s[0:1], v[32:33], v[32:33], v[24:25]
	v_add_f64 v[22:23], v[32:33], 1.0
	v_rcp_f64_e32 v[30:31], v[26:27]
	v_div_scale_f64 v[34:35], s[0:1], v[22:23], v[22:23], v[6:7]
	v_rcp_f64_e32 v[38:39], v[34:35]
	v_fma_f64 v[48:49], -v[26:27], v[30:31], 1.0
	v_fmac_f64_e32 v[30:31], v[30:31], v[48:49]
	v_fma_f64 v[50:51], -v[26:27], v[30:31], 1.0
	v_fma_f64 v[48:49], -v[34:35], v[38:39], 1.0
	v_div_scale_f64 v[28:29], vcc, v[24:25], v[32:33], v[24:25]
	v_fmac_f64_e32 v[38:39], v[38:39], v[48:49]
	v_fmac_f64_e32 v[30:31], v[30:31], v[50:51]
	v_fma_f64 v[48:49], -v[34:35], v[38:39], 1.0
	v_mul_f64 v[50:51], v[28:29], v[30:31]
	v_div_scale_f64 v[36:37], s[0:1], v[6:7], v[22:23], v[6:7]
	v_fmac_f64_e32 v[38:39], v[38:39], v[48:49]
	v_fma_f64 v[26:27], -v[26:27], v[50:51], v[28:29]
	v_mul_f64 v[28:29], v[36:37], v[38:39]
	v_div_fmas_f64 v[26:27], v[26:27], v[30:31], v[50:51]
	v_fma_f64 v[30:31], -v[34:35], v[28:29], v[36:37]
	v_div_fixup_f64 v[24:25], v[26:27], v[32:33], v[24:25]
	s_mov_b64 vcc, s[0:1]
	v_div_fmas_f64 v[26:27], v[30:31], v[38:39], v[28:29]
	v_add_f64 v[16:17], v[16:17], v[24:25]
	v_div_fixup_f64 v[6:7], v[26:27], v[22:23], v[6:7]
	v_div_scale_f64 v[26:27], s[0:1], v[16:17], v[16:17], v[24:25]
	v_rcp_f64_e32 v[28:29], v[26:27]
	v_div_scale_f64 v[30:31], vcc, v[24:25], v[16:17], v[24:25]
	v_add_f64 v[20:21], v[20:21], v[6:7]
	v_fma_f64 v[32:33], -v[26:27], v[28:29], 1.0
	v_fmac_f64_e32 v[28:29], v[28:29], v[32:33]
	v_fma_f64 v[32:33], -v[26:27], v[28:29], 1.0
	v_fmac_f64_e32 v[28:29], v[28:29], v[32:33]
	v_mul_f64 v[32:33], v[30:31], v[28:29]
	v_fma_f64 v[26:27], -v[26:27], v[32:33], v[30:31]
	v_div_fmas_f64 v[26:27], v[26:27], v[28:29], v[32:33]
	v_div_fixup_f64 v[26:27], v[26:27], v[16:17], v[24:25]
	v_cmp_ngt_f64_e64 s[0:1], |v[26:27]|, s[18:19]
	s_or_b64 s[16:17], s[0:1], s[16:17]
	s_andn2_b64 exec, exec, s[16:17]
	s_cbranch_execnz .LBB1_51
; %bb.52:
	s_or_b64 exec, exec, s[16:17]
	s_mov_b32 s0, 0x42b70f8b
	s_mov_b32 s1, 0xbfd0907f
	v_mul_f64 v[18:19], v[20:21], s[0:1]
	s_mov_b32 s0, 0x962715b8
	s_mov_b32 s1, 0x3fd6b8c7
	v_fmac_f64_e32 v[18:19], s[0:1], v[16:17]
	v_cndmask_b32_e64 v11, v11, v19, s[12:13]
	v_cndmask_b32_e64 v10, v10, v18, s[12:13]
.LBB1_53:
	s_or_b64 exec, exec, s[14:15]
.LBB1_54:
	s_andn2_saveexec_b64 s[10:11], s[10:11]
	s_cbranch_execz .LBB1_64
; %bb.55:
	s_mov_b32 s0, 0
	s_brev_b32 s1, 9
	v_mov_b32_e32 v10, 0x100
	v_cmp_lt_f64_e32 vcc, s[0:1], v[6:7]
	v_mul_f64 v[18:19], v[6:7], -2.0
	v_mov_b32_e32 v15, 0xffffff80
	v_cndmask_b32_e32 v10, 0, v10, vcc
	v_ldexp_f64 v[10:11], -v[6:7], v10
	v_rsq_f64_e32 v[16:17], v[10:11]
	v_cndmask_b32_e32 v15, 0, v15, vcc
	s_mov_b32 s12, 0
	s_mov_b32 s13, 0x40080000
	v_mul_f64 v[6:7], v[10:11], v[16:17]
	v_mul_f64 v[16:17], v[16:17], 0.5
	v_fma_f64 v[20:21], -v[16:17], v[6:7], 0.5
	v_fmac_f64_e32 v[6:7], v[6:7], v[20:21]
	v_fma_f64 v[22:23], -v[6:7], v[6:7], v[10:11]
	v_fmac_f64_e32 v[16:17], v[16:17], v[20:21]
	v_fmac_f64_e32 v[6:7], v[22:23], v[16:17]
	v_fma_f64 v[20:21], -v[6:7], v[6:7], v[10:11]
	v_fmac_f64_e32 v[6:7], v[20:21], v[16:17]
	v_ldexp_f64 v[6:7], v[6:7], v15
	v_mov_b32_e32 v15, 0x260
	v_cmp_class_f64_e32 vcc, v[10:11], v15
	s_mov_b32 s15, 0x3fe921fb
	s_mov_b32 s14, 0x54442d18
	v_cndmask_b32_e32 v7, v7, v11, vcc
	v_cndmask_b32_e32 v6, v6, v10, vcc
	v_mul_f64 v[10:11], v[18:19], v[6:7]
	v_div_scale_f64 v[16:17], s[0:1], s[12:13], s[12:13], v[10:11]
	v_rcp_f64_e32 v[18:19], v[16:17]
	s_movk_i32 s0, 0xff80
                                        ; implicit-def: $vgpr32
                                        ; implicit-def: $vgpr24_vgpr25
	v_fma_f64 v[20:21], -v[16:17], v[18:19], 1.0
	v_fmac_f64_e32 v[18:19], v[18:19], v[20:21]
	v_fma_f64 v[20:21], -v[16:17], v[18:19], 1.0
	v_fmac_f64_e32 v[18:19], v[18:19], v[20:21]
	v_div_scale_f64 v[20:21], vcc, v[10:11], s[12:13], v[10:11]
	v_mul_f64 v[22:23], v[20:21], v[18:19]
	v_fma_f64 v[16:17], -v[16:17], v[22:23], v[20:21]
	s_nop 1
	v_div_fmas_f64 v[16:17], v[16:17], v[18:19], v[22:23]
	v_div_fixup_f64 v[20:21], v[16:17], s[12:13], v[10:11]
	s_mov_b32 s12, 0
	v_add_f64 v[10:11], v[20:21], s[14:15]
	s_mov_b32 s13, 0x41d00000
	v_cmp_nlt_f64_e64 s[12:13], |v[10:11]|, s[12:13]
	v_trig_preop_f64 v[30:31], |v[10:11]|, 0
	v_trig_preop_f64 v[28:29], |v[10:11]|, 1
	;; [unrolled: 1-line block ×3, first 2 shown]
                                        ; implicit-def: $vgpr22_vgpr23
	s_and_saveexec_b64 s[16:17], s[12:13]
	s_xor_b64 s[16:17], exec, s[16:17]
	s_cbranch_execz .LBB1_57
; %bb.56:
	s_mov_b32 s18, 0
	s_mov_b32 s19, 0x7b000000
	v_and_b32_e32 v15, 0x7fffffff, v11
	v_ldexp_f64 v[16:17], |v[10:11]|, s0
	v_cmp_ge_f64_e64 vcc, |v[10:11]|, s[18:19]
	s_mov_b32 s0, 0
	s_mov_b32 s1, 0x7ff00000
	v_cndmask_b32_e32 v17, v15, v17, vcc
	v_cndmask_b32_e32 v16, v10, v16, vcc
	v_mul_f64 v[22:23], v[30:31], v[16:17]
	v_mul_f64 v[18:19], v[28:29], v[16:17]
	v_fma_f64 v[24:25], v[30:31], v[16:17], -v[22:23]
	v_add_f64 v[32:33], v[18:19], v[24:25]
	v_add_f64 v[48:49], v[32:33], -v[18:19]
	v_add_f64 v[24:25], v[24:25], -v[48:49]
	;; [unrolled: 1-line block ×4, first 2 shown]
	v_add_f64 v[24:25], v[24:25], v[48:49]
	v_fma_f64 v[18:19], v[28:29], v[16:17], -v[18:19]
	v_mul_f64 v[48:49], v[26:27], v[16:17]
	v_add_f64 v[50:51], v[48:49], v[18:19]
	v_add_f64 v[34:35], v[22:23], v[32:33]
	;; [unrolled: 1-line block ×3, first 2 shown]
	v_ldexp_f64 v[36:37], v[34:35], -2
	v_add_f64 v[22:23], v[34:35], -v[22:23]
	v_add_f64 v[34:35], v[52:53], -v[50:51]
	;; [unrolled: 1-line block ×5, first 2 shown]
	v_add_f64 v[24:25], v[24:25], v[34:35]
	v_add_f64 v[34:35], v[50:51], -v[48:49]
	v_add_f64 v[18:19], v[18:19], -v[34:35]
	;; [unrolled: 1-line block ×5, first 2 shown]
	v_add_f64 v[18:19], v[18:19], v[34:35]
	v_fract_f64_e32 v[38:39], v[36:37]
	v_add_f64 v[32:33], v[22:23], v[52:53]
	v_add_f64 v[18:19], v[18:19], v[24:25]
	v_fma_f64 v[16:17], v[26:27], v[16:17], -v[48:49]
	v_add_f64 v[22:23], v[32:33], -v[22:23]
	v_add_f64 v[16:17], v[16:17], v[18:19]
	v_ldexp_f64 v[18:19], v[38:39], 2
	v_cmp_neq_f64_e64 vcc, |v[36:37]|, s[0:1]
	v_add_f64 v[22:23], v[52:53], -v[22:23]
	v_add_f64 v[16:17], v[22:23], v[16:17]
	v_cndmask_b32_e32 v19, 0, v19, vcc
	v_cndmask_b32_e32 v18, 0, v18, vcc
	v_add_f64 v[22:23], v[32:33], v[18:19]
	v_mov_b32_e32 v15, 0x40100000
	v_cmp_gt_f64_e32 vcc, 0, v[22:23]
	v_mov_b32_e32 v22, 0
	s_mov_b32 s15, 0x3ff921fb
	v_cndmask_b32_e32 v23, 0, v15, vcc
	v_add_f64 v[18:19], v[18:19], v[22:23]
	v_add_f64 v[24:25], v[32:33], v[18:19]
	v_cvt_i32_f64_e32 v15, v[24:25]
	v_cvt_f64_i32_e32 v[24:25], v15
	v_add_f64 v[18:19], v[18:19], -v[24:25]
	v_add_f64 v[24:25], v[32:33], v[18:19]
	v_add_f64 v[18:19], v[24:25], -v[18:19]
	v_cmp_le_f64_e32 vcc, 0.5, v[24:25]
	v_add_f64 v[18:19], v[32:33], -v[18:19]
	v_add_f64 v[16:17], v[16:17], v[18:19]
	v_addc_co_u32_e64 v32, s[0:1], 0, v15, vcc
	v_mov_b32_e32 v15, 0x3ff00000
	v_cndmask_b32_e32 v23, 0, v15, vcc
	v_add_f64 v[18:19], v[24:25], -v[22:23]
	v_add_f64 v[22:23], v[18:19], v[16:17]
	v_add_f64 v[18:19], v[22:23], -v[18:19]
	v_add_f64 v[16:17], v[16:17], -v[18:19]
	v_mul_f64 v[18:19], v[22:23], s[14:15]
	s_mov_b32 s0, 0x33145c07
	v_fma_f64 v[24:25], v[22:23], s[14:15], -v[18:19]
	s_mov_b32 s1, 0x3c91a626
	v_fmac_f64_e32 v[24:25], s[0:1], v[22:23]
	v_fmac_f64_e32 v[24:25], s[14:15], v[16:17]
	v_add_f64 v[22:23], v[18:19], v[24:25]
	v_add_f64 v[16:17], v[22:23], -v[18:19]
	v_add_f64 v[24:25], v[24:25], -v[16:17]
	s_andn2_saveexec_b64 s[0:1], s[16:17]
	s_cbranch_execz .LBB1_59
	s_branch .LBB1_58
.LBB1_57:
	s_andn2_saveexec_b64 s[0:1], s[16:17]
	s_cbranch_execz .LBB1_59
.LBB1_58:
	s_mov_b32 s14, 0x6dc9c883
	s_mov_b32 s15, 0x3fe45f30
	v_mul_f64 v[16:17], |v[10:11]|, s[14:15]
	s_mov_b32 s14, 0x54442d18
	v_rndne_f64_e32 v[16:17], v[16:17]
	s_mov_b32 s15, 0xbff921fb
	v_fma_f64 v[18:19], v[16:17], s[14:15], |v[10:11]|
	s_mov_b32 s15, 0xbc91a626
	s_mov_b32 s14, 0x33145c00
	v_mul_f64 v[22:23], v[16:17], s[14:15]
	v_add_f64 v[34:35], v[18:19], v[22:23]
	v_fma_f64 v[24:25], s[14:15], v[16:17], v[18:19]
	s_mov_b32 s15, 0x3c91a626
	v_add_f64 v[18:19], v[18:19], -v[34:35]
	v_fma_f64 v[32:33], s[14:15], v[16:17], v[22:23]
	v_add_f64 v[18:19], v[18:19], v[22:23]
	v_add_f64 v[22:23], v[34:35], -v[24:25]
	v_add_f64 v[18:19], v[22:23], v[18:19]
	s_mov_b32 s14, 0x252049c0
	v_add_f64 v[18:19], v[18:19], -v[32:33]
	s_mov_b32 s15, 0xb97b839a
	v_fmac_f64_e32 v[18:19], s[14:15], v[16:17]
	v_add_f64 v[22:23], v[24:25], v[18:19]
	v_add_f64 v[24:25], v[22:23], -v[24:25]
	v_add_f64 v[24:25], v[18:19], -v[24:25]
	v_cvt_i32_f64_e32 v32, v[16:17]
.LBB1_59:
	s_or_b64 exec, exec, s[0:1]
                                        ; implicit-def: $vgpr15
                                        ; implicit-def: $vgpr16_vgpr17
                                        ; implicit-def: $vgpr18_vgpr19
	s_and_saveexec_b64 s[0:1], s[12:13]
	s_xor_b64 s[12:13], exec, s[0:1]
	s_cbranch_execz .LBB1_61
; %bb.60:
	s_mov_b32 s0, 0
	s_mov_b32 s1, 0x7b000000
	s_movk_i32 s14, 0xff80
	v_and_b32_e32 v15, 0x7fffffff, v11
	v_ldexp_f64 v[16:17], |v[10:11]|, s14
	v_cmp_ge_f64_e64 vcc, |v[10:11]|, s[0:1]
	s_mov_b32 s0, 0
	s_mov_b32 s1, 0x7ff00000
	v_cndmask_b32_e32 v17, v15, v17, vcc
	v_cndmask_b32_e32 v16, v10, v16, vcc
	v_mul_f64 v[34:35], v[30:31], v[16:17]
	v_mul_f64 v[18:19], v[28:29], v[16:17]
	v_fma_f64 v[30:31], v[30:31], v[16:17], -v[34:35]
	v_add_f64 v[36:37], v[18:19], v[30:31]
	v_add_f64 v[52:53], v[36:37], -v[18:19]
	v_add_f64 v[30:31], v[30:31], -v[52:53]
	;; [unrolled: 1-line block ×4, first 2 shown]
	v_fma_f64 v[18:19], v[28:29], v[16:17], -v[18:19]
	v_mul_f64 v[28:29], v[26:27], v[16:17]
	v_add_f64 v[30:31], v[30:31], v[52:53]
	v_add_f64 v[52:53], v[28:29], v[18:19]
	;; [unrolled: 1-line block ×4, first 2 shown]
	v_ldexp_f64 v[48:49], v[38:39], -2
	v_add_f64 v[34:35], v[38:39], -v[34:35]
	v_add_f64 v[38:39], v[54:55], -v[52:53]
	;; [unrolled: 1-line block ×5, first 2 shown]
	v_add_f64 v[30:31], v[30:31], v[38:39]
	v_add_f64 v[38:39], v[52:53], -v[28:29]
	v_add_f64 v[18:19], v[18:19], -v[38:39]
	;; [unrolled: 1-line block ×4, first 2 shown]
	v_add_f64 v[18:19], v[18:19], v[38:39]
	v_fract_f64_e32 v[50:51], v[48:49]
	v_add_f64 v[18:19], v[18:19], v[30:31]
	v_fma_f64 v[16:17], v[26:27], v[16:17], -v[28:29]
	v_add_f64 v[34:35], v[36:37], -v[34:35]
	v_add_f64 v[16:17], v[16:17], v[18:19]
	v_ldexp_f64 v[18:19], v[50:51], 2
	v_cmp_neq_f64_e64 vcc, |v[48:49]|, s[0:1]
	v_add_f64 v[36:37], v[34:35], v[54:55]
	v_mov_b32_e32 v15, 0x40100000
	v_cndmask_b32_e32 v19, 0, v19, vcc
	v_cndmask_b32_e32 v18, 0, v18, vcc
	v_add_f64 v[26:27], v[36:37], v[18:19]
	v_cmp_gt_f64_e32 vcc, 0, v[26:27]
	v_mov_b32_e32 v26, 0
	v_add_f64 v[34:35], v[36:37], -v[34:35]
	v_cndmask_b32_e32 v27, 0, v15, vcc
	v_add_f64 v[18:19], v[18:19], v[26:27]
	v_add_f64 v[28:29], v[36:37], v[18:19]
	v_cvt_i32_f64_e32 v15, v[28:29]
	v_cvt_f64_i32_e32 v[28:29], v15
	v_add_f64 v[18:19], v[18:19], -v[28:29]
	v_add_f64 v[28:29], v[36:37], v[18:19]
	v_add_f64 v[34:35], v[54:55], -v[34:35]
	v_add_f64 v[18:19], v[28:29], -v[18:19]
	v_add_f64 v[16:17], v[34:35], v[16:17]
	v_add_f64 v[18:19], v[36:37], -v[18:19]
	v_add_f64 v[16:17], v[16:17], v[18:19]
	v_cmp_le_f64_e32 vcc, 0.5, v[28:29]
	v_mov_b32_e32 v18, 0x3ff00000
	s_mov_b32 s14, 0x33145c07
	v_cndmask_b32_e32 v27, 0, v18, vcc
	v_addc_co_u32_e64 v15, s[0:1], 0, v15, vcc
	v_add_f64 v[18:19], v[28:29], -v[26:27]
	v_add_f64 v[26:27], v[18:19], v[16:17]
	s_mov_b32 s0, 0x54442d18
	v_add_f64 v[18:19], v[26:27], -v[18:19]
	s_mov_b32 s1, 0x3ff921fb
	v_add_f64 v[16:17], v[16:17], -v[18:19]
	v_mul_f64 v[18:19], v[26:27], s[0:1]
	v_fma_f64 v[28:29], v[26:27], s[0:1], -v[18:19]
	s_mov_b32 s15, 0x3c91a626
	v_fmac_f64_e32 v[28:29], s[14:15], v[26:27]
	v_fmac_f64_e32 v[28:29], s[0:1], v[16:17]
	v_add_f64 v[16:17], v[18:19], v[28:29]
	v_add_f64 v[18:19], v[16:17], -v[18:19]
	v_add_f64 v[18:19], v[28:29], -v[18:19]
	s_andn2_saveexec_b64 s[0:1], s[12:13]
	s_cbranch_execnz .LBB1_62
	s_branch .LBB1_63
.LBB1_61:
	s_andn2_saveexec_b64 s[0:1], s[12:13]
	s_cbranch_execz .LBB1_63
.LBB1_62:
	s_mov_b32 s12, 0x6dc9c883
	s_mov_b32 s13, 0x3fe45f30
	v_mul_f64 v[16:17], |v[10:11]|, s[12:13]
	s_mov_b32 s12, 0x54442d18
	v_rndne_f64_e32 v[26:27], v[16:17]
	s_mov_b32 s13, 0xbff921fb
	v_fma_f64 v[16:17], v[26:27], s[12:13], |v[10:11]|
	s_mov_b32 s13, 0xbc91a626
	s_mov_b32 s12, 0x33145c00
	v_mul_f64 v[28:29], v[26:27], s[12:13]
	v_add_f64 v[34:35], v[16:17], v[28:29]
	v_fma_f64 v[18:19], s[12:13], v[26:27], v[16:17]
	s_mov_b32 s13, 0x3c91a626
	v_add_f64 v[16:17], v[16:17], -v[34:35]
	v_fma_f64 v[30:31], s[12:13], v[26:27], v[28:29]
	v_add_f64 v[16:17], v[16:17], v[28:29]
	v_add_f64 v[28:29], v[34:35], -v[18:19]
	v_add_f64 v[16:17], v[28:29], v[16:17]
	s_mov_b32 s12, 0x252049c0
	v_add_f64 v[28:29], v[16:17], -v[30:31]
	s_mov_b32 s13, 0xb97b839a
	v_fmac_f64_e32 v[28:29], s[12:13], v[26:27]
	v_add_f64 v[16:17], v[18:19], v[28:29]
	v_add_f64 v[18:19], v[16:17], -v[18:19]
	v_add_f64 v[18:19], v[28:29], -v[18:19]
	v_cvt_i32_f64_e32 v15, v[26:27]
.LBB1_63:
	s_or_b64 exec, exec, s[0:1]
	v_div_scale_f64 v[26:27], s[0:1], v[20:21], v[20:21], 1.0
	v_rcp_f64_e32 v[28:29], v[26:27]
	v_div_scale_f64 v[30:31], vcc, 1.0, v[20:21], 1.0
	v_mov_b32_e32 v36, 0xb99518a7
	v_fma_f64 v[34:35], -v[26:27], v[28:29], 1.0
	v_fmac_f64_e32 v[28:29], v[28:29], v[34:35]
	v_fma_f64 v[34:35], -v[26:27], v[28:29], 1.0
	v_fmac_f64_e32 v[28:29], v[28:29], v[34:35]
	v_mul_f64 v[34:35], v[30:31], v[28:29]
	v_fma_f64 v[26:27], -v[26:27], v[34:35], v[30:31]
	v_div_fmas_f64 v[26:27], v[26:27], v[28:29], v[34:35]
	v_div_fixup_f64 v[20:21], v[26:27], v[20:21], 1.0
	v_mul_f64 v[26:27], v[20:21], v[20:21]
	v_mov_b32_e32 v28, 0xd50ae6fb
	v_mov_b32_e32 v29, 0xbfc0db6c
	v_fmac_f64_e32 v[28:29], 0, v[26:27]
	v_mov_b32_e32 v30, 0x98566852
	v_mov_b32_e32 v31, 0xbfe40bee
	v_fmac_f64_e32 v[30:31], v[26:27], v[28:29]
	;; [unrolled: 3-line block ×16, first 2 shown]
	v_mov_b32_e32 v37, 0x3e9e52b9
	v_mul_f64 v[38:39], v[22:23], v[22:23]
	v_fmac_f64_e32 v[36:37], v[26:27], v[34:35]
	v_mov_b32_e32 v34, 0xf68ea2d2
	v_mov_b32_e32 v35, 0xbe52041c
	v_mul_f64 v[28:29], v[38:39], 0.5
	v_fmac_f64_e32 v[34:35], v[26:27], v[30:31]
	v_add_f64 v[30:31], -v[28:29], 1.0
	s_mov_b32 s0, 0x9037ab78
	v_add_f64 v[48:49], -v[30:31], 1.0
	s_mov_b32 s1, 0x3e21eeb6
	s_mov_b32 s12, 0x46cc5e42
	v_add_f64 v[48:49], v[48:49], -v[28:29]
	s_mov_b32 s13, 0xbda907db
	v_mov_b64_e32 v[28:29], s[0:1]
	s_mov_b32 s14, 0xa17f65f6
	v_fma_f64 v[52:53], s[12:13], v[38:39], v[28:29]
	s_mov_b32 s15, 0xbe927e4f
	s_mov_b32 s16, 0x19f4ec90
	v_fma_f64 v[52:53], v[38:39], v[52:53], s[14:15]
	s_mov_b32 s17, 0x3efa01a0
	s_mov_b32 s18, 0x16c16967
	v_fma_f64 v[52:53], v[38:39], v[52:53], s[16:17]
	s_mov_b32 s19, 0xbf56c16c
	s_mov_b32 s20, 0x55555555
	v_fma_f64 v[52:53], v[38:39], v[52:53], s[18:19]
	s_mov_b32 s21, 0x3fa55555
	v_mul_f64 v[50:51], v[38:39], v[38:39]
	v_fma_f64 v[52:53], v[38:39], v[52:53], s[20:21]
	v_fma_f64 v[48:49], v[22:23], -v[24:25], v[48:49]
	s_mov_b32 s0, 0xb42fdfa7
	v_fmac_f64_e32 v[48:49], v[50:51], v[52:53]
	s_mov_b32 s1, 0xbe5ae600
	s_mov_b32 s22, 0xf9a43bb8
	v_add_f64 v[48:49], v[30:31], v[48:49]
	s_mov_b32 s23, 0x3de5e0b2
	v_mov_b64_e32 v[30:31], s[0:1]
	s_mov_b32 s24, 0x796cde01
	v_fma_f64 v[50:51], s[22:23], v[38:39], v[30:31]
	s_mov_b32 s25, 0x3ec71de3
	s_mov_b32 s26, 0x19e83e5c
	v_fma_f64 v[50:51], v[38:39], v[50:51], s[24:25]
	s_mov_b32 s27, 0xbf2a01a0
	;; [unrolled: 3-line block ×3, first 2 shown]
	v_fma_f64 v[50:51], v[38:39], v[50:51], s[28:29]
	v_mul_f64 v[52:53], v[22:23], -v[38:39]
	v_mul_f64 v[54:55], v[24:25], 0.5
	v_fmac_f64_e32 v[54:55], v[52:53], v[50:51]
	v_fma_f64 v[24:25], v[38:39], v[54:55], -v[24:25]
	s_mov_b32 s41, 0xbfc55555
	s_mov_b32 s40, s20
	v_fmac_f64_e32 v[24:25], s[40:41], v[52:53]
	v_add_f64 v[22:23], v[22:23], -v[24:25]
	v_and_b32_e32 v24, 1, v32
	v_cmp_eq_u32_e32 vcc, 0, v24
	s_brev_b32 s42, 1
	s_movk_i32 s43, 0x1f8
	v_cndmask_b32_e32 v38, v48, v22, vcc
	v_cndmask_b32_e32 v22, v49, v23, vcc
	v_lshlrev_b32_e32 v23, 30, v32
	v_xor_b32_e32 v23, v23, v11
	v_bitop3_b32 v39, v22, v23, s42 bitop3:0x78
	v_mul_f64 v[22:23], v[26:27], v[34:35]
	v_div_scale_f64 v[24:25], s[0:1], v[36:37], v[36:37], v[22:23]
	v_rcp_f64_e32 v[32:33], v[24:25]
	v_cmp_class_f64_e64 s[0:1], v[10:11], s43
	v_mov_b32_e32 v50, 0x7ff80000
	s_mov_b32 s44, 0
	v_fma_f64 v[34:35], -v[24:25], v[32:33], 1.0
	v_fmac_f64_e32 v[32:33], v[32:33], v[34:35]
	v_fma_f64 v[34:35], -v[24:25], v[32:33], 1.0
	v_fmac_f64_e32 v[32:33], v[32:33], v[34:35]
	v_div_scale_f64 v[34:35], vcc, v[22:23], v[36:37], v[22:23]
	v_cndmask_b32_e64 v10, 0, v38, s[0:1]
	v_cndmask_b32_e64 v11, v50, v39, s[0:1]
	v_mul_f64 v[38:39], v[34:35], v[32:33]
	v_fma_f64 v[24:25], -v[24:25], v[38:39], v[34:35]
	v_div_fmas_f64 v[24:25], v[24:25], v[32:33], v[38:39]
	v_div_fixup_f64 v[22:23], v[24:25], v[36:37], v[22:23]
	v_mov_b32_e32 v24, 0xddcfbbde
	v_mov_b32_e32 v25, 0x3f943525
	v_fmac_f64_e32 v[24:25], 0, v[26:27]
	v_mov_b32_e32 v32, 0x6437b7
	v_mov_b32_e32 v33, 0x3fd907d5
	v_fmac_f64_e32 v[32:33], v[26:27], v[24:25]
	;; [unrolled: 3-line block ×18, first 2 shown]
	v_mov_b32_e32 v34, 0xd603a5a0
	v_mov_b32_e32 v35, 0x3f1a8b61
	s_brev_b32 s45, 8
	v_fmac_f64_e32 v[34:35], v[26:27], v[32:33]
	v_mov_b32_e32 v32, 0x100
	v_cmp_gt_f64_e32 vcc, s[44:45], v[6:7]
	v_mov_b32_e32 v36, 0xdb0724e8
	v_mov_b32_e32 v37, 0x3eb3a845
	v_cndmask_b32_e32 v32, 0, v32, vcc
	v_ldexp_f64 v[6:7], v[6:7], v32
	v_rsq_f64_e32 v[32:33], v[6:7]
	v_fmac_f64_e32 v[36:37], v[26:27], v[34:35]
	s_mov_b32 s44, 0x50429b6d
	s_mov_b32 s45, 0x3fe20dd7
	v_mul_f64 v[34:35], v[6:7], v[32:33]
	v_mul_f64 v[32:33], v[32:33], 0.5
	v_fma_f64 v[38:39], -v[32:33], v[34:35], 0.5
	v_fmac_f64_e32 v[34:35], v[34:35], v[38:39]
	v_fma_f64 v[48:49], -v[34:35], v[34:35], v[6:7]
	v_fmac_f64_e32 v[32:33], v[32:33], v[38:39]
	v_fmac_f64_e32 v[34:35], v[48:49], v[32:33]
	v_fma_f64 v[38:39], -v[34:35], v[34:35], v[6:7]
	v_fmac_f64_e32 v[34:35], v[38:39], v[32:33]
	v_mov_b32_e32 v32, 0xffffff80
	v_cndmask_b32_e32 v32, 0, v32, vcc
	v_ldexp_f64 v[32:33], v[34:35], v32
	v_mov_b32_e32 v34, 0x260
	v_cmp_class_f64_e32 vcc, v[6:7], v34
	v_mov_b32_e32 v38, 0x3dd589d4
	v_mov_b32_e32 v39, 0x3e351fc7
	v_cndmask_b32_e32 v7, v33, v7, vcc
	v_cndmask_b32_e32 v6, v32, v6, vcc
	v_div_scale_f64 v[32:33], s[46:47], v[6:7], v[6:7], s[44:45]
	v_rcp_f64_e32 v[34:35], v[32:33]
	v_fmac_f64_e32 v[38:39], v[26:27], v[36:37]
	v_add_f64 v[22:23], v[22:23], 1.0
	v_fma_f64 v[26:27], -v[32:33], v[34:35], 1.0
	v_fmac_f64_e32 v[34:35], v[34:35], v[26:27]
	v_fma_f64 v[26:27], -v[32:33], v[34:35], 1.0
	v_fmac_f64_e32 v[34:35], v[34:35], v[26:27]
	v_div_scale_f64 v[26:27], vcc, s[44:45], v[6:7], s[44:45]
	v_mul_f64 v[36:37], v[26:27], v[34:35]
	v_fma_f64 v[26:27], -v[32:33], v[36:37], v[26:27]
	s_nop 1
	v_div_fmas_f64 v[26:27], v[26:27], v[34:35], v[36:37]
	v_div_fixup_f64 v[6:7], v[26:27], v[6:7], s[44:45]
	v_mul_f64 v[26:27], v[16:17], v[16:17]
	v_mul_f64 v[32:33], v[26:27], 0.5
	v_fmac_f64_e32 v[28:29], s[12:13], v[26:27]
	v_add_f64 v[34:35], -v[32:33], 1.0
	v_fma_f64 v[28:29], v[26:27], v[28:29], s[14:15]
	v_add_f64 v[36:37], -v[34:35], 1.0
	v_fma_f64 v[28:29], v[26:27], v[28:29], s[16:17]
	v_add_f64 v[32:33], v[36:37], -v[32:33]
	v_fma_f64 v[28:29], v[26:27], v[28:29], s[18:19]
	v_fmac_f64_e32 v[30:31], s[22:23], v[26:27]
	v_mul_f64 v[36:37], v[26:27], v[26:27]
	v_fma_f64 v[28:29], v[26:27], v[28:29], s[20:21]
	v_fma_f64 v[32:33], v[16:17], -v[18:19], v[32:33]
	v_fma_f64 v[30:31], v[26:27], v[30:31], s[24:25]
	v_fmac_f64_e32 v[32:33], v[36:37], v[28:29]
	v_fma_f64 v[30:31], v[26:27], v[30:31], s[26:27]
	v_add_f64 v[28:29], v[34:35], v[32:33]
	v_fma_f64 v[30:31], v[26:27], v[30:31], s[28:29]
	v_mul_f64 v[32:33], v[16:17], -v[26:27]
	v_mul_f64 v[34:35], v[18:19], 0.5
	v_fmac_f64_e32 v[34:35], v[32:33], v[30:31]
	v_fma_f64 v[18:19], v[26:27], v[34:35], -v[18:19]
	v_fmac_f64_e32 v[18:19], s[40:41], v[32:33]
	v_add_f64 v[16:17], v[16:17], -v[18:19]
	v_and_b32_e32 v18, 1, v15
	v_xor_b32_e32 v17, 0x80000000, v17
	v_cmp_eq_u32_e32 vcc, 0, v18
	v_lshlrev_b32_e32 v15, 30, v15
	s_nop 0
	v_cndmask_b32_e32 v26, v16, v28, vcc
	v_cndmask_b32_e32 v27, v17, v29, vcc
	v_mul_f64 v[16:17], v[20:21], v[24:25]
	v_div_scale_f64 v[18:19], s[12:13], v[38:39], v[38:39], v[16:17]
	v_rcp_f64_e32 v[20:21], v[18:19]
	v_bitop3_b32 v15, v27, v15, s42 bitop3:0x78
	v_cndmask_b32_e64 v24, 0, v26, s[0:1]
	v_cndmask_b32_e64 v25, v50, v15, s[0:1]
	v_fma_f64 v[26:27], -v[18:19], v[20:21], 1.0
	v_fmac_f64_e32 v[20:21], v[20:21], v[26:27]
	v_fma_f64 v[26:27], -v[18:19], v[20:21], 1.0
	v_fmac_f64_e32 v[20:21], v[20:21], v[26:27]
	v_div_scale_f64 v[26:27], vcc, v[16:17], v[38:39], v[16:17]
	v_mul_f64 v[28:29], v[26:27], v[20:21]
	v_fma_f64 v[18:19], -v[18:19], v[28:29], v[26:27]
	s_nop 1
	v_div_fmas_f64 v[18:19], v[18:19], v[20:21], v[28:29]
	v_div_fixup_f64 v[16:17], v[18:19], v[38:39], v[16:17]
	v_mul_f64 v[16:17], v[16:17], v[24:25]
	v_fma_f64 v[10:11], v[22:23], v[10:11], -v[16:17]
	v_mul_f64 v[10:11], v[6:7], v[10:11]
.LBB1_64:
	s_or_b64 exec, exec, s[10:11]
.LBB1_65:
	s_or_b64 exec, exec, s[8:9]
.LBB1_66:
	s_or_b64 exec, exec, s[6:7]
	v_cmp_neq_f64_e64 s[0:1], |v[8:9]|, s[4:5]
	s_and_saveexec_b64 s[4:5], s[0:1]
	s_cbranch_execz .LBB1_88
; %bb.67:
	s_mov_b32 s0, 0x872b020c
	s_mov_b32 s1, 0x4059f916
	v_cmp_nlt_f64_e32 vcc, s[0:1], v[8:9]
	v_mov_b64_e32 v[12:13], 0
	s_and_saveexec_b64 s[6:7], vcc
	s_cbranch_execz .LBB1_87
; %bb.68:
	s_mov_b32 s1, 0xc000b851
	s_mov_b32 s0, 0xeb851eb8
	v_cmp_ngt_f64_e32 vcc, s[0:1], v[8:9]
	s_and_saveexec_b64 s[8:9], vcc
	s_xor_b64 s[8:9], exec, s[8:9]
	s_cbranch_execz .LBB1_76
; %bb.69:
	s_mov_b32 s1, 0x4000b851
	v_cmp_nle_f64_e64 s[10:11], s[0:1], v[8:9]
	v_cmp_le_f64_e32 vcc, s[0:1], v[8:9]
	v_mov_b64_e32 v[12:13], 0
	s_mov_b64 s[0:1], s[10:11]
	s_and_saveexec_b64 s[12:13], vcc
	s_cbranch_execz .LBB1_71
; %bb.70:
	s_mov_b32 s0, 0
	s_brev_b32 s1, 8
	v_mov_b32_e32 v15, 0x100
	v_cmp_gt_f64_e32 vcc, s[0:1], v[8:9]
	v_mov_b32_e32 v28, 0xffffff80
	v_mov_b32_e32 v29, 0x260
	v_cndmask_b32_e32 v6, 0, v15, vcc
	v_ldexp_f64 v[6:7], v[8:9], v6
	v_rsq_f64_e32 v[12:13], v[6:7]
	v_add_f64 v[16:17], v[8:9], v[8:9]
	s_mov_b32 s14, 0
	s_mov_b32 s15, 0x40080000
	v_mul_f64 v[18:19], v[6:7], v[12:13]
	v_mul_f64 v[12:13], v[12:13], 0.5
	v_fma_f64 v[20:21], -v[12:13], v[18:19], 0.5
	v_fmac_f64_e32 v[18:19], v[18:19], v[20:21]
	v_fma_f64 v[22:23], -v[18:19], v[18:19], v[6:7]
	v_fmac_f64_e32 v[12:13], v[12:13], v[20:21]
	v_fmac_f64_e32 v[18:19], v[22:23], v[12:13]
	v_fma_f64 v[20:21], -v[18:19], v[18:19], v[6:7]
	v_fmac_f64_e32 v[18:19], v[20:21], v[12:13]
	v_cndmask_b32_e32 v12, 0, v28, vcc
	v_ldexp_f64 v[12:13], v[18:19], v12
	v_cmp_class_f64_e32 vcc, v[6:7], v29
	s_nop 1
	v_cndmask_b32_e32 v7, v13, v7, vcc
	v_cndmask_b32_e32 v6, v12, v6, vcc
	v_mul_f64 v[12:13], v[16:17], v[6:7]
	v_div_scale_f64 v[16:17], s[16:17], s[14:15], s[14:15], v[12:13]
	v_rcp_f64_e32 v[18:19], v[16:17]
	s_nop 0
	v_fma_f64 v[20:21], -v[16:17], v[18:19], 1.0
	v_fmac_f64_e32 v[18:19], v[18:19], v[20:21]
	v_fma_f64 v[20:21], -v[16:17], v[18:19], 1.0
	v_fmac_f64_e32 v[18:19], v[18:19], v[20:21]
	v_div_scale_f64 v[20:21], vcc, v[12:13], s[14:15], v[12:13]
	v_mul_f64 v[22:23], v[20:21], v[18:19]
	v_fma_f64 v[16:17], -v[16:17], v[22:23], v[20:21]
	s_nop 1
	v_div_fmas_f64 v[16:17], v[16:17], v[18:19], v[22:23]
	v_div_fixup_f64 v[12:13], v[16:17], s[14:15], v[12:13]
	v_div_scale_f64 v[16:17], s[14:15], v[12:13], v[12:13], 1.0
	v_rcp_f64_e32 v[18:19], v[16:17]
	s_nop 0
	v_fma_f64 v[20:21], -v[16:17], v[18:19], 1.0
	v_fmac_f64_e32 v[18:19], v[18:19], v[20:21]
	v_fma_f64 v[20:21], -v[16:17], v[18:19], 1.0
	v_fmac_f64_e32 v[18:19], v[18:19], v[20:21]
	v_div_scale_f64 v[20:21], vcc, 1.0, v[12:13], 1.0
	v_mul_f64 v[22:23], v[20:21], v[18:19]
	v_fma_f64 v[16:17], -v[16:17], v[22:23], v[20:21]
	v_mov_b32_e32 v20, 0x871a9067
	s_nop 0
	v_div_fmas_f64 v[16:17], v[16:17], v[18:19], v[22:23]
	v_div_fixup_f64 v[16:17], v[16:17], v[12:13], 1.0
	v_mov_b32_e32 v18, 0x2537b658
	v_mov_b32_e32 v19, 0x3fd62dae
	v_fmac_f64_e32 v[18:19], 0, v[16:17]
	v_mov_b32_e32 v21, 0x402803e3
	v_fmac_f64_e32 v[20:21], v[16:17], v[18:19]
	v_mov_b32_e32 v18, 0xde2e1e3
	v_mov_b32_e32 v19, 0x405311e5
	v_fmac_f64_e32 v[18:19], v[16:17], v[20:21]
	v_mov_b32_e32 v20, 0xee40073c
	;; [unrolled: 3-line block ×12, first 2 shown]
	v_mov_b32_e32 v21, 0x402c311b
	v_fmac_f64_e32 v[20:21], v[16:17], v[22:23]
	v_fma_f64 v[20:21], v[16:17], v[20:21], 1.0
	v_fma_f64 v[16:17], v[16:17], v[18:19], 1.0
	v_div_scale_f64 v[18:19], s[14:15], v[20:21], v[20:21], v[16:17]
	v_rcp_f64_e32 v[22:23], v[18:19]
	s_nop 0
	v_fma_f64 v[24:25], -v[18:19], v[22:23], 1.0
	v_fmac_f64_e32 v[22:23], v[22:23], v[24:25]
	v_fma_f64 v[24:25], -v[18:19], v[22:23], 1.0
	v_fmac_f64_e32 v[22:23], v[22:23], v[24:25]
	v_div_scale_f64 v[24:25], vcc, v[16:17], v[20:21], v[16:17]
	v_mul_f64 v[26:27], v[24:25], v[22:23]
	v_fma_f64 v[18:19], -v[18:19], v[26:27], v[24:25]
	s_nop 1
	v_div_fmas_f64 v[18:19], v[18:19], v[22:23], v[26:27]
	v_cmp_gt_f64_e32 vcc, s[0:1], v[6:7]
	v_div_fixup_f64 v[16:17], v[18:19], v[20:21], v[16:17]
	s_mov_b32 s0, 0x50429b6d
	v_cndmask_b32_e32 v15, 0, v15, vcc
	v_ldexp_f64 v[6:7], v[6:7], v15
	v_rsq_f64_e32 v[18:19], v[6:7]
	s_mov_b32 s1, 0x3fe20dd7
	v_mul_f64 v[16:17], v[16:17], s[0:1]
	v_cndmask_b32_e32 v15, 0, v28, vcc
	v_mul_f64 v[20:21], v[6:7], v[18:19]
	v_mul_f64 v[18:19], v[18:19], 0.5
	v_fma_f64 v[22:23], -v[18:19], v[20:21], 0.5
	v_fmac_f64_e32 v[20:21], v[20:21], v[22:23]
	v_fma_f64 v[24:25], -v[20:21], v[20:21], v[6:7]
	v_fmac_f64_e32 v[18:19], v[18:19], v[22:23]
	v_fmac_f64_e32 v[20:21], v[24:25], v[18:19]
	v_fma_f64 v[22:23], -v[20:21], v[20:21], v[6:7]
	v_fmac_f64_e32 v[20:21], v[22:23], v[18:19]
	s_mov_b32 s0, 0x652b82fe
	v_ldexp_f64 v[18:19], v[20:21], v15
	v_cmp_class_f64_e32 vcc, v[6:7], v29
	s_mov_b32 s1, 0x3ff71547
	v_mov_b32_e32 v22, 0xfca7ab0c
	v_cndmask_b32_e32 v7, v19, v7, vcc
	v_cndmask_b32_e32 v6, v18, v6, vcc
	v_mul_f64 v[18:19], v[12:13], s[0:1]
	s_mov_b32 s0, 0xfefa39ef
	v_rndne_f64_e32 v[18:19], v[18:19]
	s_mov_b32 s1, 0xbfe62e42
	v_fma_f64 v[20:21], s[0:1], v[18:19], v[12:13]
	s_mov_b32 s0, 0x3b39803f
	s_mov_b32 s1, 0xbc7abc9e
	v_fmac_f64_e32 v[20:21], s[0:1], v[18:19]
	s_mov_b32 s0, 0x6a5dcb37
	v_mov_b32_e32 v23, 0x3e928af3
	s_mov_b32 s1, 0x3e5ade15
	v_fmac_f64_e32 v[22:23], s[0:1], v[20:21]
	v_mov_b32_e32 v24, 0x623fde64
	v_mov_b32_e32 v25, 0x3ec71dee
	v_fmac_f64_e32 v[24:25], v[20:21], v[22:23]
	v_mov_b32_e32 v22, 0x7c89e6b0
	v_mov_b32_e32 v23, 0x3efa0199
	;; [unrolled: 3-line block ×8, first 2 shown]
	s_mov_b32 s0, 0
	v_fmac_f64_e32 v[22:23], v[20:21], v[24:25]
	s_mov_b32 s1, 0x40900000
	v_fma_f64 v[22:23], v[20:21], v[22:23], 1.0
	v_cmp_nlt_f64_e32 vcc, s[0:1], v[12:13]
	s_mov_b32 s0, 0
	v_fma_f64 v[20:21], v[20:21], v[22:23], 1.0
	v_cvt_i32_f64_e32 v15, v[18:19]
	s_mov_b32 s1, 0xc090cc00
	v_ldexp_f64 v[18:19], v[20:21], v15
	v_mov_b32_e32 v15, 0x7ff00000
	v_cmp_ngt_f64_e64 s[0:1], s[0:1], v[12:13]
	v_cndmask_b32_e32 v15, v15, v19, vcc
	s_and_b64 vcc, s[0:1], vcc
	v_add_f64 v[6:7], v[6:7], v[6:7]
	v_cndmask_b32_e64 v13, 0, v15, s[0:1]
	v_cndmask_b32_e32 v12, 0, v18, vcc
	v_mul_f64 v[6:7], v[6:7], v[12:13]
	v_div_scale_f64 v[12:13], s[0:1], v[6:7], v[6:7], v[16:17]
	v_rcp_f64_e32 v[18:19], v[12:13]
	s_mov_b32 s0, 0xfd0a823a
	s_mov_b32 s1, 0x4020a402
	v_fma_f64 v[20:21], -v[12:13], v[18:19], 1.0
	v_fmac_f64_e32 v[18:19], v[18:19], v[20:21]
	v_fma_f64 v[20:21], -v[12:13], v[18:19], 1.0
	v_fmac_f64_e32 v[18:19], v[18:19], v[20:21]
	v_div_scale_f64 v[20:21], vcc, v[16:17], v[6:7], v[16:17]
	v_mul_f64 v[22:23], v[20:21], v[18:19]
	v_fma_f64 v[12:13], -v[12:13], v[22:23], v[20:21]
	s_nop 1
	v_div_fmas_f64 v[12:13], v[12:13], v[18:19], v[22:23]
	v_cmp_nlt_f64_e32 vcc, s[0:1], v[8:9]
	s_andn2_b64 s[0:1], s[10:11], exec
	s_and_b64 s[14:15], vcc, exec
	v_div_fixup_f64 v[12:13], v[12:13], v[6:7], v[16:17]
	s_or_b64 s[0:1], s[0:1], s[14:15]
.LBB1_71:
	s_or_b64 exec, exec, s[12:13]
	s_and_saveexec_b64 s[12:13], s[0:1]
	s_cbranch_execz .LBB1_75
; %bb.72:
	v_mul_f64 v[6:7], v[8:9], v[8:9]
	s_mov_b32 s16, 0
	v_mul_f64 v[16:17], v[8:9], v[6:7]
	v_mov_b64_e32 v[22:23], 1.0
	s_mov_b64 s[14:15], 0
	v_mov_b64_e32 v[20:21], 1.0
	s_mov_b32 s17, 0x3cb00000
	v_mov_b64_e32 v[18:19], v[8:9]
	v_mov_b64_e32 v[6:7], 1.0
.LBB1_73:                               ; =>This Inner Loop Header: Depth=1
	v_mul_f64 v[22:23], v[16:17], v[22:23]
	v_add_f64 v[24:25], v[20:21], 1.0
	v_mul_f64 v[8:9], v[16:17], v[8:9]
	v_div_scale_f64 v[26:27], s[0:1], v[24:25], v[24:25], v[22:23]
	v_add_f64 v[30:31], v[24:25], 1.0
	v_rcp_f64_e32 v[32:33], v[26:27]
	v_div_scale_f64 v[34:35], s[0:1], v[30:31], v[30:31], v[8:9]
	v_rcp_f64_e32 v[38:39], v[34:35]
	v_fma_f64 v[48:49], -v[26:27], v[32:33], 1.0
	v_fmac_f64_e32 v[32:33], v[32:33], v[48:49]
	v_fma_f64 v[50:51], -v[26:27], v[32:33], 1.0
	v_fma_f64 v[48:49], -v[34:35], v[38:39], 1.0
	v_fmac_f64_e32 v[38:39], v[38:39], v[48:49]
	v_div_scale_f64 v[28:29], vcc, v[22:23], v[24:25], v[22:23]
	v_fmac_f64_e32 v[32:33], v[32:33], v[50:51]
	v_fma_f64 v[48:49], -v[34:35], v[38:39], 1.0
	v_div_scale_f64 v[36:37], s[0:1], v[8:9], v[30:31], v[8:9]
	v_mul_f64 v[50:51], v[28:29], v[32:33]
	v_fmac_f64_e32 v[38:39], v[38:39], v[48:49]
	v_fma_f64 v[26:27], -v[26:27], v[50:51], v[28:29]
	v_mul_f64 v[28:29], v[36:37], v[38:39]
	v_div_fmas_f64 v[26:27], v[26:27], v[32:33], v[50:51]
	v_fma_f64 v[32:33], -v[34:35], v[28:29], v[36:37]
	s_mov_b64 vcc, s[0:1]
	v_div_fixup_f64 v[22:23], v[26:27], v[24:25], v[22:23]
	v_div_fmas_f64 v[24:25], v[32:33], v[38:39], v[28:29]
	v_div_fixup_f64 v[8:9], v[24:25], v[30:31], v[8:9]
	v_div_scale_f64 v[24:25], s[0:1], v[30:31], v[30:31], v[22:23]
	v_add_f64 v[20:21], v[30:31], 1.0
	v_rcp_f64_e32 v[28:29], v[24:25]
	v_div_scale_f64 v[32:33], s[0:1], v[20:21], v[20:21], v[8:9]
	v_rcp_f64_e32 v[36:37], v[32:33]
	v_fma_f64 v[38:39], -v[24:25], v[28:29], 1.0
	v_fmac_f64_e32 v[28:29], v[28:29], v[38:39]
	v_fma_f64 v[48:49], -v[24:25], v[28:29], 1.0
	v_fma_f64 v[38:39], -v[32:33], v[36:37], 1.0
	v_div_scale_f64 v[26:27], vcc, v[22:23], v[30:31], v[22:23]
	v_fmac_f64_e32 v[36:37], v[36:37], v[38:39]
	v_fmac_f64_e32 v[28:29], v[28:29], v[48:49]
	v_fma_f64 v[38:39], -v[32:33], v[36:37], 1.0
	v_mul_f64 v[48:49], v[26:27], v[28:29]
	v_div_scale_f64 v[34:35], s[0:1], v[8:9], v[20:21], v[8:9]
	v_fmac_f64_e32 v[36:37], v[36:37], v[38:39]
	v_fma_f64 v[24:25], -v[24:25], v[48:49], v[26:27]
	v_mul_f64 v[26:27], v[34:35], v[36:37]
	v_div_fmas_f64 v[24:25], v[24:25], v[28:29], v[48:49]
	v_fma_f64 v[28:29], -v[32:33], v[26:27], v[34:35]
	v_div_fixup_f64 v[22:23], v[24:25], v[30:31], v[22:23]
	s_mov_b64 vcc, s[0:1]
	v_div_fmas_f64 v[24:25], v[28:29], v[36:37], v[26:27]
	v_add_f64 v[6:7], v[6:7], v[22:23]
	v_div_fixup_f64 v[8:9], v[24:25], v[20:21], v[8:9]
	v_div_scale_f64 v[24:25], s[0:1], v[6:7], v[6:7], v[22:23]
	v_rcp_f64_e32 v[26:27], v[24:25]
	v_div_scale_f64 v[28:29], vcc, v[22:23], v[6:7], v[22:23]
	v_add_f64 v[18:19], v[18:19], v[8:9]
	v_fma_f64 v[30:31], -v[24:25], v[26:27], 1.0
	v_fmac_f64_e32 v[26:27], v[26:27], v[30:31]
	v_fma_f64 v[30:31], -v[24:25], v[26:27], 1.0
	v_fmac_f64_e32 v[26:27], v[26:27], v[30:31]
	v_mul_f64 v[30:31], v[28:29], v[26:27]
	v_fma_f64 v[24:25], -v[24:25], v[30:31], v[28:29]
	v_div_fmas_f64 v[24:25], v[24:25], v[26:27], v[30:31]
	v_div_fixup_f64 v[24:25], v[24:25], v[6:7], v[22:23]
	v_cmp_ngt_f64_e64 s[0:1], |v[24:25]|, s[16:17]
	s_or_b64 s[14:15], s[0:1], s[14:15]
	s_andn2_b64 exec, exec, s[14:15]
	s_cbranch_execnz .LBB1_73
; %bb.74:
	s_or_b64 exec, exec, s[14:15]
	s_mov_b32 s0, 0x42b70f8b
	s_mov_b32 s1, 0xbfd0907f
	v_mul_f64 v[8:9], v[18:19], s[0:1]
	s_mov_b32 s0, 0x962715b8
	s_mov_b32 s1, 0x3fd6b8c7
	v_fmac_f64_e32 v[8:9], s[0:1], v[6:7]
	v_cndmask_b32_e64 v13, v13, v9, s[10:11]
	v_cndmask_b32_e64 v12, v12, v8, s[10:11]
.LBB1_75:
	s_or_b64 exec, exec, s[12:13]
                                        ; implicit-def: $vgpr8_vgpr9
.LBB1_76:
	s_andn2_saveexec_b64 s[8:9], s[8:9]
	s_cbranch_execz .LBB1_86
; %bb.77:
	s_mov_b32 s0, 0
	s_brev_b32 s1, 9
	v_mov_b32_e32 v6, 0x100
	v_cmp_lt_f64_e32 vcc, s[0:1], v[8:9]
	v_mov_b32_e32 v15, 0x260
	s_mov_b32 s10, 0
	v_cndmask_b32_e32 v6, 0, v6, vcc
	v_ldexp_f64 v[6:7], -v[8:9], v6
	v_rsq_f64_e32 v[12:13], v[6:7]
	v_mul_f64 v[8:9], v[8:9], -2.0
	s_mov_b32 s11, 0x40080000
	s_mov_b32 s13, 0x3fe921fb
	v_mul_f64 v[16:17], v[6:7], v[12:13]
	v_mul_f64 v[12:13], v[12:13], 0.5
	v_fma_f64 v[18:19], -v[12:13], v[16:17], 0.5
	v_fmac_f64_e32 v[16:17], v[16:17], v[18:19]
	v_fma_f64 v[20:21], -v[16:17], v[16:17], v[6:7]
	v_fmac_f64_e32 v[12:13], v[12:13], v[18:19]
	v_fmac_f64_e32 v[16:17], v[20:21], v[12:13]
	v_fma_f64 v[18:19], -v[16:17], v[16:17], v[6:7]
	v_fmac_f64_e32 v[16:17], v[18:19], v[12:13]
	v_mov_b32_e32 v12, 0xffffff80
	v_cndmask_b32_e32 v12, 0, v12, vcc
	v_ldexp_f64 v[12:13], v[16:17], v12
	v_cmp_class_f64_e32 vcc, v[6:7], v15
	s_mov_b32 s12, 0x54442d18
                                        ; implicit-def: $vgpr30
                                        ; implicit-def: $vgpr22_vgpr23
	s_nop 0
	v_cndmask_b32_e32 v7, v13, v7, vcc
	v_cndmask_b32_e32 v6, v12, v6, vcc
	v_mul_f64 v[8:9], v[8:9], v[6:7]
	v_div_scale_f64 v[12:13], s[0:1], s[10:11], s[10:11], v[8:9]
	v_rcp_f64_e32 v[16:17], v[12:13]
	s_movk_i32 s0, 0xff80
	v_fma_f64 v[18:19], -v[12:13], v[16:17], 1.0
	v_fmac_f64_e32 v[16:17], v[16:17], v[18:19]
	v_fma_f64 v[18:19], -v[12:13], v[16:17], 1.0
	v_fmac_f64_e32 v[16:17], v[16:17], v[18:19]
	v_div_scale_f64 v[18:19], vcc, v[8:9], s[10:11], v[8:9]
	v_mul_f64 v[20:21], v[18:19], v[16:17]
	v_fma_f64 v[12:13], -v[12:13], v[20:21], v[18:19]
	s_nop 1
	v_div_fmas_f64 v[12:13], v[12:13], v[16:17], v[20:21]
	v_div_fixup_f64 v[18:19], v[12:13], s[10:11], v[8:9]
	s_mov_b32 s10, 0
	v_add_f64 v[8:9], v[18:19], s[12:13]
	s_mov_b32 s11, 0x41d00000
	v_cmp_nlt_f64_e64 s[10:11], |v[8:9]|, s[10:11]
	v_trig_preop_f64 v[28:29], |v[8:9]|, 0
	v_trig_preop_f64 v[26:27], |v[8:9]|, 1
	v_trig_preop_f64 v[24:25], |v[8:9]|, 2
                                        ; implicit-def: $vgpr20_vgpr21
	s_and_saveexec_b64 s[14:15], s[10:11]
	s_xor_b64 s[14:15], exec, s[14:15]
	s_cbranch_execz .LBB1_79
; %bb.78:
	s_mov_b32 s16, 0
	s_mov_b32 s17, 0x7b000000
	v_and_b32_e32 v15, 0x7fffffff, v9
	v_ldexp_f64 v[12:13], |v[8:9]|, s0
	v_cmp_ge_f64_e64 vcc, |v[8:9]|, s[16:17]
	s_mov_b32 s0, 0
	s_mov_b32 s1, 0x7ff00000
	v_cndmask_b32_e32 v13, v15, v13, vcc
	v_cndmask_b32_e32 v12, v8, v12, vcc
	v_mul_f64 v[20:21], v[28:29], v[12:13]
	v_mul_f64 v[16:17], v[26:27], v[12:13]
	v_fma_f64 v[22:23], v[28:29], v[12:13], -v[20:21]
	v_add_f64 v[30:31], v[16:17], v[22:23]
	v_add_f64 v[38:39], v[30:31], -v[16:17]
	v_add_f64 v[22:23], v[22:23], -v[38:39]
	;; [unrolled: 1-line block ×4, first 2 shown]
	v_add_f64 v[22:23], v[22:23], v[38:39]
	v_fma_f64 v[16:17], v[26:27], v[12:13], -v[16:17]
	v_mul_f64 v[38:39], v[24:25], v[12:13]
	v_add_f64 v[48:49], v[38:39], v[16:17]
	v_add_f64 v[32:33], v[20:21], v[30:31]
	v_add_f64 v[50:51], v[48:49], v[22:23]
	v_ldexp_f64 v[34:35], v[32:33], -2
	v_add_f64 v[20:21], v[32:33], -v[20:21]
	v_add_f64 v[32:33], v[50:51], -v[48:49]
	;; [unrolled: 1-line block ×5, first 2 shown]
	v_add_f64 v[22:23], v[22:23], v[32:33]
	v_add_f64 v[32:33], v[48:49], -v[38:39]
	v_add_f64 v[16:17], v[16:17], -v[32:33]
	;; [unrolled: 1-line block ×5, first 2 shown]
	v_add_f64 v[16:17], v[16:17], v[32:33]
	v_fract_f64_e32 v[36:37], v[34:35]
	v_add_f64 v[30:31], v[20:21], v[50:51]
	v_add_f64 v[16:17], v[16:17], v[22:23]
	v_fma_f64 v[12:13], v[24:25], v[12:13], -v[38:39]
	v_add_f64 v[20:21], v[30:31], -v[20:21]
	v_add_f64 v[12:13], v[12:13], v[16:17]
	v_ldexp_f64 v[16:17], v[36:37], 2
	v_cmp_neq_f64_e64 vcc, |v[34:35]|, s[0:1]
	v_add_f64 v[20:21], v[50:51], -v[20:21]
	v_add_f64 v[12:13], v[20:21], v[12:13]
	v_cndmask_b32_e32 v17, 0, v17, vcc
	v_cndmask_b32_e32 v16, 0, v16, vcc
	v_add_f64 v[20:21], v[30:31], v[16:17]
	v_mov_b32_e32 v15, 0x40100000
	v_cmp_gt_f64_e32 vcc, 0, v[20:21]
	v_mov_b32_e32 v20, 0
	s_mov_b32 s13, 0x3ff921fb
	v_cndmask_b32_e32 v21, 0, v15, vcc
	v_add_f64 v[16:17], v[16:17], v[20:21]
	v_add_f64 v[22:23], v[30:31], v[16:17]
	v_cvt_i32_f64_e32 v15, v[22:23]
	v_cvt_f64_i32_e32 v[22:23], v15
	v_add_f64 v[16:17], v[16:17], -v[22:23]
	v_add_f64 v[22:23], v[30:31], v[16:17]
	v_add_f64 v[16:17], v[22:23], -v[16:17]
	v_cmp_le_f64_e32 vcc, 0.5, v[22:23]
	v_add_f64 v[16:17], v[30:31], -v[16:17]
	v_add_f64 v[12:13], v[12:13], v[16:17]
	v_addc_co_u32_e64 v30, s[0:1], 0, v15, vcc
	v_mov_b32_e32 v15, 0x3ff00000
	v_cndmask_b32_e32 v21, 0, v15, vcc
	v_add_f64 v[16:17], v[22:23], -v[20:21]
	v_add_f64 v[20:21], v[16:17], v[12:13]
	v_add_f64 v[16:17], v[20:21], -v[16:17]
	v_add_f64 v[12:13], v[12:13], -v[16:17]
	v_mul_f64 v[16:17], v[20:21], s[12:13]
	s_mov_b32 s0, 0x33145c07
	v_fma_f64 v[22:23], v[20:21], s[12:13], -v[16:17]
	s_mov_b32 s1, 0x3c91a626
	v_fmac_f64_e32 v[22:23], s[0:1], v[20:21]
	v_fmac_f64_e32 v[22:23], s[12:13], v[12:13]
	v_add_f64 v[20:21], v[16:17], v[22:23]
	v_add_f64 v[12:13], v[20:21], -v[16:17]
	v_add_f64 v[22:23], v[22:23], -v[12:13]
	s_andn2_saveexec_b64 s[0:1], s[14:15]
	s_cbranch_execz .LBB1_81
	s_branch .LBB1_80
.LBB1_79:
	s_andn2_saveexec_b64 s[0:1], s[14:15]
	s_cbranch_execz .LBB1_81
.LBB1_80:
	s_mov_b32 s12, 0x6dc9c883
	s_mov_b32 s13, 0x3fe45f30
	v_mul_f64 v[12:13], |v[8:9]|, s[12:13]
	s_mov_b32 s12, 0x54442d18
	v_rndne_f64_e32 v[12:13], v[12:13]
	s_mov_b32 s13, 0xbff921fb
	v_fma_f64 v[16:17], v[12:13], s[12:13], |v[8:9]|
	s_mov_b32 s13, 0xbc91a626
	s_mov_b32 s12, 0x33145c00
	v_mul_f64 v[20:21], v[12:13], s[12:13]
	v_add_f64 v[32:33], v[16:17], v[20:21]
	v_fma_f64 v[22:23], s[12:13], v[12:13], v[16:17]
	s_mov_b32 s13, 0x3c91a626
	v_add_f64 v[16:17], v[16:17], -v[32:33]
	v_fma_f64 v[30:31], s[12:13], v[12:13], v[20:21]
	v_add_f64 v[16:17], v[16:17], v[20:21]
	v_add_f64 v[20:21], v[32:33], -v[22:23]
	v_add_f64 v[16:17], v[20:21], v[16:17]
	s_mov_b32 s12, 0x252049c0
	v_add_f64 v[16:17], v[16:17], -v[30:31]
	s_mov_b32 s13, 0xb97b839a
	v_fmac_f64_e32 v[16:17], s[12:13], v[12:13]
	v_add_f64 v[20:21], v[22:23], v[16:17]
	v_add_f64 v[22:23], v[20:21], -v[22:23]
	v_add_f64 v[22:23], v[16:17], -v[22:23]
	v_cvt_i32_f64_e32 v30, v[12:13]
.LBB1_81:
	s_or_b64 exec, exec, s[0:1]
                                        ; implicit-def: $vgpr15
                                        ; implicit-def: $vgpr12_vgpr13
                                        ; implicit-def: $vgpr16_vgpr17
	s_and_saveexec_b64 s[0:1], s[10:11]
	s_xor_b64 s[10:11], exec, s[0:1]
	s_cbranch_execz .LBB1_83
; %bb.82:
	s_mov_b32 s0, 0
	s_mov_b32 s1, 0x7b000000
	s_movk_i32 s12, 0xff80
	v_and_b32_e32 v15, 0x7fffffff, v9
	v_ldexp_f64 v[12:13], |v[8:9]|, s12
	v_cmp_ge_f64_e64 vcc, |v[8:9]|, s[0:1]
	s_mov_b32 s0, 0
	s_mov_b32 s1, 0x7ff00000
	v_cndmask_b32_e32 v13, v15, v13, vcc
	v_cndmask_b32_e32 v12, v8, v12, vcc
	v_mul_f64 v[32:33], v[28:29], v[12:13]
	v_mul_f64 v[16:17], v[26:27], v[12:13]
	v_fma_f64 v[28:29], v[28:29], v[12:13], -v[32:33]
	v_add_f64 v[34:35], v[16:17], v[28:29]
	v_add_f64 v[50:51], v[34:35], -v[16:17]
	v_add_f64 v[28:29], v[28:29], -v[50:51]
	;; [unrolled: 1-line block ×4, first 2 shown]
	v_fma_f64 v[16:17], v[26:27], v[12:13], -v[16:17]
	v_mul_f64 v[26:27], v[24:25], v[12:13]
	v_add_f64 v[28:29], v[28:29], v[50:51]
	v_add_f64 v[50:51], v[26:27], v[16:17]
	v_add_f64 v[36:37], v[32:33], v[34:35]
	v_add_f64 v[52:53], v[50:51], v[28:29]
	v_ldexp_f64 v[38:39], v[36:37], -2
	v_add_f64 v[32:33], v[36:37], -v[32:33]
	v_add_f64 v[36:37], v[52:53], -v[50:51]
	;; [unrolled: 1-line block ×5, first 2 shown]
	v_add_f64 v[28:29], v[28:29], v[36:37]
	v_add_f64 v[36:37], v[50:51], -v[26:27]
	v_add_f64 v[16:17], v[16:17], -v[36:37]
	;; [unrolled: 1-line block ×4, first 2 shown]
	v_add_f64 v[16:17], v[16:17], v[36:37]
	v_fract_f64_e32 v[48:49], v[38:39]
	v_add_f64 v[16:17], v[16:17], v[28:29]
	v_fma_f64 v[12:13], v[24:25], v[12:13], -v[26:27]
	v_add_f64 v[32:33], v[34:35], -v[32:33]
	v_add_f64 v[12:13], v[12:13], v[16:17]
	v_ldexp_f64 v[16:17], v[48:49], 2
	v_cmp_neq_f64_e64 vcc, |v[38:39]|, s[0:1]
	v_add_f64 v[34:35], v[32:33], v[52:53]
	v_mov_b32_e32 v15, 0x40100000
	v_cndmask_b32_e32 v17, 0, v17, vcc
	v_cndmask_b32_e32 v16, 0, v16, vcc
	v_add_f64 v[24:25], v[34:35], v[16:17]
	v_cmp_gt_f64_e32 vcc, 0, v[24:25]
	v_mov_b32_e32 v24, 0
	v_add_f64 v[32:33], v[34:35], -v[32:33]
	v_cndmask_b32_e32 v25, 0, v15, vcc
	v_add_f64 v[16:17], v[16:17], v[24:25]
	v_add_f64 v[26:27], v[34:35], v[16:17]
	v_cvt_i32_f64_e32 v15, v[26:27]
	v_cvt_f64_i32_e32 v[26:27], v15
	v_add_f64 v[16:17], v[16:17], -v[26:27]
	v_add_f64 v[26:27], v[34:35], v[16:17]
	v_add_f64 v[32:33], v[52:53], -v[32:33]
	v_add_f64 v[16:17], v[26:27], -v[16:17]
	v_add_f64 v[12:13], v[32:33], v[12:13]
	v_add_f64 v[16:17], v[34:35], -v[16:17]
	v_add_f64 v[12:13], v[12:13], v[16:17]
	v_cmp_le_f64_e32 vcc, 0.5, v[26:27]
	v_mov_b32_e32 v16, 0x3ff00000
	s_mov_b32 s12, 0x33145c07
	v_cndmask_b32_e32 v25, 0, v16, vcc
	v_addc_co_u32_e64 v15, s[0:1], 0, v15, vcc
	v_add_f64 v[16:17], v[26:27], -v[24:25]
	v_add_f64 v[24:25], v[16:17], v[12:13]
	s_mov_b32 s0, 0x54442d18
	v_add_f64 v[16:17], v[24:25], -v[16:17]
	s_mov_b32 s1, 0x3ff921fb
	v_add_f64 v[12:13], v[12:13], -v[16:17]
	v_mul_f64 v[16:17], v[24:25], s[0:1]
	v_fma_f64 v[26:27], v[24:25], s[0:1], -v[16:17]
	s_mov_b32 s13, 0x3c91a626
	v_fmac_f64_e32 v[26:27], s[12:13], v[24:25]
	v_fmac_f64_e32 v[26:27], s[0:1], v[12:13]
	v_add_f64 v[12:13], v[16:17], v[26:27]
	v_add_f64 v[16:17], v[12:13], -v[16:17]
	v_add_f64 v[16:17], v[26:27], -v[16:17]
	s_andn2_saveexec_b64 s[0:1], s[10:11]
	s_cbranch_execnz .LBB1_84
	s_branch .LBB1_85
.LBB1_83:
	s_andn2_saveexec_b64 s[0:1], s[10:11]
	s_cbranch_execz .LBB1_85
.LBB1_84:
	s_mov_b32 s10, 0x6dc9c883
	s_mov_b32 s11, 0x3fe45f30
	v_mul_f64 v[12:13], |v[8:9]|, s[10:11]
	s_mov_b32 s10, 0x54442d18
	v_rndne_f64_e32 v[24:25], v[12:13]
	s_mov_b32 s11, 0xbff921fb
	v_fma_f64 v[12:13], v[24:25], s[10:11], |v[8:9]|
	s_mov_b32 s11, 0xbc91a626
	s_mov_b32 s10, 0x33145c00
	v_mul_f64 v[26:27], v[24:25], s[10:11]
	v_add_f64 v[32:33], v[12:13], v[26:27]
	v_fma_f64 v[16:17], s[10:11], v[24:25], v[12:13]
	s_mov_b32 s11, 0x3c91a626
	v_add_f64 v[12:13], v[12:13], -v[32:33]
	v_fma_f64 v[28:29], s[10:11], v[24:25], v[26:27]
	v_add_f64 v[12:13], v[12:13], v[26:27]
	v_add_f64 v[26:27], v[32:33], -v[16:17]
	v_add_f64 v[12:13], v[26:27], v[12:13]
	s_mov_b32 s10, 0x252049c0
	v_add_f64 v[26:27], v[12:13], -v[28:29]
	s_mov_b32 s11, 0xb97b839a
	v_fmac_f64_e32 v[26:27], s[10:11], v[24:25]
	v_add_f64 v[12:13], v[16:17], v[26:27]
	v_add_f64 v[16:17], v[12:13], -v[16:17]
	v_add_f64 v[16:17], v[26:27], -v[16:17]
	v_cvt_i32_f64_e32 v15, v[24:25]
.LBB1_85:
	s_or_b64 exec, exec, s[0:1]
	v_div_scale_f64 v[24:25], s[0:1], v[18:19], v[18:19], 1.0
	v_rcp_f64_e32 v[26:27], v[24:25]
	v_div_scale_f64 v[28:29], vcc, 1.0, v[18:19], 1.0
	v_mov_b32_e32 v34, 0xb99518a7
	v_fma_f64 v[32:33], -v[24:25], v[26:27], 1.0
	v_fmac_f64_e32 v[26:27], v[26:27], v[32:33]
	v_fma_f64 v[32:33], -v[24:25], v[26:27], 1.0
	v_fmac_f64_e32 v[26:27], v[26:27], v[32:33]
	v_mul_f64 v[32:33], v[28:29], v[26:27]
	v_fma_f64 v[24:25], -v[24:25], v[32:33], v[28:29]
	v_div_fmas_f64 v[24:25], v[24:25], v[26:27], v[32:33]
	v_div_fixup_f64 v[18:19], v[24:25], v[18:19], 1.0
	v_mul_f64 v[24:25], v[18:19], v[18:19]
	v_mov_b32_e32 v26, 0xd50ae6fb
	v_mov_b32_e32 v27, 0xbfc0db6c
	v_fmac_f64_e32 v[26:27], 0, v[24:25]
	v_mov_b32_e32 v28, 0x98566852
	v_mov_b32_e32 v29, 0xbfe40bee
	v_fmac_f64_e32 v[28:29], v[24:25], v[26:27]
	;; [unrolled: 3-line block ×16, first 2 shown]
	v_mov_b32_e32 v35, 0x3e9e52b9
	v_mul_f64 v[36:37], v[20:21], v[20:21]
	v_fmac_f64_e32 v[34:35], v[24:25], v[32:33]
	v_mov_b32_e32 v32, 0xf68ea2d2
	v_mov_b32_e32 v33, 0xbe52041c
	v_mul_f64 v[26:27], v[36:37], 0.5
	v_fmac_f64_e32 v[32:33], v[24:25], v[28:29]
	v_add_f64 v[28:29], -v[26:27], 1.0
	s_mov_b32 s0, 0x9037ab78
	v_add_f64 v[38:39], -v[28:29], 1.0
	s_mov_b32 s1, 0x3e21eeb6
	s_mov_b32 s10, 0x46cc5e42
	v_add_f64 v[38:39], v[38:39], -v[26:27]
	s_mov_b32 s11, 0xbda907db
	v_mov_b64_e32 v[26:27], s[0:1]
	s_mov_b32 s12, 0xa17f65f6
	v_fma_f64 v[50:51], s[10:11], v[36:37], v[26:27]
	s_mov_b32 s13, 0xbe927e4f
	s_mov_b32 s14, 0x19f4ec90
	v_fma_f64 v[50:51], v[36:37], v[50:51], s[12:13]
	s_mov_b32 s15, 0x3efa01a0
	;; [unrolled: 3-line block ×4, first 2 shown]
	v_mul_f64 v[48:49], v[36:37], v[36:37]
	v_fma_f64 v[50:51], v[36:37], v[50:51], s[18:19]
	v_fma_f64 v[38:39], v[20:21], -v[22:23], v[38:39]
	s_mov_b32 s0, 0xb42fdfa7
	v_fmac_f64_e32 v[38:39], v[48:49], v[50:51]
	s_mov_b32 s1, 0xbe5ae600
	s_mov_b32 s20, 0xf9a43bb8
	v_add_f64 v[38:39], v[28:29], v[38:39]
	s_mov_b32 s21, 0x3de5e0b2
	v_mov_b64_e32 v[28:29], s[0:1]
	s_mov_b32 s22, 0x796cde01
	v_fma_f64 v[48:49], s[20:21], v[36:37], v[28:29]
	s_mov_b32 s23, 0x3ec71de3
	s_mov_b32 s24, 0x19e83e5c
	v_fma_f64 v[48:49], v[36:37], v[48:49], s[22:23]
	s_mov_b32 s25, 0xbf2a01a0
	;; [unrolled: 3-line block ×3, first 2 shown]
	v_fma_f64 v[48:49], v[36:37], v[48:49], s[26:27]
	v_mul_f64 v[50:51], v[20:21], -v[36:37]
	v_mul_f64 v[52:53], v[22:23], 0.5
	v_fmac_f64_e32 v[52:53], v[50:51], v[48:49]
	v_fma_f64 v[22:23], v[36:37], v[52:53], -v[22:23]
	s_mov_b32 s29, 0xbfc55555
	s_mov_b32 s28, s18
	v_fmac_f64_e32 v[22:23], s[28:29], v[50:51]
	v_add_f64 v[20:21], v[20:21], -v[22:23]
	v_and_b32_e32 v22, 1, v30
	v_cmp_eq_u32_e32 vcc, 0, v22
	s_brev_b32 s40, 1
	s_movk_i32 s41, 0x1f8
	v_cndmask_b32_e32 v36, v38, v20, vcc
	v_cndmask_b32_e32 v20, v39, v21, vcc
	v_lshlrev_b32_e32 v21, 30, v30
	v_xor_b32_e32 v21, v21, v9
	v_bitop3_b32 v37, v20, v21, s40 bitop3:0x78
	v_mul_f64 v[20:21], v[24:25], v[32:33]
	v_div_scale_f64 v[22:23], s[0:1], v[34:35], v[34:35], v[20:21]
	v_rcp_f64_e32 v[30:31], v[22:23]
	v_cmp_class_f64_e64 s[0:1], v[8:9], s41
	v_mov_b32_e32 v48, 0x7ff80000
	s_mov_b32 s42, 0
	v_fma_f64 v[32:33], -v[22:23], v[30:31], 1.0
	v_fmac_f64_e32 v[30:31], v[30:31], v[32:33]
	v_fma_f64 v[32:33], -v[22:23], v[30:31], 1.0
	v_fmac_f64_e32 v[30:31], v[30:31], v[32:33]
	v_div_scale_f64 v[32:33], vcc, v[20:21], v[34:35], v[20:21]
	v_cndmask_b32_e64 v8, 0, v36, s[0:1]
	v_cndmask_b32_e64 v9, v48, v37, s[0:1]
	v_mul_f64 v[36:37], v[32:33], v[30:31]
	v_fma_f64 v[22:23], -v[22:23], v[36:37], v[32:33]
	v_div_fmas_f64 v[22:23], v[22:23], v[30:31], v[36:37]
	v_div_fixup_f64 v[20:21], v[22:23], v[34:35], v[20:21]
	v_mov_b32_e32 v22, 0xddcfbbde
	v_mov_b32_e32 v23, 0x3f943525
	v_fmac_f64_e32 v[22:23], 0, v[24:25]
	v_mov_b32_e32 v30, 0x6437b7
	v_mov_b32_e32 v31, 0x3fd907d5
	v_fmac_f64_e32 v[30:31], v[24:25], v[22:23]
	;; [unrolled: 3-line block ×18, first 2 shown]
	v_mov_b32_e32 v32, 0xd603a5a0
	v_mov_b32_e32 v33, 0x3f1a8b61
	s_brev_b32 s43, 8
	v_fmac_f64_e32 v[32:33], v[24:25], v[30:31]
	v_mov_b32_e32 v30, 0x100
	v_cmp_gt_f64_e32 vcc, s[42:43], v[6:7]
	v_mov_b32_e32 v34, 0xdb0724e8
	v_mov_b32_e32 v35, 0x3eb3a845
	v_cndmask_b32_e32 v30, 0, v30, vcc
	v_ldexp_f64 v[6:7], v[6:7], v30
	v_rsq_f64_e32 v[30:31], v[6:7]
	v_fmac_f64_e32 v[34:35], v[24:25], v[32:33]
	s_mov_b32 s42, 0x50429b6d
	s_mov_b32 s43, 0x3fe20dd7
	v_mul_f64 v[32:33], v[6:7], v[30:31]
	v_mul_f64 v[30:31], v[30:31], 0.5
	v_fma_f64 v[36:37], -v[30:31], v[32:33], 0.5
	v_fmac_f64_e32 v[32:33], v[32:33], v[36:37]
	v_fma_f64 v[38:39], -v[32:33], v[32:33], v[6:7]
	v_fmac_f64_e32 v[30:31], v[30:31], v[36:37]
	v_fmac_f64_e32 v[32:33], v[38:39], v[30:31]
	v_fma_f64 v[36:37], -v[32:33], v[32:33], v[6:7]
	v_fmac_f64_e32 v[32:33], v[36:37], v[30:31]
	v_mov_b32_e32 v30, 0xffffff80
	v_cndmask_b32_e32 v30, 0, v30, vcc
	v_ldexp_f64 v[30:31], v[32:33], v30
	v_mov_b32_e32 v32, 0x260
	v_cmp_class_f64_e32 vcc, v[6:7], v32
	v_mov_b32_e32 v36, 0x3dd589d4
	v_mov_b32_e32 v37, 0x3e351fc7
	v_cndmask_b32_e32 v7, v31, v7, vcc
	v_cndmask_b32_e32 v6, v30, v6, vcc
	v_div_scale_f64 v[30:31], s[44:45], v[6:7], v[6:7], s[42:43]
	v_rcp_f64_e32 v[32:33], v[30:31]
	v_fmac_f64_e32 v[36:37], v[24:25], v[34:35]
	v_add_f64 v[20:21], v[20:21], 1.0
	v_fma_f64 v[24:25], -v[30:31], v[32:33], 1.0
	v_fmac_f64_e32 v[32:33], v[32:33], v[24:25]
	v_fma_f64 v[24:25], -v[30:31], v[32:33], 1.0
	v_fmac_f64_e32 v[32:33], v[32:33], v[24:25]
	v_div_scale_f64 v[24:25], vcc, s[42:43], v[6:7], s[42:43]
	v_mul_f64 v[34:35], v[24:25], v[32:33]
	v_fma_f64 v[24:25], -v[30:31], v[34:35], v[24:25]
	s_nop 1
	v_div_fmas_f64 v[24:25], v[24:25], v[32:33], v[34:35]
	v_div_fixup_f64 v[6:7], v[24:25], v[6:7], s[42:43]
	v_mul_f64 v[24:25], v[12:13], v[12:13]
	v_mul_f64 v[30:31], v[24:25], 0.5
	v_fmac_f64_e32 v[26:27], s[10:11], v[24:25]
	v_add_f64 v[32:33], -v[30:31], 1.0
	v_fma_f64 v[26:27], v[24:25], v[26:27], s[12:13]
	v_add_f64 v[34:35], -v[32:33], 1.0
	v_fma_f64 v[26:27], v[24:25], v[26:27], s[14:15]
	v_add_f64 v[30:31], v[34:35], -v[30:31]
	v_fma_f64 v[26:27], v[24:25], v[26:27], s[16:17]
	v_fmac_f64_e32 v[28:29], s[20:21], v[24:25]
	v_mul_f64 v[34:35], v[24:25], v[24:25]
	v_fma_f64 v[26:27], v[24:25], v[26:27], s[18:19]
	v_fma_f64 v[30:31], v[12:13], -v[16:17], v[30:31]
	v_fma_f64 v[28:29], v[24:25], v[28:29], s[22:23]
	v_fmac_f64_e32 v[30:31], v[34:35], v[26:27]
	v_fma_f64 v[28:29], v[24:25], v[28:29], s[24:25]
	v_add_f64 v[26:27], v[32:33], v[30:31]
	v_fma_f64 v[28:29], v[24:25], v[28:29], s[26:27]
	v_mul_f64 v[30:31], v[12:13], -v[24:25]
	v_mul_f64 v[32:33], v[16:17], 0.5
	v_fmac_f64_e32 v[32:33], v[30:31], v[28:29]
	v_fma_f64 v[16:17], v[24:25], v[32:33], -v[16:17]
	v_fmac_f64_e32 v[16:17], s[28:29], v[30:31]
	v_add_f64 v[12:13], v[12:13], -v[16:17]
	v_and_b32_e32 v16, 1, v15
	v_xor_b32_e32 v13, 0x80000000, v13
	v_cmp_eq_u32_e32 vcc, 0, v16
	v_lshlrev_b32_e32 v15, 30, v15
	s_nop 0
	v_cndmask_b32_e32 v24, v12, v26, vcc
	v_cndmask_b32_e32 v25, v13, v27, vcc
	v_mul_f64 v[12:13], v[18:19], v[22:23]
	v_div_scale_f64 v[16:17], s[10:11], v[36:37], v[36:37], v[12:13]
	v_rcp_f64_e32 v[18:19], v[16:17]
	v_bitop3_b32 v15, v25, v15, s40 bitop3:0x78
	v_cndmask_b32_e64 v22, 0, v24, s[0:1]
	v_cndmask_b32_e64 v23, v48, v15, s[0:1]
	v_fma_f64 v[24:25], -v[16:17], v[18:19], 1.0
	v_fmac_f64_e32 v[18:19], v[18:19], v[24:25]
	v_fma_f64 v[24:25], -v[16:17], v[18:19], 1.0
	v_fmac_f64_e32 v[18:19], v[18:19], v[24:25]
	v_div_scale_f64 v[24:25], vcc, v[12:13], v[36:37], v[12:13]
	v_mul_f64 v[26:27], v[24:25], v[18:19]
	v_fma_f64 v[16:17], -v[16:17], v[26:27], v[24:25]
	s_nop 1
	v_div_fmas_f64 v[16:17], v[16:17], v[18:19], v[26:27]
	v_div_fixup_f64 v[12:13], v[16:17], v[36:37], v[12:13]
	v_mul_f64 v[12:13], v[12:13], v[22:23]
	v_fma_f64 v[8:9], v[20:21], v[8:9], -v[12:13]
	v_mul_f64 v[12:13], v[6:7], v[8:9]
.LBB1_86:
	s_or_b64 exec, exec, s[8:9]
.LBB1_87:
	s_or_b64 exec, exec, s[6:7]
.LBB1_88:
	s_or_b64 exec, exec, s[4:5]
	v_lshl_add_u64 v[0:1], s[2:3], 3, v[0:1]
	v_mov_b32_e32 v15, 0
	v_lshl_add_u64 v[0:1], v[0:1], 0, v[14:15]
	flat_store_dwordx4 v[0:1], v[2:5]
	flat_store_dwordx4 v[0:1], v[10:13] offset:16
	s_waitcnt vmcnt(0) lgkmcnt(0)
	s_setpc_b64 s[30:31]
.Lfunc_end1:
	.size	_ZN2at6native25elementwise_kernel_helperILb0EZZZNS0_12_GLOBAL__N_119airy_ai_kernel_cudaERNS_18TensorIteratorBaseEENKUlvE_clEvENKUlvE_clEvEUldE_NS0_6memory8policies10vectorizedILi4ESt5arrayIPcLm2EELi4EEEEEvT0_T1_, .Lfunc_end1-_ZN2at6native25elementwise_kernel_helperILb0EZZZNS0_12_GLOBAL__N_119airy_ai_kernel_cudaERNS_18TensorIteratorBaseEENKUlvE_clEvENKUlvE_clEvEUldE_NS0_6memory8policies10vectorizedILi4ESt5arrayIPcLm2EELi4EEEEEvT0_T1_
                                        ; -- End function
	.set .L_ZN2at6native25elementwise_kernel_helperILb0EZZZNS0_12_GLOBAL__N_119airy_ai_kernel_cudaERNS_18TensorIteratorBaseEENKUlvE_clEvENKUlvE_clEvEUldE_NS0_6memory8policies10vectorizedILi4ESt5arrayIPcLm2EELi4EEEEEvT0_T1_.num_vgpr, 56
	.set .L_ZN2at6native25elementwise_kernel_helperILb0EZZZNS0_12_GLOBAL__N_119airy_ai_kernel_cudaERNS_18TensorIteratorBaseEENKUlvE_clEvENKUlvE_clEvEUldE_NS0_6memory8policies10vectorizedILi4ESt5arrayIPcLm2EELi4EEEEEvT0_T1_.num_agpr, 0
	.set .L_ZN2at6native25elementwise_kernel_helperILb0EZZZNS0_12_GLOBAL__N_119airy_ai_kernel_cudaERNS_18TensorIteratorBaseEENKUlvE_clEvENKUlvE_clEvEUldE_NS0_6memory8policies10vectorizedILi4ESt5arrayIPcLm2EELi4EEEEEvT0_T1_.numbered_sgpr, 48
	.set .L_ZN2at6native25elementwise_kernel_helperILb0EZZZNS0_12_GLOBAL__N_119airy_ai_kernel_cudaERNS_18TensorIteratorBaseEENKUlvE_clEvENKUlvE_clEvEUldE_NS0_6memory8policies10vectorizedILi4ESt5arrayIPcLm2EELi4EEEEEvT0_T1_.num_named_barrier, 0
	.set .L_ZN2at6native25elementwise_kernel_helperILb0EZZZNS0_12_GLOBAL__N_119airy_ai_kernel_cudaERNS_18TensorIteratorBaseEENKUlvE_clEvENKUlvE_clEvEUldE_NS0_6memory8policies10vectorizedILi4ESt5arrayIPcLm2EELi4EEEEEvT0_T1_.private_seg_size, 0
	.set .L_ZN2at6native25elementwise_kernel_helperILb0EZZZNS0_12_GLOBAL__N_119airy_ai_kernel_cudaERNS_18TensorIteratorBaseEENKUlvE_clEvENKUlvE_clEvEUldE_NS0_6memory8policies10vectorizedILi4ESt5arrayIPcLm2EELi4EEEEEvT0_T1_.uses_vcc, 1
	.set .L_ZN2at6native25elementwise_kernel_helperILb0EZZZNS0_12_GLOBAL__N_119airy_ai_kernel_cudaERNS_18TensorIteratorBaseEENKUlvE_clEvENKUlvE_clEvEUldE_NS0_6memory8policies10vectorizedILi4ESt5arrayIPcLm2EELi4EEEEEvT0_T1_.uses_flat_scratch, 0
	.set .L_ZN2at6native25elementwise_kernel_helperILb0EZZZNS0_12_GLOBAL__N_119airy_ai_kernel_cudaERNS_18TensorIteratorBaseEENKUlvE_clEvENKUlvE_clEvEUldE_NS0_6memory8policies10vectorizedILi4ESt5arrayIPcLm2EELi4EEEEEvT0_T1_.has_dyn_sized_stack, 0
	.set .L_ZN2at6native25elementwise_kernel_helperILb0EZZZNS0_12_GLOBAL__N_119airy_ai_kernel_cudaERNS_18TensorIteratorBaseEENKUlvE_clEvENKUlvE_clEvEUldE_NS0_6memory8policies10vectorizedILi4ESt5arrayIPcLm2EELi4EEEEEvT0_T1_.has_recursion, 0
	.set .L_ZN2at6native25elementwise_kernel_helperILb0EZZZNS0_12_GLOBAL__N_119airy_ai_kernel_cudaERNS_18TensorIteratorBaseEENKUlvE_clEvENKUlvE_clEvEUldE_NS0_6memory8policies10vectorizedILi4ESt5arrayIPcLm2EELi4EEEEEvT0_T1_.has_indirect_call, 0
	.section	.AMDGPU.csdata,"",@progbits
; Function info:
; codeLenInByte = 24028
; TotalNumSgprs: 54
; NumVgprs: 56
; NumAgprs: 0
; TotalNumVgprs: 56
; ScratchSize: 0
; MemoryBound: 0
	.section	.text._ZN2at6native29vectorized_elementwise_kernelILi16EZZZNS0_12_GLOBAL__N_119airy_ai_kernel_cudaERNS_18TensorIteratorBaseEENKUlvE_clEvENKUlvE_clEvEUldE_St5arrayIPcLm2EEEEviT0_T1_,"axG",@progbits,_ZN2at6native29vectorized_elementwise_kernelILi16EZZZNS0_12_GLOBAL__N_119airy_ai_kernel_cudaERNS_18TensorIteratorBaseEENKUlvE_clEvENKUlvE_clEvEUldE_St5arrayIPcLm2EEEEviT0_T1_,comdat
	.globl	_ZN2at6native29vectorized_elementwise_kernelILi16EZZZNS0_12_GLOBAL__N_119airy_ai_kernel_cudaERNS_18TensorIteratorBaseEENKUlvE_clEvENKUlvE_clEvEUldE_St5arrayIPcLm2EEEEviT0_T1_ ; -- Begin function _ZN2at6native29vectorized_elementwise_kernelILi16EZZZNS0_12_GLOBAL__N_119airy_ai_kernel_cudaERNS_18TensorIteratorBaseEENKUlvE_clEvENKUlvE_clEvEUldE_St5arrayIPcLm2EEEEviT0_T1_
	.p2align	8
	.type	_ZN2at6native29vectorized_elementwise_kernelILi16EZZZNS0_12_GLOBAL__N_119airy_ai_kernel_cudaERNS_18TensorIteratorBaseEENKUlvE_clEvENKUlvE_clEvEUldE_St5arrayIPcLm2EEEEviT0_T1_,@function
_ZN2at6native29vectorized_elementwise_kernelILi16EZZZNS0_12_GLOBAL__N_119airy_ai_kernel_cudaERNS_18TensorIteratorBaseEENKUlvE_clEvENKUlvE_clEvEUldE_St5arrayIPcLm2EEEEviT0_T1_: ; @_ZN2at6native29vectorized_elementwise_kernelILi16EZZZNS0_12_GLOBAL__N_119airy_ai_kernel_cudaERNS_18TensorIteratorBaseEENKUlvE_clEvENKUlvE_clEvEUldE_St5arrayIPcLm2EEEEviT0_T1_
; %bb.0:
	s_mov_b32 s33, s2
	s_load_dword s2, s[0:1], 0x0
	s_load_dwordx4 s[36:39], s[0:1], 0x8
	s_lshl_b32 s0, s33, 10
	v_mov_b32_e32 v40, v0
	s_mov_b32 s32, 0
	s_waitcnt lgkmcnt(0)
	s_sub_i32 s34, s2, s0
	s_cmpk_gt_i32 s34, 0x3ff
	s_mov_b64 s[0:1], -1
	s_cbranch_scc1 .LBB2_3
; %bb.1:
	s_andn2_b64 vcc, exec, s[0:1]
	s_cbranch_vccz .LBB2_4
.LBB2_2:
	s_endpgm
.LBB2_3:
	s_getpc_b64 s[0:1]
	s_add_u32 s0, s0, _ZN2at6native25elementwise_kernel_helperILb0EZZZNS0_12_GLOBAL__N_119airy_ai_kernel_cudaERNS_18TensorIteratorBaseEENKUlvE_clEvENKUlvE_clEvEUldE_NS0_6memory8policies10vectorizedILi4ESt5arrayIPcLm2EELi4EEEEEvT0_T1_@rel32@lo+4
	s_addc_u32 s1, s1, _ZN2at6native25elementwise_kernel_helperILb0EZZZNS0_12_GLOBAL__N_119airy_ai_kernel_cudaERNS_18TensorIteratorBaseEENKUlvE_clEvENKUlvE_clEvEUldE_NS0_6memory8policies10vectorizedILi4ESt5arrayIPcLm2EELi4EEEEEvT0_T1_@rel32@hi+12
	s_mov_b32 s12, s33
	v_mov_b32_e32 v31, v40
	v_mov_b32_e32 v0, s36
	;; [unrolled: 1-line block ×5, first 2 shown]
	s_swappc_b64 s[30:31], s[0:1]
	s_cbranch_execnz .LBB2_2
.LBB2_4:
	s_getpc_b64 s[0:1]
	s_add_u32 s0, s0, _ZN2at6native25elementwise_kernel_helperILb0EZZZNS0_12_GLOBAL__N_119airy_ai_kernel_cudaERNS_18TensorIteratorBaseEENKUlvE_clEvENKUlvE_clEvEUldE_NS0_6memory8policies11unroll_baseILi256ESt5arrayIPcLm2EE23TrivialOffsetCalculatorILi1EjESF_NS8_15LoadWithoutCastENS8_16StoreWithoutCastELi4ELi1EEEEEvT0_T1_@rel32@lo+4
	s_addc_u32 s1, s1, _ZN2at6native25elementwise_kernel_helperILb0EZZZNS0_12_GLOBAL__N_119airy_ai_kernel_cudaERNS_18TensorIteratorBaseEENKUlvE_clEvENKUlvE_clEvEUldE_NS0_6memory8policies11unroll_baseILi256ESt5arrayIPcLm2EE23TrivialOffsetCalculatorILi1EjESF_NS8_15LoadWithoutCastENS8_16StoreWithoutCastELi4ELi1EEEEEvT0_T1_@rel32@hi+12
	s_mov_b32 s12, s33
	v_mov_b32_e32 v31, v40
	v_mov_b32_e32 v0, s36
	;; [unrolled: 1-line block ×6, first 2 shown]
	s_swappc_b64 s[30:31], s[0:1]
	s_endpgm
	.section	.rodata,"a",@progbits
	.p2align	6, 0x0
	.amdhsa_kernel _ZN2at6native29vectorized_elementwise_kernelILi16EZZZNS0_12_GLOBAL__N_119airy_ai_kernel_cudaERNS_18TensorIteratorBaseEENKUlvE_clEvENKUlvE_clEvEUldE_St5arrayIPcLm2EEEEviT0_T1_
		.amdhsa_group_segment_fixed_size 0
		.amdhsa_private_segment_fixed_size 0
		.amdhsa_kernarg_size 24
		.amdhsa_user_sgpr_count 2
		.amdhsa_user_sgpr_dispatch_ptr 0
		.amdhsa_user_sgpr_queue_ptr 0
		.amdhsa_user_sgpr_kernarg_segment_ptr 1
		.amdhsa_user_sgpr_dispatch_id 0
		.amdhsa_user_sgpr_kernarg_preload_length 0
		.amdhsa_user_sgpr_kernarg_preload_offset 0
		.amdhsa_user_sgpr_private_segment_size 0
		.amdhsa_uses_dynamic_stack 0
		.amdhsa_enable_private_segment 0
		.amdhsa_system_sgpr_workgroup_id_x 1
		.amdhsa_system_sgpr_workgroup_id_y 0
		.amdhsa_system_sgpr_workgroup_id_z 0
		.amdhsa_system_sgpr_workgroup_info 0
		.amdhsa_system_vgpr_workitem_id 0
		.amdhsa_next_free_vgpr 68
		.amdhsa_next_free_sgpr 48
		.amdhsa_accum_offset 68
		.amdhsa_reserve_vcc 1
		.amdhsa_float_round_mode_32 0
		.amdhsa_float_round_mode_16_64 0
		.amdhsa_float_denorm_mode_32 3
		.amdhsa_float_denorm_mode_16_64 3
		.amdhsa_dx10_clamp 1
		.amdhsa_ieee_mode 1
		.amdhsa_fp16_overflow 0
		.amdhsa_tg_split 0
		.amdhsa_exception_fp_ieee_invalid_op 0
		.amdhsa_exception_fp_denorm_src 0
		.amdhsa_exception_fp_ieee_div_zero 0
		.amdhsa_exception_fp_ieee_overflow 0
		.amdhsa_exception_fp_ieee_underflow 0
		.amdhsa_exception_fp_ieee_inexact 0
		.amdhsa_exception_int_div_zero 0
	.end_amdhsa_kernel
	.section	.text._ZN2at6native29vectorized_elementwise_kernelILi16EZZZNS0_12_GLOBAL__N_119airy_ai_kernel_cudaERNS_18TensorIteratorBaseEENKUlvE_clEvENKUlvE_clEvEUldE_St5arrayIPcLm2EEEEviT0_T1_,"axG",@progbits,_ZN2at6native29vectorized_elementwise_kernelILi16EZZZNS0_12_GLOBAL__N_119airy_ai_kernel_cudaERNS_18TensorIteratorBaseEENKUlvE_clEvENKUlvE_clEvEUldE_St5arrayIPcLm2EEEEviT0_T1_,comdat
.Lfunc_end2:
	.size	_ZN2at6native29vectorized_elementwise_kernelILi16EZZZNS0_12_GLOBAL__N_119airy_ai_kernel_cudaERNS_18TensorIteratorBaseEENKUlvE_clEvENKUlvE_clEvEUldE_St5arrayIPcLm2EEEEviT0_T1_, .Lfunc_end2-_ZN2at6native29vectorized_elementwise_kernelILi16EZZZNS0_12_GLOBAL__N_119airy_ai_kernel_cudaERNS_18TensorIteratorBaseEENKUlvE_clEvENKUlvE_clEvEUldE_St5arrayIPcLm2EEEEviT0_T1_
                                        ; -- End function
	.set _ZN2at6native29vectorized_elementwise_kernelILi16EZZZNS0_12_GLOBAL__N_119airy_ai_kernel_cudaERNS_18TensorIteratorBaseEENKUlvE_clEvENKUlvE_clEvEUldE_St5arrayIPcLm2EEEEviT0_T1_.num_vgpr, max(41, .L_ZN2at6native25elementwise_kernel_helperILb0EZZZNS0_12_GLOBAL__N_119airy_ai_kernel_cudaERNS_18TensorIteratorBaseEENKUlvE_clEvENKUlvE_clEvEUldE_NS0_6memory8policies10vectorizedILi4ESt5arrayIPcLm2EELi4EEEEEvT0_T1_.num_vgpr, .L_ZN2at6native25elementwise_kernel_helperILb0EZZZNS0_12_GLOBAL__N_119airy_ai_kernel_cudaERNS_18TensorIteratorBaseEENKUlvE_clEvENKUlvE_clEvEUldE_NS0_6memory8policies11unroll_baseILi256ESt5arrayIPcLm2EE23TrivialOffsetCalculatorILi1EjESF_NS8_15LoadWithoutCastENS8_16StoreWithoutCastELi4ELi1EEEEEvT0_T1_.num_vgpr)
	.set _ZN2at6native29vectorized_elementwise_kernelILi16EZZZNS0_12_GLOBAL__N_119airy_ai_kernel_cudaERNS_18TensorIteratorBaseEENKUlvE_clEvENKUlvE_clEvEUldE_St5arrayIPcLm2EEEEviT0_T1_.num_agpr, max(0, .L_ZN2at6native25elementwise_kernel_helperILb0EZZZNS0_12_GLOBAL__N_119airy_ai_kernel_cudaERNS_18TensorIteratorBaseEENKUlvE_clEvENKUlvE_clEvEUldE_NS0_6memory8policies10vectorizedILi4ESt5arrayIPcLm2EELi4EEEEEvT0_T1_.num_agpr, .L_ZN2at6native25elementwise_kernel_helperILb0EZZZNS0_12_GLOBAL__N_119airy_ai_kernel_cudaERNS_18TensorIteratorBaseEENKUlvE_clEvENKUlvE_clEvEUldE_NS0_6memory8policies11unroll_baseILi256ESt5arrayIPcLm2EE23TrivialOffsetCalculatorILi1EjESF_NS8_15LoadWithoutCastENS8_16StoreWithoutCastELi4ELi1EEEEEvT0_T1_.num_agpr)
	.set _ZN2at6native29vectorized_elementwise_kernelILi16EZZZNS0_12_GLOBAL__N_119airy_ai_kernel_cudaERNS_18TensorIteratorBaseEENKUlvE_clEvENKUlvE_clEvEUldE_St5arrayIPcLm2EEEEviT0_T1_.numbered_sgpr, max(40, .L_ZN2at6native25elementwise_kernel_helperILb0EZZZNS0_12_GLOBAL__N_119airy_ai_kernel_cudaERNS_18TensorIteratorBaseEENKUlvE_clEvENKUlvE_clEvEUldE_NS0_6memory8policies10vectorizedILi4ESt5arrayIPcLm2EELi4EEEEEvT0_T1_.numbered_sgpr, .L_ZN2at6native25elementwise_kernel_helperILb0EZZZNS0_12_GLOBAL__N_119airy_ai_kernel_cudaERNS_18TensorIteratorBaseEENKUlvE_clEvENKUlvE_clEvEUldE_NS0_6memory8policies11unroll_baseILi256ESt5arrayIPcLm2EE23TrivialOffsetCalculatorILi1EjESF_NS8_15LoadWithoutCastENS8_16StoreWithoutCastELi4ELi1EEEEEvT0_T1_.numbered_sgpr)
	.set _ZN2at6native29vectorized_elementwise_kernelILi16EZZZNS0_12_GLOBAL__N_119airy_ai_kernel_cudaERNS_18TensorIteratorBaseEENKUlvE_clEvENKUlvE_clEvEUldE_St5arrayIPcLm2EEEEviT0_T1_.num_named_barrier, max(0, .L_ZN2at6native25elementwise_kernel_helperILb0EZZZNS0_12_GLOBAL__N_119airy_ai_kernel_cudaERNS_18TensorIteratorBaseEENKUlvE_clEvENKUlvE_clEvEUldE_NS0_6memory8policies10vectorizedILi4ESt5arrayIPcLm2EELi4EEEEEvT0_T1_.num_named_barrier, .L_ZN2at6native25elementwise_kernel_helperILb0EZZZNS0_12_GLOBAL__N_119airy_ai_kernel_cudaERNS_18TensorIteratorBaseEENKUlvE_clEvENKUlvE_clEvEUldE_NS0_6memory8policies11unroll_baseILi256ESt5arrayIPcLm2EE23TrivialOffsetCalculatorILi1EjESF_NS8_15LoadWithoutCastENS8_16StoreWithoutCastELi4ELi1EEEEEvT0_T1_.num_named_barrier)
	.set _ZN2at6native29vectorized_elementwise_kernelILi16EZZZNS0_12_GLOBAL__N_119airy_ai_kernel_cudaERNS_18TensorIteratorBaseEENKUlvE_clEvENKUlvE_clEvEUldE_St5arrayIPcLm2EEEEviT0_T1_.private_seg_size, 0+max(.L_ZN2at6native25elementwise_kernel_helperILb0EZZZNS0_12_GLOBAL__N_119airy_ai_kernel_cudaERNS_18TensorIteratorBaseEENKUlvE_clEvENKUlvE_clEvEUldE_NS0_6memory8policies10vectorizedILi4ESt5arrayIPcLm2EELi4EEEEEvT0_T1_.private_seg_size, .L_ZN2at6native25elementwise_kernel_helperILb0EZZZNS0_12_GLOBAL__N_119airy_ai_kernel_cudaERNS_18TensorIteratorBaseEENKUlvE_clEvENKUlvE_clEvEUldE_NS0_6memory8policies11unroll_baseILi256ESt5arrayIPcLm2EE23TrivialOffsetCalculatorILi1EjESF_NS8_15LoadWithoutCastENS8_16StoreWithoutCastELi4ELi1EEEEEvT0_T1_.private_seg_size)
	.set _ZN2at6native29vectorized_elementwise_kernelILi16EZZZNS0_12_GLOBAL__N_119airy_ai_kernel_cudaERNS_18TensorIteratorBaseEENKUlvE_clEvENKUlvE_clEvEUldE_St5arrayIPcLm2EEEEviT0_T1_.uses_vcc, or(1, .L_ZN2at6native25elementwise_kernel_helperILb0EZZZNS0_12_GLOBAL__N_119airy_ai_kernel_cudaERNS_18TensorIteratorBaseEENKUlvE_clEvENKUlvE_clEvEUldE_NS0_6memory8policies10vectorizedILi4ESt5arrayIPcLm2EELi4EEEEEvT0_T1_.uses_vcc, .L_ZN2at6native25elementwise_kernel_helperILb0EZZZNS0_12_GLOBAL__N_119airy_ai_kernel_cudaERNS_18TensorIteratorBaseEENKUlvE_clEvENKUlvE_clEvEUldE_NS0_6memory8policies11unroll_baseILi256ESt5arrayIPcLm2EE23TrivialOffsetCalculatorILi1EjESF_NS8_15LoadWithoutCastENS8_16StoreWithoutCastELi4ELi1EEEEEvT0_T1_.uses_vcc)
	.set _ZN2at6native29vectorized_elementwise_kernelILi16EZZZNS0_12_GLOBAL__N_119airy_ai_kernel_cudaERNS_18TensorIteratorBaseEENKUlvE_clEvENKUlvE_clEvEUldE_St5arrayIPcLm2EEEEviT0_T1_.uses_flat_scratch, or(0, .L_ZN2at6native25elementwise_kernel_helperILb0EZZZNS0_12_GLOBAL__N_119airy_ai_kernel_cudaERNS_18TensorIteratorBaseEENKUlvE_clEvENKUlvE_clEvEUldE_NS0_6memory8policies10vectorizedILi4ESt5arrayIPcLm2EELi4EEEEEvT0_T1_.uses_flat_scratch, .L_ZN2at6native25elementwise_kernel_helperILb0EZZZNS0_12_GLOBAL__N_119airy_ai_kernel_cudaERNS_18TensorIteratorBaseEENKUlvE_clEvENKUlvE_clEvEUldE_NS0_6memory8policies11unroll_baseILi256ESt5arrayIPcLm2EE23TrivialOffsetCalculatorILi1EjESF_NS8_15LoadWithoutCastENS8_16StoreWithoutCastELi4ELi1EEEEEvT0_T1_.uses_flat_scratch)
	.set _ZN2at6native29vectorized_elementwise_kernelILi16EZZZNS0_12_GLOBAL__N_119airy_ai_kernel_cudaERNS_18TensorIteratorBaseEENKUlvE_clEvENKUlvE_clEvEUldE_St5arrayIPcLm2EEEEviT0_T1_.has_dyn_sized_stack, or(0, .L_ZN2at6native25elementwise_kernel_helperILb0EZZZNS0_12_GLOBAL__N_119airy_ai_kernel_cudaERNS_18TensorIteratorBaseEENKUlvE_clEvENKUlvE_clEvEUldE_NS0_6memory8policies10vectorizedILi4ESt5arrayIPcLm2EELi4EEEEEvT0_T1_.has_dyn_sized_stack, .L_ZN2at6native25elementwise_kernel_helperILb0EZZZNS0_12_GLOBAL__N_119airy_ai_kernel_cudaERNS_18TensorIteratorBaseEENKUlvE_clEvENKUlvE_clEvEUldE_NS0_6memory8policies11unroll_baseILi256ESt5arrayIPcLm2EE23TrivialOffsetCalculatorILi1EjESF_NS8_15LoadWithoutCastENS8_16StoreWithoutCastELi4ELi1EEEEEvT0_T1_.has_dyn_sized_stack)
	.set _ZN2at6native29vectorized_elementwise_kernelILi16EZZZNS0_12_GLOBAL__N_119airy_ai_kernel_cudaERNS_18TensorIteratorBaseEENKUlvE_clEvENKUlvE_clEvEUldE_St5arrayIPcLm2EEEEviT0_T1_.has_recursion, or(0, .L_ZN2at6native25elementwise_kernel_helperILb0EZZZNS0_12_GLOBAL__N_119airy_ai_kernel_cudaERNS_18TensorIteratorBaseEENKUlvE_clEvENKUlvE_clEvEUldE_NS0_6memory8policies10vectorizedILi4ESt5arrayIPcLm2EELi4EEEEEvT0_T1_.has_recursion, .L_ZN2at6native25elementwise_kernel_helperILb0EZZZNS0_12_GLOBAL__N_119airy_ai_kernel_cudaERNS_18TensorIteratorBaseEENKUlvE_clEvENKUlvE_clEvEUldE_NS0_6memory8policies11unroll_baseILi256ESt5arrayIPcLm2EE23TrivialOffsetCalculatorILi1EjESF_NS8_15LoadWithoutCastENS8_16StoreWithoutCastELi4ELi1EEEEEvT0_T1_.has_recursion)
	.set _ZN2at6native29vectorized_elementwise_kernelILi16EZZZNS0_12_GLOBAL__N_119airy_ai_kernel_cudaERNS_18TensorIteratorBaseEENKUlvE_clEvENKUlvE_clEvEUldE_St5arrayIPcLm2EEEEviT0_T1_.has_indirect_call, or(0, .L_ZN2at6native25elementwise_kernel_helperILb0EZZZNS0_12_GLOBAL__N_119airy_ai_kernel_cudaERNS_18TensorIteratorBaseEENKUlvE_clEvENKUlvE_clEvEUldE_NS0_6memory8policies10vectorizedILi4ESt5arrayIPcLm2EELi4EEEEEvT0_T1_.has_indirect_call, .L_ZN2at6native25elementwise_kernel_helperILb0EZZZNS0_12_GLOBAL__N_119airy_ai_kernel_cudaERNS_18TensorIteratorBaseEENKUlvE_clEvENKUlvE_clEvEUldE_NS0_6memory8policies11unroll_baseILi256ESt5arrayIPcLm2EE23TrivialOffsetCalculatorILi1EjESF_NS8_15LoadWithoutCastENS8_16StoreWithoutCastELi4ELi1EEEEEvT0_T1_.has_indirect_call)
	.section	.AMDGPU.csdata,"",@progbits
; Kernel info:
; codeLenInByte = 172
; TotalNumSgprs: 54
; NumVgprs: 68
; NumAgprs: 0
; TotalNumVgprs: 68
; ScratchSize: 0
; MemoryBound: 0
; FloatMode: 240
; IeeeMode: 1
; LDSByteSize: 0 bytes/workgroup (compile time only)
; SGPRBlocks: 6
; VGPRBlocks: 8
; NumSGPRsForWavesPerEU: 54
; NumVGPRsForWavesPerEU: 68
; AccumOffset: 68
; Occupancy: 7
; WaveLimiterHint : 0
; COMPUTE_PGM_RSRC2:SCRATCH_EN: 0
; COMPUTE_PGM_RSRC2:USER_SGPR: 2
; COMPUTE_PGM_RSRC2:TRAP_HANDLER: 0
; COMPUTE_PGM_RSRC2:TGID_X_EN: 1
; COMPUTE_PGM_RSRC2:TGID_Y_EN: 0
; COMPUTE_PGM_RSRC2:TGID_Z_EN: 0
; COMPUTE_PGM_RSRC2:TIDIG_COMP_CNT: 0
; COMPUTE_PGM_RSRC3_GFX90A:ACCUM_OFFSET: 16
; COMPUTE_PGM_RSRC3_GFX90A:TG_SPLIT: 0
	.section	.text._ZN2at6native29vectorized_elementwise_kernelILi8EZZZNS0_12_GLOBAL__N_119airy_ai_kernel_cudaERNS_18TensorIteratorBaseEENKUlvE_clEvENKUlvE_clEvEUldE_St5arrayIPcLm2EEEEviT0_T1_,"axG",@progbits,_ZN2at6native29vectorized_elementwise_kernelILi8EZZZNS0_12_GLOBAL__N_119airy_ai_kernel_cudaERNS_18TensorIteratorBaseEENKUlvE_clEvENKUlvE_clEvEUldE_St5arrayIPcLm2EEEEviT0_T1_,comdat
	.globl	_ZN2at6native29vectorized_elementwise_kernelILi8EZZZNS0_12_GLOBAL__N_119airy_ai_kernel_cudaERNS_18TensorIteratorBaseEENKUlvE_clEvENKUlvE_clEvEUldE_St5arrayIPcLm2EEEEviT0_T1_ ; -- Begin function _ZN2at6native29vectorized_elementwise_kernelILi8EZZZNS0_12_GLOBAL__N_119airy_ai_kernel_cudaERNS_18TensorIteratorBaseEENKUlvE_clEvENKUlvE_clEvEUldE_St5arrayIPcLm2EEEEviT0_T1_
	.p2align	8
	.type	_ZN2at6native29vectorized_elementwise_kernelILi8EZZZNS0_12_GLOBAL__N_119airy_ai_kernel_cudaERNS_18TensorIteratorBaseEENKUlvE_clEvENKUlvE_clEvEUldE_St5arrayIPcLm2EEEEviT0_T1_,@function
_ZN2at6native29vectorized_elementwise_kernelILi8EZZZNS0_12_GLOBAL__N_119airy_ai_kernel_cudaERNS_18TensorIteratorBaseEENKUlvE_clEvENKUlvE_clEvEUldE_St5arrayIPcLm2EEEEviT0_T1_: ; @_ZN2at6native29vectorized_elementwise_kernelILi8EZZZNS0_12_GLOBAL__N_119airy_ai_kernel_cudaERNS_18TensorIteratorBaseEENKUlvE_clEvENKUlvE_clEvEUldE_St5arrayIPcLm2EEEEviT0_T1_
; %bb.0:
	s_mov_b32 s33, s2
	s_load_dword s2, s[0:1], 0x0
	s_load_dwordx4 s[36:39], s[0:1], 0x8
	s_lshl_b32 s0, s33, 10
	v_mov_b32_e32 v40, v0
	s_mov_b32 s32, 0
	s_waitcnt lgkmcnt(0)
	s_sub_i32 s34, s2, s0
	s_cmpk_gt_i32 s34, 0x3ff
	s_mov_b64 s[0:1], -1
	s_cbranch_scc1 .LBB3_3
; %bb.1:
	s_andn2_b64 vcc, exec, s[0:1]
	s_cbranch_vccz .LBB3_4
.LBB3_2:
	s_endpgm
.LBB3_3:
	s_getpc_b64 s[0:1]
	s_add_u32 s0, s0, _ZN2at6native25elementwise_kernel_helperILb0EZZZNS0_12_GLOBAL__N_119airy_ai_kernel_cudaERNS_18TensorIteratorBaseEENKUlvE_clEvENKUlvE_clEvEUldE_NS0_6memory8policies10vectorizedILi4ESt5arrayIPcLm2EELi4EEEEEvT0_T1_@rel32@lo+4
	s_addc_u32 s1, s1, _ZN2at6native25elementwise_kernel_helperILb0EZZZNS0_12_GLOBAL__N_119airy_ai_kernel_cudaERNS_18TensorIteratorBaseEENKUlvE_clEvENKUlvE_clEvEUldE_NS0_6memory8policies10vectorizedILi4ESt5arrayIPcLm2EELi4EEEEEvT0_T1_@rel32@hi+12
	s_mov_b32 s12, s33
	v_mov_b32_e32 v31, v40
	v_mov_b32_e32 v0, s36
	;; [unrolled: 1-line block ×5, first 2 shown]
	s_swappc_b64 s[30:31], s[0:1]
	s_cbranch_execnz .LBB3_2
.LBB3_4:
	s_getpc_b64 s[0:1]
	s_add_u32 s0, s0, _ZN2at6native25elementwise_kernel_helperILb0EZZZNS0_12_GLOBAL__N_119airy_ai_kernel_cudaERNS_18TensorIteratorBaseEENKUlvE_clEvENKUlvE_clEvEUldE_NS0_6memory8policies11unroll_baseILi256ESt5arrayIPcLm2EE23TrivialOffsetCalculatorILi1EjESF_NS8_15LoadWithoutCastENS8_16StoreWithoutCastELi4ELi1EEEEEvT0_T1_@rel32@lo+4
	s_addc_u32 s1, s1, _ZN2at6native25elementwise_kernel_helperILb0EZZZNS0_12_GLOBAL__N_119airy_ai_kernel_cudaERNS_18TensorIteratorBaseEENKUlvE_clEvENKUlvE_clEvEUldE_NS0_6memory8policies11unroll_baseILi256ESt5arrayIPcLm2EE23TrivialOffsetCalculatorILi1EjESF_NS8_15LoadWithoutCastENS8_16StoreWithoutCastELi4ELi1EEEEEvT0_T1_@rel32@hi+12
	s_mov_b32 s12, s33
	v_mov_b32_e32 v31, v40
	v_mov_b32_e32 v0, s36
	;; [unrolled: 1-line block ×6, first 2 shown]
	s_swappc_b64 s[30:31], s[0:1]
	s_endpgm
	.section	.rodata,"a",@progbits
	.p2align	6, 0x0
	.amdhsa_kernel _ZN2at6native29vectorized_elementwise_kernelILi8EZZZNS0_12_GLOBAL__N_119airy_ai_kernel_cudaERNS_18TensorIteratorBaseEENKUlvE_clEvENKUlvE_clEvEUldE_St5arrayIPcLm2EEEEviT0_T1_
		.amdhsa_group_segment_fixed_size 0
		.amdhsa_private_segment_fixed_size 0
		.amdhsa_kernarg_size 24
		.amdhsa_user_sgpr_count 2
		.amdhsa_user_sgpr_dispatch_ptr 0
		.amdhsa_user_sgpr_queue_ptr 0
		.amdhsa_user_sgpr_kernarg_segment_ptr 1
		.amdhsa_user_sgpr_dispatch_id 0
		.amdhsa_user_sgpr_kernarg_preload_length 0
		.amdhsa_user_sgpr_kernarg_preload_offset 0
		.amdhsa_user_sgpr_private_segment_size 0
		.amdhsa_uses_dynamic_stack 0
		.amdhsa_enable_private_segment 0
		.amdhsa_system_sgpr_workgroup_id_x 1
		.amdhsa_system_sgpr_workgroup_id_y 0
		.amdhsa_system_sgpr_workgroup_id_z 0
		.amdhsa_system_sgpr_workgroup_info 0
		.amdhsa_system_vgpr_workitem_id 0
		.amdhsa_next_free_vgpr 68
		.amdhsa_next_free_sgpr 48
		.amdhsa_accum_offset 68
		.amdhsa_reserve_vcc 1
		.amdhsa_float_round_mode_32 0
		.amdhsa_float_round_mode_16_64 0
		.amdhsa_float_denorm_mode_32 3
		.amdhsa_float_denorm_mode_16_64 3
		.amdhsa_dx10_clamp 1
		.amdhsa_ieee_mode 1
		.amdhsa_fp16_overflow 0
		.amdhsa_tg_split 0
		.amdhsa_exception_fp_ieee_invalid_op 0
		.amdhsa_exception_fp_denorm_src 0
		.amdhsa_exception_fp_ieee_div_zero 0
		.amdhsa_exception_fp_ieee_overflow 0
		.amdhsa_exception_fp_ieee_underflow 0
		.amdhsa_exception_fp_ieee_inexact 0
		.amdhsa_exception_int_div_zero 0
	.end_amdhsa_kernel
	.section	.text._ZN2at6native29vectorized_elementwise_kernelILi8EZZZNS0_12_GLOBAL__N_119airy_ai_kernel_cudaERNS_18TensorIteratorBaseEENKUlvE_clEvENKUlvE_clEvEUldE_St5arrayIPcLm2EEEEviT0_T1_,"axG",@progbits,_ZN2at6native29vectorized_elementwise_kernelILi8EZZZNS0_12_GLOBAL__N_119airy_ai_kernel_cudaERNS_18TensorIteratorBaseEENKUlvE_clEvENKUlvE_clEvEUldE_St5arrayIPcLm2EEEEviT0_T1_,comdat
.Lfunc_end3:
	.size	_ZN2at6native29vectorized_elementwise_kernelILi8EZZZNS0_12_GLOBAL__N_119airy_ai_kernel_cudaERNS_18TensorIteratorBaseEENKUlvE_clEvENKUlvE_clEvEUldE_St5arrayIPcLm2EEEEviT0_T1_, .Lfunc_end3-_ZN2at6native29vectorized_elementwise_kernelILi8EZZZNS0_12_GLOBAL__N_119airy_ai_kernel_cudaERNS_18TensorIteratorBaseEENKUlvE_clEvENKUlvE_clEvEUldE_St5arrayIPcLm2EEEEviT0_T1_
                                        ; -- End function
	.set _ZN2at6native29vectorized_elementwise_kernelILi8EZZZNS0_12_GLOBAL__N_119airy_ai_kernel_cudaERNS_18TensorIteratorBaseEENKUlvE_clEvENKUlvE_clEvEUldE_St5arrayIPcLm2EEEEviT0_T1_.num_vgpr, max(41, .L_ZN2at6native25elementwise_kernel_helperILb0EZZZNS0_12_GLOBAL__N_119airy_ai_kernel_cudaERNS_18TensorIteratorBaseEENKUlvE_clEvENKUlvE_clEvEUldE_NS0_6memory8policies10vectorizedILi4ESt5arrayIPcLm2EELi4EEEEEvT0_T1_.num_vgpr, .L_ZN2at6native25elementwise_kernel_helperILb0EZZZNS0_12_GLOBAL__N_119airy_ai_kernel_cudaERNS_18TensorIteratorBaseEENKUlvE_clEvENKUlvE_clEvEUldE_NS0_6memory8policies11unroll_baseILi256ESt5arrayIPcLm2EE23TrivialOffsetCalculatorILi1EjESF_NS8_15LoadWithoutCastENS8_16StoreWithoutCastELi4ELi1EEEEEvT0_T1_.num_vgpr)
	.set _ZN2at6native29vectorized_elementwise_kernelILi8EZZZNS0_12_GLOBAL__N_119airy_ai_kernel_cudaERNS_18TensorIteratorBaseEENKUlvE_clEvENKUlvE_clEvEUldE_St5arrayIPcLm2EEEEviT0_T1_.num_agpr, max(0, .L_ZN2at6native25elementwise_kernel_helperILb0EZZZNS0_12_GLOBAL__N_119airy_ai_kernel_cudaERNS_18TensorIteratorBaseEENKUlvE_clEvENKUlvE_clEvEUldE_NS0_6memory8policies10vectorizedILi4ESt5arrayIPcLm2EELi4EEEEEvT0_T1_.num_agpr, .L_ZN2at6native25elementwise_kernel_helperILb0EZZZNS0_12_GLOBAL__N_119airy_ai_kernel_cudaERNS_18TensorIteratorBaseEENKUlvE_clEvENKUlvE_clEvEUldE_NS0_6memory8policies11unroll_baseILi256ESt5arrayIPcLm2EE23TrivialOffsetCalculatorILi1EjESF_NS8_15LoadWithoutCastENS8_16StoreWithoutCastELi4ELi1EEEEEvT0_T1_.num_agpr)
	.set _ZN2at6native29vectorized_elementwise_kernelILi8EZZZNS0_12_GLOBAL__N_119airy_ai_kernel_cudaERNS_18TensorIteratorBaseEENKUlvE_clEvENKUlvE_clEvEUldE_St5arrayIPcLm2EEEEviT0_T1_.numbered_sgpr, max(40, .L_ZN2at6native25elementwise_kernel_helperILb0EZZZNS0_12_GLOBAL__N_119airy_ai_kernel_cudaERNS_18TensorIteratorBaseEENKUlvE_clEvENKUlvE_clEvEUldE_NS0_6memory8policies10vectorizedILi4ESt5arrayIPcLm2EELi4EEEEEvT0_T1_.numbered_sgpr, .L_ZN2at6native25elementwise_kernel_helperILb0EZZZNS0_12_GLOBAL__N_119airy_ai_kernel_cudaERNS_18TensorIteratorBaseEENKUlvE_clEvENKUlvE_clEvEUldE_NS0_6memory8policies11unroll_baseILi256ESt5arrayIPcLm2EE23TrivialOffsetCalculatorILi1EjESF_NS8_15LoadWithoutCastENS8_16StoreWithoutCastELi4ELi1EEEEEvT0_T1_.numbered_sgpr)
	.set _ZN2at6native29vectorized_elementwise_kernelILi8EZZZNS0_12_GLOBAL__N_119airy_ai_kernel_cudaERNS_18TensorIteratorBaseEENKUlvE_clEvENKUlvE_clEvEUldE_St5arrayIPcLm2EEEEviT0_T1_.num_named_barrier, max(0, .L_ZN2at6native25elementwise_kernel_helperILb0EZZZNS0_12_GLOBAL__N_119airy_ai_kernel_cudaERNS_18TensorIteratorBaseEENKUlvE_clEvENKUlvE_clEvEUldE_NS0_6memory8policies10vectorizedILi4ESt5arrayIPcLm2EELi4EEEEEvT0_T1_.num_named_barrier, .L_ZN2at6native25elementwise_kernel_helperILb0EZZZNS0_12_GLOBAL__N_119airy_ai_kernel_cudaERNS_18TensorIteratorBaseEENKUlvE_clEvENKUlvE_clEvEUldE_NS0_6memory8policies11unroll_baseILi256ESt5arrayIPcLm2EE23TrivialOffsetCalculatorILi1EjESF_NS8_15LoadWithoutCastENS8_16StoreWithoutCastELi4ELi1EEEEEvT0_T1_.num_named_barrier)
	.set _ZN2at6native29vectorized_elementwise_kernelILi8EZZZNS0_12_GLOBAL__N_119airy_ai_kernel_cudaERNS_18TensorIteratorBaseEENKUlvE_clEvENKUlvE_clEvEUldE_St5arrayIPcLm2EEEEviT0_T1_.private_seg_size, 0+max(.L_ZN2at6native25elementwise_kernel_helperILb0EZZZNS0_12_GLOBAL__N_119airy_ai_kernel_cudaERNS_18TensorIteratorBaseEENKUlvE_clEvENKUlvE_clEvEUldE_NS0_6memory8policies10vectorizedILi4ESt5arrayIPcLm2EELi4EEEEEvT0_T1_.private_seg_size, .L_ZN2at6native25elementwise_kernel_helperILb0EZZZNS0_12_GLOBAL__N_119airy_ai_kernel_cudaERNS_18TensorIteratorBaseEENKUlvE_clEvENKUlvE_clEvEUldE_NS0_6memory8policies11unroll_baseILi256ESt5arrayIPcLm2EE23TrivialOffsetCalculatorILi1EjESF_NS8_15LoadWithoutCastENS8_16StoreWithoutCastELi4ELi1EEEEEvT0_T1_.private_seg_size)
	.set _ZN2at6native29vectorized_elementwise_kernelILi8EZZZNS0_12_GLOBAL__N_119airy_ai_kernel_cudaERNS_18TensorIteratorBaseEENKUlvE_clEvENKUlvE_clEvEUldE_St5arrayIPcLm2EEEEviT0_T1_.uses_vcc, or(1, .L_ZN2at6native25elementwise_kernel_helperILb0EZZZNS0_12_GLOBAL__N_119airy_ai_kernel_cudaERNS_18TensorIteratorBaseEENKUlvE_clEvENKUlvE_clEvEUldE_NS0_6memory8policies10vectorizedILi4ESt5arrayIPcLm2EELi4EEEEEvT0_T1_.uses_vcc, .L_ZN2at6native25elementwise_kernel_helperILb0EZZZNS0_12_GLOBAL__N_119airy_ai_kernel_cudaERNS_18TensorIteratorBaseEENKUlvE_clEvENKUlvE_clEvEUldE_NS0_6memory8policies11unroll_baseILi256ESt5arrayIPcLm2EE23TrivialOffsetCalculatorILi1EjESF_NS8_15LoadWithoutCastENS8_16StoreWithoutCastELi4ELi1EEEEEvT0_T1_.uses_vcc)
	.set _ZN2at6native29vectorized_elementwise_kernelILi8EZZZNS0_12_GLOBAL__N_119airy_ai_kernel_cudaERNS_18TensorIteratorBaseEENKUlvE_clEvENKUlvE_clEvEUldE_St5arrayIPcLm2EEEEviT0_T1_.uses_flat_scratch, or(0, .L_ZN2at6native25elementwise_kernel_helperILb0EZZZNS0_12_GLOBAL__N_119airy_ai_kernel_cudaERNS_18TensorIteratorBaseEENKUlvE_clEvENKUlvE_clEvEUldE_NS0_6memory8policies10vectorizedILi4ESt5arrayIPcLm2EELi4EEEEEvT0_T1_.uses_flat_scratch, .L_ZN2at6native25elementwise_kernel_helperILb0EZZZNS0_12_GLOBAL__N_119airy_ai_kernel_cudaERNS_18TensorIteratorBaseEENKUlvE_clEvENKUlvE_clEvEUldE_NS0_6memory8policies11unroll_baseILi256ESt5arrayIPcLm2EE23TrivialOffsetCalculatorILi1EjESF_NS8_15LoadWithoutCastENS8_16StoreWithoutCastELi4ELi1EEEEEvT0_T1_.uses_flat_scratch)
	.set _ZN2at6native29vectorized_elementwise_kernelILi8EZZZNS0_12_GLOBAL__N_119airy_ai_kernel_cudaERNS_18TensorIteratorBaseEENKUlvE_clEvENKUlvE_clEvEUldE_St5arrayIPcLm2EEEEviT0_T1_.has_dyn_sized_stack, or(0, .L_ZN2at6native25elementwise_kernel_helperILb0EZZZNS0_12_GLOBAL__N_119airy_ai_kernel_cudaERNS_18TensorIteratorBaseEENKUlvE_clEvENKUlvE_clEvEUldE_NS0_6memory8policies10vectorizedILi4ESt5arrayIPcLm2EELi4EEEEEvT0_T1_.has_dyn_sized_stack, .L_ZN2at6native25elementwise_kernel_helperILb0EZZZNS0_12_GLOBAL__N_119airy_ai_kernel_cudaERNS_18TensorIteratorBaseEENKUlvE_clEvENKUlvE_clEvEUldE_NS0_6memory8policies11unroll_baseILi256ESt5arrayIPcLm2EE23TrivialOffsetCalculatorILi1EjESF_NS8_15LoadWithoutCastENS8_16StoreWithoutCastELi4ELi1EEEEEvT0_T1_.has_dyn_sized_stack)
	.set _ZN2at6native29vectorized_elementwise_kernelILi8EZZZNS0_12_GLOBAL__N_119airy_ai_kernel_cudaERNS_18TensorIteratorBaseEENKUlvE_clEvENKUlvE_clEvEUldE_St5arrayIPcLm2EEEEviT0_T1_.has_recursion, or(0, .L_ZN2at6native25elementwise_kernel_helperILb0EZZZNS0_12_GLOBAL__N_119airy_ai_kernel_cudaERNS_18TensorIteratorBaseEENKUlvE_clEvENKUlvE_clEvEUldE_NS0_6memory8policies10vectorizedILi4ESt5arrayIPcLm2EELi4EEEEEvT0_T1_.has_recursion, .L_ZN2at6native25elementwise_kernel_helperILb0EZZZNS0_12_GLOBAL__N_119airy_ai_kernel_cudaERNS_18TensorIteratorBaseEENKUlvE_clEvENKUlvE_clEvEUldE_NS0_6memory8policies11unroll_baseILi256ESt5arrayIPcLm2EE23TrivialOffsetCalculatorILi1EjESF_NS8_15LoadWithoutCastENS8_16StoreWithoutCastELi4ELi1EEEEEvT0_T1_.has_recursion)
	.set _ZN2at6native29vectorized_elementwise_kernelILi8EZZZNS0_12_GLOBAL__N_119airy_ai_kernel_cudaERNS_18TensorIteratorBaseEENKUlvE_clEvENKUlvE_clEvEUldE_St5arrayIPcLm2EEEEviT0_T1_.has_indirect_call, or(0, .L_ZN2at6native25elementwise_kernel_helperILb0EZZZNS0_12_GLOBAL__N_119airy_ai_kernel_cudaERNS_18TensorIteratorBaseEENKUlvE_clEvENKUlvE_clEvEUldE_NS0_6memory8policies10vectorizedILi4ESt5arrayIPcLm2EELi4EEEEEvT0_T1_.has_indirect_call, .L_ZN2at6native25elementwise_kernel_helperILb0EZZZNS0_12_GLOBAL__N_119airy_ai_kernel_cudaERNS_18TensorIteratorBaseEENKUlvE_clEvENKUlvE_clEvEUldE_NS0_6memory8policies11unroll_baseILi256ESt5arrayIPcLm2EE23TrivialOffsetCalculatorILi1EjESF_NS8_15LoadWithoutCastENS8_16StoreWithoutCastELi4ELi1EEEEEvT0_T1_.has_indirect_call)
	.section	.AMDGPU.csdata,"",@progbits
; Kernel info:
; codeLenInByte = 172
; TotalNumSgprs: 54
; NumVgprs: 68
; NumAgprs: 0
; TotalNumVgprs: 68
; ScratchSize: 0
; MemoryBound: 0
; FloatMode: 240
; IeeeMode: 1
; LDSByteSize: 0 bytes/workgroup (compile time only)
; SGPRBlocks: 6
; VGPRBlocks: 8
; NumSGPRsForWavesPerEU: 54
; NumVGPRsForWavesPerEU: 68
; AccumOffset: 68
; Occupancy: 7
; WaveLimiterHint : 0
; COMPUTE_PGM_RSRC2:SCRATCH_EN: 0
; COMPUTE_PGM_RSRC2:USER_SGPR: 2
; COMPUTE_PGM_RSRC2:TRAP_HANDLER: 0
; COMPUTE_PGM_RSRC2:TGID_X_EN: 1
; COMPUTE_PGM_RSRC2:TGID_Y_EN: 0
; COMPUTE_PGM_RSRC2:TGID_Z_EN: 0
; COMPUTE_PGM_RSRC2:TIDIG_COMP_CNT: 0
; COMPUTE_PGM_RSRC3_GFX90A:ACCUM_OFFSET: 16
; COMPUTE_PGM_RSRC3_GFX90A:TG_SPLIT: 0
	.section	.text._ZN2at6native29vectorized_elementwise_kernelILi4EZZZNS0_12_GLOBAL__N_119airy_ai_kernel_cudaERNS_18TensorIteratorBaseEENKUlvE_clEvENKUlvE_clEvEUldE_St5arrayIPcLm2EEEEviT0_T1_,"axG",@progbits,_ZN2at6native29vectorized_elementwise_kernelILi4EZZZNS0_12_GLOBAL__N_119airy_ai_kernel_cudaERNS_18TensorIteratorBaseEENKUlvE_clEvENKUlvE_clEvEUldE_St5arrayIPcLm2EEEEviT0_T1_,comdat
	.globl	_ZN2at6native29vectorized_elementwise_kernelILi4EZZZNS0_12_GLOBAL__N_119airy_ai_kernel_cudaERNS_18TensorIteratorBaseEENKUlvE_clEvENKUlvE_clEvEUldE_St5arrayIPcLm2EEEEviT0_T1_ ; -- Begin function _ZN2at6native29vectorized_elementwise_kernelILi4EZZZNS0_12_GLOBAL__N_119airy_ai_kernel_cudaERNS_18TensorIteratorBaseEENKUlvE_clEvENKUlvE_clEvEUldE_St5arrayIPcLm2EEEEviT0_T1_
	.p2align	8
	.type	_ZN2at6native29vectorized_elementwise_kernelILi4EZZZNS0_12_GLOBAL__N_119airy_ai_kernel_cudaERNS_18TensorIteratorBaseEENKUlvE_clEvENKUlvE_clEvEUldE_St5arrayIPcLm2EEEEviT0_T1_,@function
_ZN2at6native29vectorized_elementwise_kernelILi4EZZZNS0_12_GLOBAL__N_119airy_ai_kernel_cudaERNS_18TensorIteratorBaseEENKUlvE_clEvENKUlvE_clEvEUldE_St5arrayIPcLm2EEEEviT0_T1_: ; @_ZN2at6native29vectorized_elementwise_kernelILi4EZZZNS0_12_GLOBAL__N_119airy_ai_kernel_cudaERNS_18TensorIteratorBaseEENKUlvE_clEvENKUlvE_clEvEUldE_St5arrayIPcLm2EEEEviT0_T1_
; %bb.0:
	s_mov_b32 s33, s2
	s_load_dword s2, s[0:1], 0x0
	s_load_dwordx4 s[36:39], s[0:1], 0x8
	s_lshl_b32 s0, s33, 10
	v_mov_b32_e32 v40, v0
	s_mov_b32 s32, 0
	s_waitcnt lgkmcnt(0)
	s_sub_i32 s34, s2, s0
	s_cmpk_gt_i32 s34, 0x3ff
	s_mov_b64 s[0:1], -1
	s_cbranch_scc1 .LBB4_3
; %bb.1:
	s_andn2_b64 vcc, exec, s[0:1]
	s_cbranch_vccz .LBB4_4
.LBB4_2:
	s_endpgm
.LBB4_3:
	s_getpc_b64 s[0:1]
	s_add_u32 s0, s0, _ZN2at6native25elementwise_kernel_helperILb0EZZZNS0_12_GLOBAL__N_119airy_ai_kernel_cudaERNS_18TensorIteratorBaseEENKUlvE_clEvENKUlvE_clEvEUldE_NS0_6memory8policies10vectorizedILi4ESt5arrayIPcLm2EELi4EEEEEvT0_T1_@rel32@lo+4
	s_addc_u32 s1, s1, _ZN2at6native25elementwise_kernel_helperILb0EZZZNS0_12_GLOBAL__N_119airy_ai_kernel_cudaERNS_18TensorIteratorBaseEENKUlvE_clEvENKUlvE_clEvEUldE_NS0_6memory8policies10vectorizedILi4ESt5arrayIPcLm2EELi4EEEEEvT0_T1_@rel32@hi+12
	s_mov_b32 s12, s33
	v_mov_b32_e32 v31, v40
	v_mov_b32_e32 v0, s36
	;; [unrolled: 1-line block ×5, first 2 shown]
	s_swappc_b64 s[30:31], s[0:1]
	s_cbranch_execnz .LBB4_2
.LBB4_4:
	s_getpc_b64 s[0:1]
	s_add_u32 s0, s0, _ZN2at6native25elementwise_kernel_helperILb0EZZZNS0_12_GLOBAL__N_119airy_ai_kernel_cudaERNS_18TensorIteratorBaseEENKUlvE_clEvENKUlvE_clEvEUldE_NS0_6memory8policies11unroll_baseILi256ESt5arrayIPcLm2EE23TrivialOffsetCalculatorILi1EjESF_NS8_15LoadWithoutCastENS8_16StoreWithoutCastELi4ELi1EEEEEvT0_T1_@rel32@lo+4
	s_addc_u32 s1, s1, _ZN2at6native25elementwise_kernel_helperILb0EZZZNS0_12_GLOBAL__N_119airy_ai_kernel_cudaERNS_18TensorIteratorBaseEENKUlvE_clEvENKUlvE_clEvEUldE_NS0_6memory8policies11unroll_baseILi256ESt5arrayIPcLm2EE23TrivialOffsetCalculatorILi1EjESF_NS8_15LoadWithoutCastENS8_16StoreWithoutCastELi4ELi1EEEEEvT0_T1_@rel32@hi+12
	s_mov_b32 s12, s33
	v_mov_b32_e32 v31, v40
	v_mov_b32_e32 v0, s36
	;; [unrolled: 1-line block ×6, first 2 shown]
	s_swappc_b64 s[30:31], s[0:1]
	s_endpgm
	.section	.rodata,"a",@progbits
	.p2align	6, 0x0
	.amdhsa_kernel _ZN2at6native29vectorized_elementwise_kernelILi4EZZZNS0_12_GLOBAL__N_119airy_ai_kernel_cudaERNS_18TensorIteratorBaseEENKUlvE_clEvENKUlvE_clEvEUldE_St5arrayIPcLm2EEEEviT0_T1_
		.amdhsa_group_segment_fixed_size 0
		.amdhsa_private_segment_fixed_size 0
		.amdhsa_kernarg_size 24
		.amdhsa_user_sgpr_count 2
		.amdhsa_user_sgpr_dispatch_ptr 0
		.amdhsa_user_sgpr_queue_ptr 0
		.amdhsa_user_sgpr_kernarg_segment_ptr 1
		.amdhsa_user_sgpr_dispatch_id 0
		.amdhsa_user_sgpr_kernarg_preload_length 0
		.amdhsa_user_sgpr_kernarg_preload_offset 0
		.amdhsa_user_sgpr_private_segment_size 0
		.amdhsa_uses_dynamic_stack 0
		.amdhsa_enable_private_segment 0
		.amdhsa_system_sgpr_workgroup_id_x 1
		.amdhsa_system_sgpr_workgroup_id_y 0
		.amdhsa_system_sgpr_workgroup_id_z 0
		.amdhsa_system_sgpr_workgroup_info 0
		.amdhsa_system_vgpr_workitem_id 0
		.amdhsa_next_free_vgpr 68
		.amdhsa_next_free_sgpr 48
		.amdhsa_accum_offset 68
		.amdhsa_reserve_vcc 1
		.amdhsa_float_round_mode_32 0
		.amdhsa_float_round_mode_16_64 0
		.amdhsa_float_denorm_mode_32 3
		.amdhsa_float_denorm_mode_16_64 3
		.amdhsa_dx10_clamp 1
		.amdhsa_ieee_mode 1
		.amdhsa_fp16_overflow 0
		.amdhsa_tg_split 0
		.amdhsa_exception_fp_ieee_invalid_op 0
		.amdhsa_exception_fp_denorm_src 0
		.amdhsa_exception_fp_ieee_div_zero 0
		.amdhsa_exception_fp_ieee_overflow 0
		.amdhsa_exception_fp_ieee_underflow 0
		.amdhsa_exception_fp_ieee_inexact 0
		.amdhsa_exception_int_div_zero 0
	.end_amdhsa_kernel
	.section	.text._ZN2at6native29vectorized_elementwise_kernelILi4EZZZNS0_12_GLOBAL__N_119airy_ai_kernel_cudaERNS_18TensorIteratorBaseEENKUlvE_clEvENKUlvE_clEvEUldE_St5arrayIPcLm2EEEEviT0_T1_,"axG",@progbits,_ZN2at6native29vectorized_elementwise_kernelILi4EZZZNS0_12_GLOBAL__N_119airy_ai_kernel_cudaERNS_18TensorIteratorBaseEENKUlvE_clEvENKUlvE_clEvEUldE_St5arrayIPcLm2EEEEviT0_T1_,comdat
.Lfunc_end4:
	.size	_ZN2at6native29vectorized_elementwise_kernelILi4EZZZNS0_12_GLOBAL__N_119airy_ai_kernel_cudaERNS_18TensorIteratorBaseEENKUlvE_clEvENKUlvE_clEvEUldE_St5arrayIPcLm2EEEEviT0_T1_, .Lfunc_end4-_ZN2at6native29vectorized_elementwise_kernelILi4EZZZNS0_12_GLOBAL__N_119airy_ai_kernel_cudaERNS_18TensorIteratorBaseEENKUlvE_clEvENKUlvE_clEvEUldE_St5arrayIPcLm2EEEEviT0_T1_
                                        ; -- End function
	.set _ZN2at6native29vectorized_elementwise_kernelILi4EZZZNS0_12_GLOBAL__N_119airy_ai_kernel_cudaERNS_18TensorIteratorBaseEENKUlvE_clEvENKUlvE_clEvEUldE_St5arrayIPcLm2EEEEviT0_T1_.num_vgpr, max(41, .L_ZN2at6native25elementwise_kernel_helperILb0EZZZNS0_12_GLOBAL__N_119airy_ai_kernel_cudaERNS_18TensorIteratorBaseEENKUlvE_clEvENKUlvE_clEvEUldE_NS0_6memory8policies10vectorizedILi4ESt5arrayIPcLm2EELi4EEEEEvT0_T1_.num_vgpr, .L_ZN2at6native25elementwise_kernel_helperILb0EZZZNS0_12_GLOBAL__N_119airy_ai_kernel_cudaERNS_18TensorIteratorBaseEENKUlvE_clEvENKUlvE_clEvEUldE_NS0_6memory8policies11unroll_baseILi256ESt5arrayIPcLm2EE23TrivialOffsetCalculatorILi1EjESF_NS8_15LoadWithoutCastENS8_16StoreWithoutCastELi4ELi1EEEEEvT0_T1_.num_vgpr)
	.set _ZN2at6native29vectorized_elementwise_kernelILi4EZZZNS0_12_GLOBAL__N_119airy_ai_kernel_cudaERNS_18TensorIteratorBaseEENKUlvE_clEvENKUlvE_clEvEUldE_St5arrayIPcLm2EEEEviT0_T1_.num_agpr, max(0, .L_ZN2at6native25elementwise_kernel_helperILb0EZZZNS0_12_GLOBAL__N_119airy_ai_kernel_cudaERNS_18TensorIteratorBaseEENKUlvE_clEvENKUlvE_clEvEUldE_NS0_6memory8policies10vectorizedILi4ESt5arrayIPcLm2EELi4EEEEEvT0_T1_.num_agpr, .L_ZN2at6native25elementwise_kernel_helperILb0EZZZNS0_12_GLOBAL__N_119airy_ai_kernel_cudaERNS_18TensorIteratorBaseEENKUlvE_clEvENKUlvE_clEvEUldE_NS0_6memory8policies11unroll_baseILi256ESt5arrayIPcLm2EE23TrivialOffsetCalculatorILi1EjESF_NS8_15LoadWithoutCastENS8_16StoreWithoutCastELi4ELi1EEEEEvT0_T1_.num_agpr)
	.set _ZN2at6native29vectorized_elementwise_kernelILi4EZZZNS0_12_GLOBAL__N_119airy_ai_kernel_cudaERNS_18TensorIteratorBaseEENKUlvE_clEvENKUlvE_clEvEUldE_St5arrayIPcLm2EEEEviT0_T1_.numbered_sgpr, max(40, .L_ZN2at6native25elementwise_kernel_helperILb0EZZZNS0_12_GLOBAL__N_119airy_ai_kernel_cudaERNS_18TensorIteratorBaseEENKUlvE_clEvENKUlvE_clEvEUldE_NS0_6memory8policies10vectorizedILi4ESt5arrayIPcLm2EELi4EEEEEvT0_T1_.numbered_sgpr, .L_ZN2at6native25elementwise_kernel_helperILb0EZZZNS0_12_GLOBAL__N_119airy_ai_kernel_cudaERNS_18TensorIteratorBaseEENKUlvE_clEvENKUlvE_clEvEUldE_NS0_6memory8policies11unroll_baseILi256ESt5arrayIPcLm2EE23TrivialOffsetCalculatorILi1EjESF_NS8_15LoadWithoutCastENS8_16StoreWithoutCastELi4ELi1EEEEEvT0_T1_.numbered_sgpr)
	.set _ZN2at6native29vectorized_elementwise_kernelILi4EZZZNS0_12_GLOBAL__N_119airy_ai_kernel_cudaERNS_18TensorIteratorBaseEENKUlvE_clEvENKUlvE_clEvEUldE_St5arrayIPcLm2EEEEviT0_T1_.num_named_barrier, max(0, .L_ZN2at6native25elementwise_kernel_helperILb0EZZZNS0_12_GLOBAL__N_119airy_ai_kernel_cudaERNS_18TensorIteratorBaseEENKUlvE_clEvENKUlvE_clEvEUldE_NS0_6memory8policies10vectorizedILi4ESt5arrayIPcLm2EELi4EEEEEvT0_T1_.num_named_barrier, .L_ZN2at6native25elementwise_kernel_helperILb0EZZZNS0_12_GLOBAL__N_119airy_ai_kernel_cudaERNS_18TensorIteratorBaseEENKUlvE_clEvENKUlvE_clEvEUldE_NS0_6memory8policies11unroll_baseILi256ESt5arrayIPcLm2EE23TrivialOffsetCalculatorILi1EjESF_NS8_15LoadWithoutCastENS8_16StoreWithoutCastELi4ELi1EEEEEvT0_T1_.num_named_barrier)
	.set _ZN2at6native29vectorized_elementwise_kernelILi4EZZZNS0_12_GLOBAL__N_119airy_ai_kernel_cudaERNS_18TensorIteratorBaseEENKUlvE_clEvENKUlvE_clEvEUldE_St5arrayIPcLm2EEEEviT0_T1_.private_seg_size, 0+max(.L_ZN2at6native25elementwise_kernel_helperILb0EZZZNS0_12_GLOBAL__N_119airy_ai_kernel_cudaERNS_18TensorIteratorBaseEENKUlvE_clEvENKUlvE_clEvEUldE_NS0_6memory8policies10vectorizedILi4ESt5arrayIPcLm2EELi4EEEEEvT0_T1_.private_seg_size, .L_ZN2at6native25elementwise_kernel_helperILb0EZZZNS0_12_GLOBAL__N_119airy_ai_kernel_cudaERNS_18TensorIteratorBaseEENKUlvE_clEvENKUlvE_clEvEUldE_NS0_6memory8policies11unroll_baseILi256ESt5arrayIPcLm2EE23TrivialOffsetCalculatorILi1EjESF_NS8_15LoadWithoutCastENS8_16StoreWithoutCastELi4ELi1EEEEEvT0_T1_.private_seg_size)
	.set _ZN2at6native29vectorized_elementwise_kernelILi4EZZZNS0_12_GLOBAL__N_119airy_ai_kernel_cudaERNS_18TensorIteratorBaseEENKUlvE_clEvENKUlvE_clEvEUldE_St5arrayIPcLm2EEEEviT0_T1_.uses_vcc, or(1, .L_ZN2at6native25elementwise_kernel_helperILb0EZZZNS0_12_GLOBAL__N_119airy_ai_kernel_cudaERNS_18TensorIteratorBaseEENKUlvE_clEvENKUlvE_clEvEUldE_NS0_6memory8policies10vectorizedILi4ESt5arrayIPcLm2EELi4EEEEEvT0_T1_.uses_vcc, .L_ZN2at6native25elementwise_kernel_helperILb0EZZZNS0_12_GLOBAL__N_119airy_ai_kernel_cudaERNS_18TensorIteratorBaseEENKUlvE_clEvENKUlvE_clEvEUldE_NS0_6memory8policies11unroll_baseILi256ESt5arrayIPcLm2EE23TrivialOffsetCalculatorILi1EjESF_NS8_15LoadWithoutCastENS8_16StoreWithoutCastELi4ELi1EEEEEvT0_T1_.uses_vcc)
	.set _ZN2at6native29vectorized_elementwise_kernelILi4EZZZNS0_12_GLOBAL__N_119airy_ai_kernel_cudaERNS_18TensorIteratorBaseEENKUlvE_clEvENKUlvE_clEvEUldE_St5arrayIPcLm2EEEEviT0_T1_.uses_flat_scratch, or(0, .L_ZN2at6native25elementwise_kernel_helperILb0EZZZNS0_12_GLOBAL__N_119airy_ai_kernel_cudaERNS_18TensorIteratorBaseEENKUlvE_clEvENKUlvE_clEvEUldE_NS0_6memory8policies10vectorizedILi4ESt5arrayIPcLm2EELi4EEEEEvT0_T1_.uses_flat_scratch, .L_ZN2at6native25elementwise_kernel_helperILb0EZZZNS0_12_GLOBAL__N_119airy_ai_kernel_cudaERNS_18TensorIteratorBaseEENKUlvE_clEvENKUlvE_clEvEUldE_NS0_6memory8policies11unroll_baseILi256ESt5arrayIPcLm2EE23TrivialOffsetCalculatorILi1EjESF_NS8_15LoadWithoutCastENS8_16StoreWithoutCastELi4ELi1EEEEEvT0_T1_.uses_flat_scratch)
	.set _ZN2at6native29vectorized_elementwise_kernelILi4EZZZNS0_12_GLOBAL__N_119airy_ai_kernel_cudaERNS_18TensorIteratorBaseEENKUlvE_clEvENKUlvE_clEvEUldE_St5arrayIPcLm2EEEEviT0_T1_.has_dyn_sized_stack, or(0, .L_ZN2at6native25elementwise_kernel_helperILb0EZZZNS0_12_GLOBAL__N_119airy_ai_kernel_cudaERNS_18TensorIteratorBaseEENKUlvE_clEvENKUlvE_clEvEUldE_NS0_6memory8policies10vectorizedILi4ESt5arrayIPcLm2EELi4EEEEEvT0_T1_.has_dyn_sized_stack, .L_ZN2at6native25elementwise_kernel_helperILb0EZZZNS0_12_GLOBAL__N_119airy_ai_kernel_cudaERNS_18TensorIteratorBaseEENKUlvE_clEvENKUlvE_clEvEUldE_NS0_6memory8policies11unroll_baseILi256ESt5arrayIPcLm2EE23TrivialOffsetCalculatorILi1EjESF_NS8_15LoadWithoutCastENS8_16StoreWithoutCastELi4ELi1EEEEEvT0_T1_.has_dyn_sized_stack)
	.set _ZN2at6native29vectorized_elementwise_kernelILi4EZZZNS0_12_GLOBAL__N_119airy_ai_kernel_cudaERNS_18TensorIteratorBaseEENKUlvE_clEvENKUlvE_clEvEUldE_St5arrayIPcLm2EEEEviT0_T1_.has_recursion, or(0, .L_ZN2at6native25elementwise_kernel_helperILb0EZZZNS0_12_GLOBAL__N_119airy_ai_kernel_cudaERNS_18TensorIteratorBaseEENKUlvE_clEvENKUlvE_clEvEUldE_NS0_6memory8policies10vectorizedILi4ESt5arrayIPcLm2EELi4EEEEEvT0_T1_.has_recursion, .L_ZN2at6native25elementwise_kernel_helperILb0EZZZNS0_12_GLOBAL__N_119airy_ai_kernel_cudaERNS_18TensorIteratorBaseEENKUlvE_clEvENKUlvE_clEvEUldE_NS0_6memory8policies11unroll_baseILi256ESt5arrayIPcLm2EE23TrivialOffsetCalculatorILi1EjESF_NS8_15LoadWithoutCastENS8_16StoreWithoutCastELi4ELi1EEEEEvT0_T1_.has_recursion)
	.set _ZN2at6native29vectorized_elementwise_kernelILi4EZZZNS0_12_GLOBAL__N_119airy_ai_kernel_cudaERNS_18TensorIteratorBaseEENKUlvE_clEvENKUlvE_clEvEUldE_St5arrayIPcLm2EEEEviT0_T1_.has_indirect_call, or(0, .L_ZN2at6native25elementwise_kernel_helperILb0EZZZNS0_12_GLOBAL__N_119airy_ai_kernel_cudaERNS_18TensorIteratorBaseEENKUlvE_clEvENKUlvE_clEvEUldE_NS0_6memory8policies10vectorizedILi4ESt5arrayIPcLm2EELi4EEEEEvT0_T1_.has_indirect_call, .L_ZN2at6native25elementwise_kernel_helperILb0EZZZNS0_12_GLOBAL__N_119airy_ai_kernel_cudaERNS_18TensorIteratorBaseEENKUlvE_clEvENKUlvE_clEvEUldE_NS0_6memory8policies11unroll_baseILi256ESt5arrayIPcLm2EE23TrivialOffsetCalculatorILi1EjESF_NS8_15LoadWithoutCastENS8_16StoreWithoutCastELi4ELi1EEEEEvT0_T1_.has_indirect_call)
	.section	.AMDGPU.csdata,"",@progbits
; Kernel info:
; codeLenInByte = 172
; TotalNumSgprs: 54
; NumVgprs: 68
; NumAgprs: 0
; TotalNumVgprs: 68
; ScratchSize: 0
; MemoryBound: 0
; FloatMode: 240
; IeeeMode: 1
; LDSByteSize: 0 bytes/workgroup (compile time only)
; SGPRBlocks: 6
; VGPRBlocks: 8
; NumSGPRsForWavesPerEU: 54
; NumVGPRsForWavesPerEU: 68
; AccumOffset: 68
; Occupancy: 7
; WaveLimiterHint : 0
; COMPUTE_PGM_RSRC2:SCRATCH_EN: 0
; COMPUTE_PGM_RSRC2:USER_SGPR: 2
; COMPUTE_PGM_RSRC2:TRAP_HANDLER: 0
; COMPUTE_PGM_RSRC2:TGID_X_EN: 1
; COMPUTE_PGM_RSRC2:TGID_Y_EN: 0
; COMPUTE_PGM_RSRC2:TGID_Z_EN: 0
; COMPUTE_PGM_RSRC2:TIDIG_COMP_CNT: 0
; COMPUTE_PGM_RSRC3_GFX90A:ACCUM_OFFSET: 16
; COMPUTE_PGM_RSRC3_GFX90A:TG_SPLIT: 0
	.section	.text._ZN2at6native29vectorized_elementwise_kernelILi2EZZZNS0_12_GLOBAL__N_119airy_ai_kernel_cudaERNS_18TensorIteratorBaseEENKUlvE_clEvENKUlvE_clEvEUldE_St5arrayIPcLm2EEEEviT0_T1_,"axG",@progbits,_ZN2at6native29vectorized_elementwise_kernelILi2EZZZNS0_12_GLOBAL__N_119airy_ai_kernel_cudaERNS_18TensorIteratorBaseEENKUlvE_clEvENKUlvE_clEvEUldE_St5arrayIPcLm2EEEEviT0_T1_,comdat
	.globl	_ZN2at6native29vectorized_elementwise_kernelILi2EZZZNS0_12_GLOBAL__N_119airy_ai_kernel_cudaERNS_18TensorIteratorBaseEENKUlvE_clEvENKUlvE_clEvEUldE_St5arrayIPcLm2EEEEviT0_T1_ ; -- Begin function _ZN2at6native29vectorized_elementwise_kernelILi2EZZZNS0_12_GLOBAL__N_119airy_ai_kernel_cudaERNS_18TensorIteratorBaseEENKUlvE_clEvENKUlvE_clEvEUldE_St5arrayIPcLm2EEEEviT0_T1_
	.p2align	8
	.type	_ZN2at6native29vectorized_elementwise_kernelILi2EZZZNS0_12_GLOBAL__N_119airy_ai_kernel_cudaERNS_18TensorIteratorBaseEENKUlvE_clEvENKUlvE_clEvEUldE_St5arrayIPcLm2EEEEviT0_T1_,@function
_ZN2at6native29vectorized_elementwise_kernelILi2EZZZNS0_12_GLOBAL__N_119airy_ai_kernel_cudaERNS_18TensorIteratorBaseEENKUlvE_clEvENKUlvE_clEvEUldE_St5arrayIPcLm2EEEEviT0_T1_: ; @_ZN2at6native29vectorized_elementwise_kernelILi2EZZZNS0_12_GLOBAL__N_119airy_ai_kernel_cudaERNS_18TensorIteratorBaseEENKUlvE_clEvENKUlvE_clEvEUldE_St5arrayIPcLm2EEEEviT0_T1_
; %bb.0:
	s_load_dword s3, s[0:1], 0x0
	s_load_dwordx4 s[4:7], s[0:1], 0x8
	s_lshl_b32 s0, s2, 10
	s_mov_b64 s[8:9], -1
	s_mov_b32 s32, 0
	s_waitcnt lgkmcnt(0)
	s_sub_i32 s3, s3, s0
	s_cmpk_gt_i32 s3, 0x3ff
	s_cbranch_scc0 .LBB5_14
; %bb.1:
	s_ashr_i32 s1, s0, 31
	s_lshl_b64 s[8:9], s[0:1], 3
	s_add_u32 s0, s6, s8
	s_addc_u32 s1, s7, s9
	v_mov_b32_e32 v15, 0
	v_lshlrev_b32_e32 v14, 4, v0
	v_lshl_add_u64 v[2:3], s[0:1], 0, v[14:15]
	v_add_co_u32_e32 v2, vcc, 0x1000, v2
	global_load_dwordx4 v[10:13], v14, s[0:1]
	s_nop 0
	v_addc_co_u32_e32 v3, vcc, 0, v3, vcc
	global_load_dwordx4 v[6:9], v[2:3], off
	s_mov_b32 s10, 0
	s_mov_b32 s11, 0x7ff00000
	v_mov_b32_e32 v4, 0
	v_mov_b32_e32 v2, 0
	;; [unrolled: 1-line block ×4, first 2 shown]
	s_waitcnt vmcnt(1)
	v_cmp_neq_f64_e64 s[0:1], |v[10:11]|, s[10:11]
	s_and_saveexec_b64 s[12:13], s[0:1]
	s_cbranch_execz .LBB5_25
; %bb.2:
	s_mov_b32 s0, 0x872b020c
	s_mov_b32 s1, 0x4059f916
	v_cmp_nlt_f64_e32 vcc, s[0:1], v[10:11]
	v_mov_b64_e32 v[2:3], 0
	s_and_saveexec_b64 s[14:15], vcc
	s_cbranch_execz .LBB5_24
; %bb.3:
	s_mov_b32 s1, 0xc000b851
	s_mov_b32 s0, 0xeb851eb8
	v_cmp_ngt_f64_e32 vcc, s[0:1], v[10:11]
	s_and_saveexec_b64 s[16:17], vcc
	s_xor_b64 s[16:17], exec, s[16:17]
	s_cbranch_execz .LBB5_11
; %bb.4:
	s_mov_b32 s1, 0x4000b851
	v_cmp_nle_f64_e64 s[18:19], s[0:1], v[10:11]
	v_cmp_le_f64_e32 vcc, s[0:1], v[10:11]
	v_mov_b64_e32 v[2:3], 0
	s_mov_b64 s[0:1], s[18:19]
	s_and_saveexec_b64 s[20:21], vcc
	s_cbranch_execz .LBB5_6
; %bb.5:
	s_mov_b32 s0, 0
	s_brev_b32 s1, 8
	v_mov_b32_e32 v1, 0x100
	v_cmp_gt_f64_e32 vcc, s[0:1], v[10:11]
	v_mov_b32_e32 v15, 0xffffff80
	v_mov_b32_e32 v30, 0x260
	v_cndmask_b32_e32 v2, 0, v1, vcc
	v_ldexp_f64 v[2:3], v[10:11], v2
	v_rsq_f64_e32 v[16:17], v[2:3]
	v_add_f64 v[18:19], v[10:11], v[10:11]
	s_mov_b32 s22, 0
	s_mov_b32 s23, 0x40080000
	v_mul_f64 v[20:21], v[2:3], v[16:17]
	v_mul_f64 v[16:17], v[16:17], 0.5
	v_fma_f64 v[22:23], -v[16:17], v[20:21], 0.5
	v_fmac_f64_e32 v[20:21], v[20:21], v[22:23]
	v_fma_f64 v[24:25], -v[20:21], v[20:21], v[2:3]
	v_fmac_f64_e32 v[16:17], v[16:17], v[22:23]
	v_fmac_f64_e32 v[20:21], v[24:25], v[16:17]
	v_fma_f64 v[22:23], -v[20:21], v[20:21], v[2:3]
	v_fmac_f64_e32 v[20:21], v[22:23], v[16:17]
	v_cndmask_b32_e32 v16, 0, v15, vcc
	v_ldexp_f64 v[16:17], v[20:21], v16
	v_cmp_class_f64_e32 vcc, v[2:3], v30
	s_nop 1
	v_cndmask_b32_e32 v3, v17, v3, vcc
	v_cndmask_b32_e32 v2, v16, v2, vcc
	v_mul_f64 v[16:17], v[18:19], v[2:3]
	v_div_scale_f64 v[18:19], s[24:25], s[22:23], s[22:23], v[16:17]
	v_rcp_f64_e32 v[20:21], v[18:19]
	s_nop 0
	v_fma_f64 v[22:23], -v[18:19], v[20:21], 1.0
	v_fmac_f64_e32 v[20:21], v[20:21], v[22:23]
	v_fma_f64 v[22:23], -v[18:19], v[20:21], 1.0
	v_fmac_f64_e32 v[20:21], v[20:21], v[22:23]
	v_div_scale_f64 v[22:23], vcc, v[16:17], s[22:23], v[16:17]
	v_mul_f64 v[24:25], v[22:23], v[20:21]
	v_fma_f64 v[18:19], -v[18:19], v[24:25], v[22:23]
	s_nop 1
	v_div_fmas_f64 v[18:19], v[18:19], v[20:21], v[24:25]
	v_div_fixup_f64 v[16:17], v[18:19], s[22:23], v[16:17]
	v_div_scale_f64 v[18:19], s[22:23], v[16:17], v[16:17], 1.0
	v_rcp_f64_e32 v[20:21], v[18:19]
	s_nop 0
	v_fma_f64 v[22:23], -v[18:19], v[20:21], 1.0
	v_fmac_f64_e32 v[20:21], v[20:21], v[22:23]
	v_fma_f64 v[22:23], -v[18:19], v[20:21], 1.0
	v_fmac_f64_e32 v[20:21], v[20:21], v[22:23]
	v_div_scale_f64 v[22:23], vcc, 1.0, v[16:17], 1.0
	v_mul_f64 v[24:25], v[22:23], v[20:21]
	v_fma_f64 v[18:19], -v[18:19], v[24:25], v[22:23]
	v_mov_b32_e32 v22, 0x871a9067
	s_nop 0
	v_div_fmas_f64 v[18:19], v[18:19], v[20:21], v[24:25]
	v_div_fixup_f64 v[18:19], v[18:19], v[16:17], 1.0
	v_mov_b32_e32 v20, 0x2537b658
	v_mov_b32_e32 v21, 0x3fd62dae
	v_fmac_f64_e32 v[20:21], 0, v[18:19]
	v_mov_b32_e32 v23, 0x402803e3
	v_fmac_f64_e32 v[22:23], v[18:19], v[20:21]
	v_mov_b32_e32 v20, 0xde2e1e3
	v_mov_b32_e32 v21, 0x405311e5
	v_fmac_f64_e32 v[20:21], v[18:19], v[22:23]
	v_mov_b32_e32 v22, 0xee40073c
	;; [unrolled: 3-line block ×12, first 2 shown]
	v_mov_b32_e32 v23, 0x402c311b
	v_fmac_f64_e32 v[22:23], v[18:19], v[24:25]
	v_fma_f64 v[22:23], v[18:19], v[22:23], 1.0
	v_fma_f64 v[18:19], v[18:19], v[20:21], 1.0
	v_div_scale_f64 v[20:21], s[22:23], v[22:23], v[22:23], v[18:19]
	v_rcp_f64_e32 v[24:25], v[20:21]
	s_nop 0
	v_fma_f64 v[26:27], -v[20:21], v[24:25], 1.0
	v_fmac_f64_e32 v[24:25], v[24:25], v[26:27]
	v_fma_f64 v[26:27], -v[20:21], v[24:25], 1.0
	v_fmac_f64_e32 v[24:25], v[24:25], v[26:27]
	v_div_scale_f64 v[26:27], vcc, v[18:19], v[22:23], v[18:19]
	v_mul_f64 v[28:29], v[26:27], v[24:25]
	v_fma_f64 v[20:21], -v[20:21], v[28:29], v[26:27]
	s_nop 1
	v_div_fmas_f64 v[20:21], v[20:21], v[24:25], v[28:29]
	v_cmp_gt_f64_e32 vcc, s[0:1], v[2:3]
	v_div_fixup_f64 v[18:19], v[20:21], v[22:23], v[18:19]
	s_mov_b32 s0, 0x50429b6d
	v_cndmask_b32_e32 v1, 0, v1, vcc
	v_ldexp_f64 v[2:3], v[2:3], v1
	v_rsq_f64_e32 v[20:21], v[2:3]
	s_mov_b32 s1, 0x3fe20dd7
	v_mul_f64 v[18:19], v[18:19], s[0:1]
	v_cndmask_b32_e32 v1, 0, v15, vcc
	v_mul_f64 v[22:23], v[2:3], v[20:21]
	v_mul_f64 v[20:21], v[20:21], 0.5
	v_fma_f64 v[24:25], -v[20:21], v[22:23], 0.5
	v_fmac_f64_e32 v[22:23], v[22:23], v[24:25]
	v_fma_f64 v[26:27], -v[22:23], v[22:23], v[2:3]
	v_fmac_f64_e32 v[20:21], v[20:21], v[24:25]
	v_fmac_f64_e32 v[22:23], v[26:27], v[20:21]
	v_fma_f64 v[24:25], -v[22:23], v[22:23], v[2:3]
	v_fmac_f64_e32 v[22:23], v[24:25], v[20:21]
	s_mov_b32 s0, 0x652b82fe
	v_ldexp_f64 v[20:21], v[22:23], v1
	v_cmp_class_f64_e32 vcc, v[2:3], v30
	s_mov_b32 s1, 0x3ff71547
	v_mov_b32_e32 v24, 0xfca7ab0c
	v_cndmask_b32_e32 v3, v21, v3, vcc
	v_cndmask_b32_e32 v2, v20, v2, vcc
	v_mul_f64 v[20:21], v[16:17], s[0:1]
	s_mov_b32 s0, 0xfefa39ef
	v_rndne_f64_e32 v[20:21], v[20:21]
	s_mov_b32 s1, 0xbfe62e42
	v_fma_f64 v[22:23], s[0:1], v[20:21], v[16:17]
	s_mov_b32 s0, 0x3b39803f
	s_mov_b32 s1, 0xbc7abc9e
	v_fmac_f64_e32 v[22:23], s[0:1], v[20:21]
	s_mov_b32 s0, 0x6a5dcb37
	v_mov_b32_e32 v25, 0x3e928af3
	s_mov_b32 s1, 0x3e5ade15
	v_fmac_f64_e32 v[24:25], s[0:1], v[22:23]
	v_mov_b32_e32 v26, 0x623fde64
	v_mov_b32_e32 v27, 0x3ec71dee
	v_fmac_f64_e32 v[26:27], v[22:23], v[24:25]
	v_mov_b32_e32 v24, 0x7c89e6b0
	v_mov_b32_e32 v25, 0x3efa0199
	v_fmac_f64_e32 v[24:25], v[22:23], v[26:27]
	v_mov_b32_e32 v26, 0x14761f6e
	v_mov_b32_e32 v27, 0x3f2a01a0
	v_fmac_f64_e32 v[26:27], v[22:23], v[24:25]
	v_mov_b32_e32 v24, 0x1852b7b0
	v_mov_b32_e32 v25, 0x3f56c16c
	v_fmac_f64_e32 v[24:25], v[22:23], v[26:27]
	v_mov_b32_e32 v26, 0x11122322
	v_mov_b32_e32 v27, 0x3f811111
	v_fmac_f64_e32 v[26:27], v[22:23], v[24:25]
	v_mov_b32_e32 v24, 0x555502a1
	v_mov_b32_e32 v25, 0x3fa55555
	v_fmac_f64_e32 v[24:25], v[22:23], v[26:27]
	v_mov_b32_e32 v26, 0x55555511
	v_mov_b32_e32 v27, 0x3fc55555
	v_fmac_f64_e32 v[26:27], v[22:23], v[24:25]
	v_mov_b32_e32 v24, 11
	v_mov_b32_e32 v25, 0x3fe00000
	s_mov_b32 s0, 0
	v_fmac_f64_e32 v[24:25], v[22:23], v[26:27]
	s_mov_b32 s1, 0x40900000
	v_fma_f64 v[24:25], v[22:23], v[24:25], 1.0
	v_cmp_nlt_f64_e32 vcc, s[0:1], v[16:17]
	s_mov_b32 s0, 0
	v_fma_f64 v[22:23], v[22:23], v[24:25], 1.0
	v_cvt_i32_f64_e32 v1, v[20:21]
	s_mov_b32 s1, 0xc090cc00
	v_ldexp_f64 v[20:21], v[22:23], v1
	v_mov_b32_e32 v1, 0x7ff00000
	v_cmp_ngt_f64_e64 s[0:1], s[0:1], v[16:17]
	v_cndmask_b32_e32 v1, v1, v21, vcc
	s_and_b64 vcc, s[0:1], vcc
	v_add_f64 v[2:3], v[2:3], v[2:3]
	v_cndmask_b32_e64 v17, 0, v1, s[0:1]
	v_cndmask_b32_e32 v16, 0, v20, vcc
	v_mul_f64 v[2:3], v[2:3], v[16:17]
	v_div_scale_f64 v[16:17], s[0:1], v[2:3], v[2:3], v[18:19]
	v_rcp_f64_e32 v[20:21], v[16:17]
	s_mov_b32 s0, 0xfd0a823a
	s_mov_b32 s1, 0x4020a402
	v_fma_f64 v[22:23], -v[16:17], v[20:21], 1.0
	v_fmac_f64_e32 v[20:21], v[20:21], v[22:23]
	v_fma_f64 v[22:23], -v[16:17], v[20:21], 1.0
	v_fmac_f64_e32 v[20:21], v[20:21], v[22:23]
	v_div_scale_f64 v[22:23], vcc, v[18:19], v[2:3], v[18:19]
	v_mul_f64 v[24:25], v[22:23], v[20:21]
	v_fma_f64 v[16:17], -v[16:17], v[24:25], v[22:23]
	s_nop 1
	v_div_fmas_f64 v[16:17], v[16:17], v[20:21], v[24:25]
	v_cmp_nlt_f64_e32 vcc, s[0:1], v[10:11]
	s_andn2_b64 s[0:1], s[18:19], exec
	s_and_b64 s[22:23], vcc, exec
	v_div_fixup_f64 v[2:3], v[16:17], v[2:3], v[18:19]
	s_or_b64 s[0:1], s[0:1], s[22:23]
.LBB5_6:
	s_or_b64 exec, exec, s[20:21]
	s_and_saveexec_b64 s[20:21], s[0:1]
	s_cbranch_execz .LBB5_10
; %bb.7:
	v_mul_f64 v[16:17], v[10:11], v[10:11]
	s_mov_b32 s24, 0
	v_mul_f64 v[18:19], v[10:11], v[16:17]
	v_mov_b64_e32 v[24:25], 1.0
	s_mov_b64 s[22:23], 0
	v_mov_b64_e32 v[22:23], 1.0
	s_mov_b32 s25, 0x3cb00000
	v_mov_b64_e32 v[20:21], v[10:11]
	v_mov_b64_e32 v[16:17], 1.0
.LBB5_8:                                ; =>This Inner Loop Header: Depth=1
	v_mul_f64 v[24:25], v[18:19], v[24:25]
	v_add_f64 v[26:27], v[22:23], 1.0
	v_mul_f64 v[10:11], v[18:19], v[10:11]
	v_div_scale_f64 v[28:29], s[0:1], v[26:27], v[26:27], v[24:25]
	v_add_f64 v[32:33], v[26:27], 1.0
	v_rcp_f64_e32 v[34:35], v[28:29]
	v_div_scale_f64 v[36:37], s[0:1], v[32:33], v[32:33], v[10:11]
	v_rcp_f64_e32 v[40:41], v[36:37]
	v_fma_f64 v[42:43], -v[28:29], v[34:35], 1.0
	v_fmac_f64_e32 v[34:35], v[34:35], v[42:43]
	v_fma_f64 v[44:45], -v[28:29], v[34:35], 1.0
	v_fma_f64 v[42:43], -v[36:37], v[40:41], 1.0
	v_fmac_f64_e32 v[40:41], v[40:41], v[42:43]
	v_div_scale_f64 v[30:31], vcc, v[24:25], v[26:27], v[24:25]
	v_fmac_f64_e32 v[34:35], v[34:35], v[44:45]
	v_fma_f64 v[42:43], -v[36:37], v[40:41], 1.0
	v_div_scale_f64 v[38:39], s[0:1], v[10:11], v[32:33], v[10:11]
	v_mul_f64 v[44:45], v[30:31], v[34:35]
	v_fmac_f64_e32 v[40:41], v[40:41], v[42:43]
	v_fma_f64 v[28:29], -v[28:29], v[44:45], v[30:31]
	v_mul_f64 v[30:31], v[38:39], v[40:41]
	v_div_fmas_f64 v[28:29], v[28:29], v[34:35], v[44:45]
	v_fma_f64 v[34:35], -v[36:37], v[30:31], v[38:39]
	s_mov_b64 vcc, s[0:1]
	v_div_fixup_f64 v[24:25], v[28:29], v[26:27], v[24:25]
	v_div_fmas_f64 v[26:27], v[34:35], v[40:41], v[30:31]
	v_div_fixup_f64 v[10:11], v[26:27], v[32:33], v[10:11]
	v_div_scale_f64 v[26:27], s[0:1], v[32:33], v[32:33], v[24:25]
	v_add_f64 v[22:23], v[32:33], 1.0
	v_rcp_f64_e32 v[30:31], v[26:27]
	v_div_scale_f64 v[34:35], s[0:1], v[22:23], v[22:23], v[10:11]
	v_rcp_f64_e32 v[38:39], v[34:35]
	v_fma_f64 v[40:41], -v[26:27], v[30:31], 1.0
	v_fmac_f64_e32 v[30:31], v[30:31], v[40:41]
	v_fma_f64 v[42:43], -v[26:27], v[30:31], 1.0
	v_fma_f64 v[40:41], -v[34:35], v[38:39], 1.0
	v_div_scale_f64 v[28:29], vcc, v[24:25], v[32:33], v[24:25]
	v_fmac_f64_e32 v[38:39], v[38:39], v[40:41]
	v_fmac_f64_e32 v[30:31], v[30:31], v[42:43]
	v_fma_f64 v[40:41], -v[34:35], v[38:39], 1.0
	v_mul_f64 v[42:43], v[28:29], v[30:31]
	v_div_scale_f64 v[36:37], s[0:1], v[10:11], v[22:23], v[10:11]
	v_fmac_f64_e32 v[38:39], v[38:39], v[40:41]
	v_fma_f64 v[26:27], -v[26:27], v[42:43], v[28:29]
	v_mul_f64 v[28:29], v[36:37], v[38:39]
	v_div_fmas_f64 v[26:27], v[26:27], v[30:31], v[42:43]
	v_fma_f64 v[30:31], -v[34:35], v[28:29], v[36:37]
	v_div_fixup_f64 v[24:25], v[26:27], v[32:33], v[24:25]
	s_mov_b64 vcc, s[0:1]
	v_div_fmas_f64 v[26:27], v[30:31], v[38:39], v[28:29]
	v_add_f64 v[16:17], v[16:17], v[24:25]
	v_div_fixup_f64 v[10:11], v[26:27], v[22:23], v[10:11]
	v_div_scale_f64 v[26:27], s[0:1], v[16:17], v[16:17], v[24:25]
	v_rcp_f64_e32 v[28:29], v[26:27]
	v_div_scale_f64 v[30:31], vcc, v[24:25], v[16:17], v[24:25]
	v_add_f64 v[20:21], v[20:21], v[10:11]
	v_fma_f64 v[32:33], -v[26:27], v[28:29], 1.0
	v_fmac_f64_e32 v[28:29], v[28:29], v[32:33]
	v_fma_f64 v[32:33], -v[26:27], v[28:29], 1.0
	v_fmac_f64_e32 v[28:29], v[28:29], v[32:33]
	v_mul_f64 v[32:33], v[30:31], v[28:29]
	v_fma_f64 v[26:27], -v[26:27], v[32:33], v[30:31]
	v_div_fmas_f64 v[26:27], v[26:27], v[28:29], v[32:33]
	v_div_fixup_f64 v[26:27], v[26:27], v[16:17], v[24:25]
	v_cmp_ngt_f64_e64 s[0:1], |v[26:27]|, s[24:25]
	s_or_b64 s[22:23], s[0:1], s[22:23]
	s_andn2_b64 exec, exec, s[22:23]
	s_cbranch_execnz .LBB5_8
; %bb.9:
	s_or_b64 exec, exec, s[22:23]
	s_mov_b32 s0, 0x42b70f8b
	s_mov_b32 s1, 0xbfd0907f
	v_mul_f64 v[10:11], v[20:21], s[0:1]
	s_mov_b32 s0, 0x962715b8
	s_mov_b32 s1, 0x3fd6b8c7
	v_fmac_f64_e32 v[10:11], s[0:1], v[16:17]
	v_cndmask_b32_e64 v3, v3, v11, s[18:19]
	v_cndmask_b32_e64 v2, v2, v10, s[18:19]
.LBB5_10:
	s_or_b64 exec, exec, s[20:21]
.LBB5_11:
	s_andn2_saveexec_b64 s[16:17], s[16:17]
	s_cbranch_execz .LBB5_23
; %bb.12:
	s_mov_b32 s0, 0
	s_brev_b32 s1, 9
	v_mov_b32_e32 v1, 0x100
	v_cmp_lt_f64_e32 vcc, s[0:1], v[10:11]
	s_mov_b32 s18, 0
	s_mov_b32 s19, 0x40080000
	v_cndmask_b32_e32 v1, 0, v1, vcc
	v_ldexp_f64 v[2:3], -v[10:11], v1
	v_rsq_f64_e32 v[16:17], v[2:3]
	v_mov_b32_e32 v1, 0xffffff80
	v_cndmask_b32_e32 v1, 0, v1, vcc
	v_mul_f64 v[10:11], v[10:11], -2.0
	v_mul_f64 v[18:19], v[2:3], v[16:17]
	v_mul_f64 v[16:17], v[16:17], 0.5
	v_fma_f64 v[20:21], -v[16:17], v[18:19], 0.5
	v_fmac_f64_e32 v[18:19], v[18:19], v[20:21]
	v_fma_f64 v[22:23], -v[18:19], v[18:19], v[2:3]
	v_fmac_f64_e32 v[16:17], v[16:17], v[20:21]
	v_fmac_f64_e32 v[18:19], v[22:23], v[16:17]
	v_fma_f64 v[20:21], -v[18:19], v[18:19], v[2:3]
	v_fmac_f64_e32 v[18:19], v[20:21], v[16:17]
	v_ldexp_f64 v[16:17], v[18:19], v1
	v_mov_b32_e32 v1, 0x260
	v_cmp_class_f64_e32 vcc, v[2:3], v1
	s_mov_b32 s21, 0x3fe921fb
	s_mov_b32 s20, 0x54442d18
	v_cndmask_b32_e32 v3, v17, v3, vcc
	v_cndmask_b32_e32 v2, v16, v2, vcc
	v_mul_f64 v[10:11], v[10:11], v[2:3]
	v_div_scale_f64 v[16:17], s[0:1], s[18:19], s[18:19], v[10:11]
	v_rcp_f64_e32 v[18:19], v[16:17]
	s_movk_i32 s0, 0xff80
                                        ; implicit-def: $vgpr15
                                        ; implicit-def: $vgpr24_vgpr25
	v_fma_f64 v[20:21], -v[16:17], v[18:19], 1.0
	v_fmac_f64_e32 v[18:19], v[18:19], v[20:21]
	v_fma_f64 v[20:21], -v[16:17], v[18:19], 1.0
	v_fmac_f64_e32 v[18:19], v[18:19], v[20:21]
	v_div_scale_f64 v[20:21], vcc, v[10:11], s[18:19], v[10:11]
	v_mul_f64 v[22:23], v[20:21], v[18:19]
	v_fma_f64 v[16:17], -v[16:17], v[22:23], v[20:21]
	s_nop 1
	v_div_fmas_f64 v[16:17], v[16:17], v[18:19], v[22:23]
	v_div_fixup_f64 v[20:21], v[16:17], s[18:19], v[10:11]
	s_mov_b32 s18, 0
	v_add_f64 v[10:11], v[20:21], s[20:21]
	s_mov_b32 s19, 0x41d00000
	v_cmp_nlt_f64_e64 s[18:19], |v[10:11]|, s[18:19]
	v_trig_preop_f64 v[30:31], |v[10:11]|, 0
	v_trig_preop_f64 v[28:29], |v[10:11]|, 1
	v_trig_preop_f64 v[26:27], |v[10:11]|, 2
                                        ; implicit-def: $vgpr22_vgpr23
	s_and_saveexec_b64 s[22:23], s[18:19]
	s_xor_b64 s[22:23], exec, s[22:23]
	s_cbranch_execz .LBB5_16
; %bb.13:
	s_mov_b32 s24, 0
	s_mov_b32 s25, 0x7b000000
	v_and_b32_e32 v1, 0x7fffffff, v11
	v_ldexp_f64 v[16:17], |v[10:11]|, s0
	v_cmp_ge_f64_e64 vcc, |v[10:11]|, s[24:25]
	s_mov_b32 s0, 0
	s_mov_b32 s1, 0x7ff00000
	v_cndmask_b32_e32 v17, v1, v17, vcc
	v_cndmask_b32_e32 v16, v10, v16, vcc
	v_mul_f64 v[22:23], v[30:31], v[16:17]
	v_mul_f64 v[18:19], v[28:29], v[16:17]
	v_fma_f64 v[24:25], v[30:31], v[16:17], -v[22:23]
	v_add_f64 v[32:33], v[18:19], v[24:25]
	v_add_f64 v[40:41], v[32:33], -v[18:19]
	v_add_f64 v[24:25], v[24:25], -v[40:41]
	;; [unrolled: 1-line block ×4, first 2 shown]
	v_add_f64 v[24:25], v[24:25], v[40:41]
	v_fma_f64 v[18:19], v[28:29], v[16:17], -v[18:19]
	v_mul_f64 v[40:41], v[26:27], v[16:17]
	v_add_f64 v[42:43], v[40:41], v[18:19]
	v_add_f64 v[34:35], v[22:23], v[32:33]
	v_add_f64 v[44:45], v[42:43], v[24:25]
	v_ldexp_f64 v[36:37], v[34:35], -2
	v_add_f64 v[22:23], v[34:35], -v[22:23]
	v_add_f64 v[34:35], v[44:45], -v[42:43]
	;; [unrolled: 1-line block ×5, first 2 shown]
	v_add_f64 v[24:25], v[24:25], v[34:35]
	v_add_f64 v[34:35], v[42:43], -v[40:41]
	v_add_f64 v[18:19], v[18:19], -v[34:35]
	;; [unrolled: 1-line block ×5, first 2 shown]
	v_add_f64 v[18:19], v[18:19], v[34:35]
	v_fract_f64_e32 v[38:39], v[36:37]
	v_add_f64 v[32:33], v[22:23], v[44:45]
	v_add_f64 v[18:19], v[18:19], v[24:25]
	v_fma_f64 v[16:17], v[26:27], v[16:17], -v[40:41]
	v_add_f64 v[22:23], v[32:33], -v[22:23]
	v_add_f64 v[16:17], v[16:17], v[18:19]
	v_ldexp_f64 v[18:19], v[38:39], 2
	v_cmp_neq_f64_e64 vcc, |v[36:37]|, s[0:1]
	v_add_f64 v[22:23], v[44:45], -v[22:23]
	v_add_f64 v[16:17], v[22:23], v[16:17]
	v_cndmask_b32_e32 v19, 0, v19, vcc
	v_cndmask_b32_e32 v18, 0, v18, vcc
	v_add_f64 v[22:23], v[32:33], v[18:19]
	v_mov_b32_e32 v1, 0x40100000
	v_cmp_gt_f64_e32 vcc, 0, v[22:23]
	v_mov_b32_e32 v22, 0
	s_mov_b32 s21, 0x3ff921fb
	v_cndmask_b32_e32 v23, 0, v1, vcc
	v_add_f64 v[18:19], v[18:19], v[22:23]
	v_add_f64 v[24:25], v[32:33], v[18:19]
	v_cvt_i32_f64_e32 v1, v[24:25]
	v_cvt_f64_i32_e32 v[24:25], v1
	v_add_f64 v[18:19], v[18:19], -v[24:25]
	v_add_f64 v[24:25], v[32:33], v[18:19]
	v_cmp_le_f64_e32 vcc, 0.5, v[24:25]
	v_add_f64 v[18:19], v[24:25], -v[18:19]
	v_add_f64 v[18:19], v[32:33], -v[18:19]
	v_addc_co_u32_e64 v15, s[0:1], 0, v1, vcc
	v_mov_b32_e32 v1, 0x3ff00000
	v_cndmask_b32_e32 v23, 0, v1, vcc
	v_add_f64 v[16:17], v[16:17], v[18:19]
	v_add_f64 v[18:19], v[24:25], -v[22:23]
	v_add_f64 v[22:23], v[18:19], v[16:17]
	v_add_f64 v[18:19], v[22:23], -v[18:19]
	v_add_f64 v[16:17], v[16:17], -v[18:19]
	v_mul_f64 v[18:19], v[22:23], s[20:21]
	s_mov_b32 s0, 0x33145c07
	v_fma_f64 v[24:25], v[22:23], s[20:21], -v[18:19]
	s_mov_b32 s1, 0x3c91a626
	v_fmac_f64_e32 v[24:25], s[0:1], v[22:23]
	v_fmac_f64_e32 v[24:25], s[20:21], v[16:17]
	v_add_f64 v[22:23], v[18:19], v[24:25]
	v_add_f64 v[16:17], v[22:23], -v[18:19]
	v_add_f64 v[24:25], v[24:25], -v[16:17]
	s_andn2_saveexec_b64 s[0:1], s[22:23]
	s_cbranch_execz .LBB5_18
	s_branch .LBB5_17
.LBB5_14:
	s_and_b64 vcc, exec, s[8:9]
	s_cbranch_vccz .LBB5_92
; %bb.15:
	s_getpc_b64 s[0:1]
	s_add_u32 s0, s0, _ZN2at6native25elementwise_kernel_helperILb0EZZZNS0_12_GLOBAL__N_119airy_ai_kernel_cudaERNS_18TensorIteratorBaseEENKUlvE_clEvENKUlvE_clEvEUldE_NS0_6memory8policies11unroll_baseILi256ESt5arrayIPcLm2EE23TrivialOffsetCalculatorILi1EjESF_NS8_15LoadWithoutCastENS8_16StoreWithoutCastELi4ELi1EEEEEvT0_T1_@rel32@lo+4
	s_addc_u32 s1, s1, _ZN2at6native25elementwise_kernel_helperILb0EZZZNS0_12_GLOBAL__N_119airy_ai_kernel_cudaERNS_18TensorIteratorBaseEENKUlvE_clEvENKUlvE_clEvEUldE_NS0_6memory8policies11unroll_baseILi256ESt5arrayIPcLm2EE23TrivialOffsetCalculatorILi1EjESF_NS8_15LoadWithoutCastENS8_16StoreWithoutCastELi4ELi1EEEEEvT0_T1_@rel32@hi+12
	s_mov_b32 s12, s2
	v_mov_b32_e32 v31, v0
	v_mov_b32_e32 v0, s4
	;; [unrolled: 1-line block ×6, first 2 shown]
	s_swappc_b64 s[30:31], s[0:1]
	s_endpgm
.LBB5_16:
	s_andn2_saveexec_b64 s[0:1], s[22:23]
	s_cbranch_execz .LBB5_18
.LBB5_17:
	s_mov_b32 s20, 0x6dc9c883
	s_mov_b32 s21, 0x3fe45f30
	v_mul_f64 v[16:17], |v[10:11]|, s[20:21]
	s_mov_b32 s20, 0x54442d18
	v_rndne_f64_e32 v[16:17], v[16:17]
	s_mov_b32 s21, 0xbff921fb
	v_fma_f64 v[18:19], v[16:17], s[20:21], |v[10:11]|
	s_mov_b32 s21, 0xbc91a626
	s_mov_b32 s20, 0x33145c00
	v_mul_f64 v[22:23], v[16:17], s[20:21]
	v_add_f64 v[34:35], v[18:19], v[22:23]
	v_fma_f64 v[24:25], s[20:21], v[16:17], v[18:19]
	s_mov_b32 s21, 0x3c91a626
	v_add_f64 v[18:19], v[18:19], -v[34:35]
	v_fma_f64 v[32:33], s[20:21], v[16:17], v[22:23]
	v_add_f64 v[18:19], v[18:19], v[22:23]
	v_add_f64 v[22:23], v[34:35], -v[24:25]
	v_add_f64 v[18:19], v[22:23], v[18:19]
	s_mov_b32 s20, 0x252049c0
	v_add_f64 v[18:19], v[18:19], -v[32:33]
	s_mov_b32 s21, 0xb97b839a
	v_fmac_f64_e32 v[18:19], s[20:21], v[16:17]
	v_add_f64 v[22:23], v[24:25], v[18:19]
	v_add_f64 v[24:25], v[22:23], -v[24:25]
	v_add_f64 v[24:25], v[18:19], -v[24:25]
	v_cvt_i32_f64_e32 v15, v[16:17]
.LBB5_18:
	s_or_b64 exec, exec, s[0:1]
                                        ; implicit-def: $vgpr1
                                        ; implicit-def: $vgpr16_vgpr17
                                        ; implicit-def: $vgpr18_vgpr19
	s_and_saveexec_b64 s[0:1], s[18:19]
	s_xor_b64 s[18:19], exec, s[0:1]
	s_cbranch_execz .LBB5_20
; %bb.19:
	s_mov_b32 s0, 0
	s_mov_b32 s1, 0x7b000000
	s_movk_i32 s20, 0xff80
	v_and_b32_e32 v1, 0x7fffffff, v11
	v_ldexp_f64 v[16:17], |v[10:11]|, s20
	v_cmp_ge_f64_e64 vcc, |v[10:11]|, s[0:1]
	s_mov_b32 s0, 0
	s_mov_b32 s1, 0x7ff00000
	v_cndmask_b32_e32 v17, v1, v17, vcc
	v_cndmask_b32_e32 v16, v10, v16, vcc
	v_mul_f64 v[32:33], v[30:31], v[16:17]
	v_mul_f64 v[18:19], v[28:29], v[16:17]
	v_fma_f64 v[30:31], v[30:31], v[16:17], -v[32:33]
	v_add_f64 v[34:35], v[18:19], v[30:31]
	v_add_f64 v[42:43], v[34:35], -v[18:19]
	v_add_f64 v[30:31], v[30:31], -v[42:43]
	;; [unrolled: 1-line block ×4, first 2 shown]
	v_fma_f64 v[18:19], v[28:29], v[16:17], -v[18:19]
	v_mul_f64 v[28:29], v[26:27], v[16:17]
	v_add_f64 v[30:31], v[30:31], v[42:43]
	v_add_f64 v[42:43], v[28:29], v[18:19]
	;; [unrolled: 1-line block ×4, first 2 shown]
	v_ldexp_f64 v[38:39], v[36:37], -2
	v_add_f64 v[32:33], v[36:37], -v[32:33]
	v_add_f64 v[36:37], v[44:45], -v[42:43]
	v_add_f64 v[30:31], v[30:31], -v[36:37]
	v_add_f64 v[36:37], v[44:45], -v[36:37]
	v_add_f64 v[36:37], v[42:43], -v[36:37]
	v_add_f64 v[30:31], v[30:31], v[36:37]
	v_add_f64 v[36:37], v[42:43], -v[28:29]
	v_add_f64 v[18:19], v[18:19], -v[36:37]
	;; [unrolled: 1-line block ×4, first 2 shown]
	v_add_f64 v[18:19], v[18:19], v[36:37]
	v_fract_f64_e32 v[40:41], v[38:39]
	v_add_f64 v[18:19], v[18:19], v[30:31]
	v_fma_f64 v[16:17], v[26:27], v[16:17], -v[28:29]
	v_add_f64 v[32:33], v[34:35], -v[32:33]
	v_add_f64 v[16:17], v[16:17], v[18:19]
	v_ldexp_f64 v[18:19], v[40:41], 2
	v_cmp_neq_f64_e64 vcc, |v[38:39]|, s[0:1]
	v_add_f64 v[34:35], v[32:33], v[44:45]
	v_mov_b32_e32 v1, 0x40100000
	v_cndmask_b32_e32 v19, 0, v19, vcc
	v_cndmask_b32_e32 v18, 0, v18, vcc
	v_add_f64 v[26:27], v[34:35], v[18:19]
	v_cmp_gt_f64_e32 vcc, 0, v[26:27]
	v_mov_b32_e32 v26, 0
	v_add_f64 v[32:33], v[34:35], -v[32:33]
	v_cndmask_b32_e32 v27, 0, v1, vcc
	v_add_f64 v[18:19], v[18:19], v[26:27]
	v_add_f64 v[28:29], v[34:35], v[18:19]
	v_cvt_i32_f64_e32 v1, v[28:29]
	v_cvt_f64_i32_e32 v[28:29], v1
	v_add_f64 v[18:19], v[18:19], -v[28:29]
	v_add_f64 v[28:29], v[34:35], v[18:19]
	v_add_f64 v[32:33], v[44:45], -v[32:33]
	v_add_f64 v[18:19], v[28:29], -v[18:19]
	v_add_f64 v[16:17], v[32:33], v[16:17]
	v_add_f64 v[18:19], v[34:35], -v[18:19]
	v_add_f64 v[16:17], v[16:17], v[18:19]
	v_cmp_le_f64_e32 vcc, 0.5, v[28:29]
	v_mov_b32_e32 v18, 0x3ff00000
	s_mov_b32 s20, 0x33145c07
	v_cndmask_b32_e32 v27, 0, v18, vcc
	v_addc_co_u32_e64 v1, s[0:1], 0, v1, vcc
	v_add_f64 v[18:19], v[28:29], -v[26:27]
	v_add_f64 v[26:27], v[18:19], v[16:17]
	s_mov_b32 s0, 0x54442d18
	v_add_f64 v[18:19], v[26:27], -v[18:19]
	s_mov_b32 s1, 0x3ff921fb
	v_add_f64 v[16:17], v[16:17], -v[18:19]
	v_mul_f64 v[18:19], v[26:27], s[0:1]
	v_fma_f64 v[28:29], v[26:27], s[0:1], -v[18:19]
	s_mov_b32 s21, 0x3c91a626
	v_fmac_f64_e32 v[28:29], s[20:21], v[26:27]
	v_fmac_f64_e32 v[28:29], s[0:1], v[16:17]
	v_add_f64 v[16:17], v[18:19], v[28:29]
	v_add_f64 v[18:19], v[16:17], -v[18:19]
	v_add_f64 v[18:19], v[28:29], -v[18:19]
	s_andn2_saveexec_b64 s[0:1], s[18:19]
	s_cbranch_execnz .LBB5_21
	s_branch .LBB5_22
.LBB5_20:
	s_andn2_saveexec_b64 s[0:1], s[18:19]
	s_cbranch_execz .LBB5_22
.LBB5_21:
	s_mov_b32 s18, 0x6dc9c883
	s_mov_b32 s19, 0x3fe45f30
	v_mul_f64 v[16:17], |v[10:11]|, s[18:19]
	s_mov_b32 s18, 0x54442d18
	v_rndne_f64_e32 v[26:27], v[16:17]
	s_mov_b32 s19, 0xbff921fb
	v_fma_f64 v[16:17], v[26:27], s[18:19], |v[10:11]|
	s_mov_b32 s19, 0xbc91a626
	s_mov_b32 s18, 0x33145c00
	v_mul_f64 v[28:29], v[26:27], s[18:19]
	v_add_f64 v[32:33], v[16:17], v[28:29]
	v_fma_f64 v[18:19], s[18:19], v[26:27], v[16:17]
	s_mov_b32 s19, 0x3c91a626
	v_add_f64 v[16:17], v[16:17], -v[32:33]
	v_fma_f64 v[30:31], s[18:19], v[26:27], v[28:29]
	v_add_f64 v[16:17], v[16:17], v[28:29]
	v_add_f64 v[28:29], v[32:33], -v[18:19]
	v_add_f64 v[16:17], v[28:29], v[16:17]
	s_mov_b32 s18, 0x252049c0
	v_add_f64 v[28:29], v[16:17], -v[30:31]
	s_mov_b32 s19, 0xb97b839a
	v_fmac_f64_e32 v[28:29], s[18:19], v[26:27]
	v_add_f64 v[16:17], v[18:19], v[28:29]
	v_add_f64 v[18:19], v[16:17], -v[18:19]
	v_add_f64 v[18:19], v[28:29], -v[18:19]
	v_cvt_i32_f64_e32 v1, v[26:27]
.LBB5_22:
	s_or_b64 exec, exec, s[0:1]
	v_div_scale_f64 v[26:27], s[0:1], v[20:21], v[20:21], 1.0
	v_rcp_f64_e32 v[28:29], v[26:27]
	v_div_scale_f64 v[30:31], vcc, 1.0, v[20:21], 1.0
	v_mov_b32_e32 v34, 0xb99518a7
	v_fma_f64 v[32:33], -v[26:27], v[28:29], 1.0
	v_fmac_f64_e32 v[28:29], v[28:29], v[32:33]
	v_fma_f64 v[32:33], -v[26:27], v[28:29], 1.0
	v_fmac_f64_e32 v[28:29], v[28:29], v[32:33]
	v_mul_f64 v[32:33], v[30:31], v[28:29]
	v_fma_f64 v[26:27], -v[26:27], v[32:33], v[30:31]
	v_div_fmas_f64 v[26:27], v[26:27], v[28:29], v[32:33]
	v_div_fixup_f64 v[20:21], v[26:27], v[20:21], 1.0
	v_mul_f64 v[26:27], v[20:21], v[20:21]
	v_mov_b32_e32 v28, 0xd50ae6fb
	v_mov_b32_e32 v29, 0xbfc0db6c
	v_fmac_f64_e32 v[28:29], 0, v[26:27]
	v_mov_b32_e32 v30, 0x98566852
	v_mov_b32_e32 v31, 0xbfe40bee
	v_fmac_f64_e32 v[30:31], v[26:27], v[28:29]
	;; [unrolled: 3-line block ×16, first 2 shown]
	v_mov_b32_e32 v35, 0x3e9e52b9
	v_mul_f64 v[36:37], v[22:23], v[22:23]
	v_fmac_f64_e32 v[34:35], v[26:27], v[32:33]
	v_mov_b32_e32 v32, 0xf68ea2d2
	v_mov_b32_e32 v33, 0xbe52041c
	v_mul_f64 v[28:29], v[36:37], 0.5
	v_fmac_f64_e32 v[32:33], v[26:27], v[30:31]
	v_add_f64 v[30:31], -v[28:29], 1.0
	s_mov_b32 s0, 0x9037ab78
	v_add_f64 v[38:39], -v[30:31], 1.0
	s_mov_b32 s1, 0x3e21eeb6
	s_mov_b32 s18, 0x46cc5e42
	v_add_f64 v[38:39], v[38:39], -v[28:29]
	s_mov_b32 s19, 0xbda907db
	v_mov_b64_e32 v[28:29], s[0:1]
	s_mov_b32 s20, 0xa17f65f6
	v_fma_f64 v[42:43], s[18:19], v[36:37], v[28:29]
	s_mov_b32 s21, 0xbe927e4f
	s_mov_b32 s22, 0x19f4ec90
	v_fma_f64 v[42:43], v[36:37], v[42:43], s[20:21]
	s_mov_b32 s23, 0x3efa01a0
	;; [unrolled: 3-line block ×4, first 2 shown]
	v_mul_f64 v[40:41], v[36:37], v[36:37]
	v_fma_f64 v[42:43], v[36:37], v[42:43], s[26:27]
	v_fma_f64 v[38:39], v[22:23], -v[24:25], v[38:39]
	s_mov_b32 s0, 0xb42fdfa7
	v_fmac_f64_e32 v[38:39], v[40:41], v[42:43]
	s_mov_b32 s1, 0xbe5ae600
	s_mov_b32 s28, 0xf9a43bb8
	v_add_f64 v[38:39], v[30:31], v[38:39]
	s_mov_b32 s29, 0x3de5e0b2
	v_mov_b64_e32 v[30:31], s[0:1]
	s_mov_b32 s30, 0x796cde01
	v_fma_f64 v[40:41], s[28:29], v[36:37], v[30:31]
	s_mov_b32 s31, 0x3ec71de3
	s_mov_b32 s34, 0x19e83e5c
	v_fma_f64 v[40:41], v[36:37], v[40:41], s[30:31]
	s_mov_b32 s35, 0xbf2a01a0
	;; [unrolled: 3-line block ×3, first 2 shown]
	v_fma_f64 v[40:41], v[36:37], v[40:41], s[36:37]
	v_mul_f64 v[42:43], v[22:23], -v[36:37]
	v_mul_f64 v[44:45], v[24:25], 0.5
	v_fmac_f64_e32 v[44:45], v[42:43], v[40:41]
	v_fma_f64 v[24:25], v[36:37], v[44:45], -v[24:25]
	s_mov_b32 s39, 0xbfc55555
	s_mov_b32 s38, s26
	v_fmac_f64_e32 v[24:25], s[38:39], v[42:43]
	v_add_f64 v[22:23], v[22:23], -v[24:25]
	v_and_b32_e32 v24, 1, v15
	v_cmp_eq_u32_e32 vcc, 0, v24
	v_lshlrev_b32_e32 v15, 30, v15
	v_xor_b32_e32 v15, v15, v11
	v_cndmask_b32_e32 v36, v38, v22, vcc
	v_cndmask_b32_e32 v22, v39, v23, vcc
	s_brev_b32 s33, 1
	v_bitop3_b32 v15, v22, v15, s33 bitop3:0x78
	v_mul_f64 v[22:23], v[26:27], v[32:33]
	v_div_scale_f64 v[24:25], s[0:1], v[34:35], v[34:35], v[22:23]
	v_rcp_f64_e32 v[32:33], v[24:25]
	s_movk_i32 s40, 0x1f8
	v_cmp_class_f64_e64 s[0:1], v[10:11], s40
	s_mov_b32 s40, 0
	v_mov_b32_e32 v42, 0x7ff80000
	v_cndmask_b32_e64 v10, 0, v36, s[0:1]
	v_fma_f64 v[36:37], -v[24:25], v[32:33], 1.0
	v_fmac_f64_e32 v[32:33], v[32:33], v[36:37]
	v_fma_f64 v[36:37], -v[24:25], v[32:33], 1.0
	v_fmac_f64_e32 v[32:33], v[32:33], v[36:37]
	v_div_scale_f64 v[36:37], vcc, v[22:23], v[34:35], v[22:23]
	v_mul_f64 v[38:39], v[36:37], v[32:33]
	v_fma_f64 v[24:25], -v[24:25], v[38:39], v[36:37]
	s_brev_b32 s41, 8
	s_nop 0
	v_div_fmas_f64 v[24:25], v[24:25], v[32:33], v[38:39]
	v_div_fixup_f64 v[22:23], v[24:25], v[34:35], v[22:23]
	v_mov_b32_e32 v24, 0xddcfbbde
	v_mov_b32_e32 v25, 0x3f943525
	v_fmac_f64_e32 v[24:25], 0, v[26:27]
	v_mov_b32_e32 v32, 0x6437b7
	v_mov_b32_e32 v33, 0x3fd907d5
	v_fmac_f64_e32 v[32:33], v[26:27], v[24:25]
	;; [unrolled: 3-line block ×15, first 2 shown]
	v_mov_b32_e32 v32, 0xc195ece3
	v_mov_b32_e32 v33, 0x3fee8992
	v_cndmask_b32_e64 v11, v42, v15, s[0:1]
	v_fmac_f64_e32 v[32:33], v[26:27], v[34:35]
	v_mov_b32_e32 v34, 0xed64a9ee
	v_mov_b32_e32 v35, 0x3fb6221d
	;; [unrolled: 1-line block ×3, first 2 shown]
	v_cmp_gt_f64_e32 vcc, s[40:41], v[2:3]
	v_fmac_f64_e32 v[34:35], v[26:27], v[32:33]
	v_mov_b32_e32 v32, 0x6be393bb
	v_mov_b32_e32 v33, 0x3f70e704
	v_cndmask_b32_e32 v15, 0, v15, vcc
	v_fmac_f64_e32 v[32:33], v[26:27], v[34:35]
	v_mov_b32_e32 v34, 0xd603a5a0
	v_mov_b32_e32 v35, 0x3f1a8b61
	v_ldexp_f64 v[2:3], v[2:3], v15
	v_fmac_f64_e32 v[34:35], v[26:27], v[32:33]
	v_rsq_f64_e32 v[32:33], v[2:3]
	v_mov_b32_e32 v36, 0xdb0724e8
	v_mov_b32_e32 v37, 0x3eb3a845
	v_fmac_f64_e32 v[36:37], v[26:27], v[34:35]
	v_mul_f64 v[34:35], v[2:3], v[32:33]
	v_mul_f64 v[32:33], v[32:33], 0.5
	v_fma_f64 v[38:39], -v[32:33], v[34:35], 0.5
	v_fmac_f64_e32 v[34:35], v[34:35], v[38:39]
	v_fma_f64 v[40:41], -v[34:35], v[34:35], v[2:3]
	v_fmac_f64_e32 v[32:33], v[32:33], v[38:39]
	v_fmac_f64_e32 v[34:35], v[40:41], v[32:33]
	v_fma_f64 v[38:39], -v[34:35], v[34:35], v[2:3]
	v_mov_b32_e32 v15, 0xffffff80
	v_fmac_f64_e32 v[34:35], v[38:39], v[32:33]
	v_cndmask_b32_e32 v15, 0, v15, vcc
	v_ldexp_f64 v[32:33], v[34:35], v15
	v_mov_b32_e32 v15, 0x260
	v_cmp_class_f64_e32 vcc, v[2:3], v15
	s_mov_b32 s40, 0x50429b6d
	s_mov_b32 s41, 0x3fe20dd7
	v_cndmask_b32_e32 v3, v33, v3, vcc
	v_cndmask_b32_e32 v2, v32, v2, vcc
	v_div_scale_f64 v[32:33], s[42:43], v[2:3], v[2:3], s[40:41]
	v_rcp_f64_e32 v[34:35], v[32:33]
	v_mov_b32_e32 v38, 0x3dd589d4
	v_mov_b32_e32 v39, 0x3e351fc7
	v_fmac_f64_e32 v[38:39], v[26:27], v[36:37]
	v_fma_f64 v[26:27], -v[32:33], v[34:35], 1.0
	v_fmac_f64_e32 v[34:35], v[34:35], v[26:27]
	v_fma_f64 v[26:27], -v[32:33], v[34:35], 1.0
	v_fmac_f64_e32 v[34:35], v[34:35], v[26:27]
	v_div_scale_f64 v[26:27], vcc, s[40:41], v[2:3], s[40:41]
	v_mul_f64 v[36:37], v[26:27], v[34:35]
	v_fma_f64 v[26:27], -v[32:33], v[36:37], v[26:27]
	v_add_f64 v[22:23], v[22:23], 1.0
	s_nop 0
	v_div_fmas_f64 v[26:27], v[26:27], v[34:35], v[36:37]
	v_div_fixup_f64 v[2:3], v[26:27], v[2:3], s[40:41]
	v_mul_f64 v[26:27], v[16:17], v[16:17]
	v_mul_f64 v[32:33], v[26:27], 0.5
	v_fmac_f64_e32 v[28:29], s[18:19], v[26:27]
	v_add_f64 v[34:35], -v[32:33], 1.0
	v_fma_f64 v[28:29], v[26:27], v[28:29], s[20:21]
	v_add_f64 v[36:37], -v[34:35], 1.0
	v_fma_f64 v[28:29], v[26:27], v[28:29], s[22:23]
	v_add_f64 v[32:33], v[36:37], -v[32:33]
	v_fma_f64 v[28:29], v[26:27], v[28:29], s[24:25]
	v_fmac_f64_e32 v[30:31], s[28:29], v[26:27]
	v_mul_f64 v[36:37], v[26:27], v[26:27]
	v_fma_f64 v[28:29], v[26:27], v[28:29], s[26:27]
	v_fma_f64 v[32:33], v[16:17], -v[18:19], v[32:33]
	v_fma_f64 v[30:31], v[26:27], v[30:31], s[30:31]
	v_fmac_f64_e32 v[32:33], v[36:37], v[28:29]
	v_fma_f64 v[30:31], v[26:27], v[30:31], s[34:35]
	v_add_f64 v[28:29], v[34:35], v[32:33]
	v_fma_f64 v[30:31], v[26:27], v[30:31], s[36:37]
	v_mul_f64 v[32:33], v[16:17], -v[26:27]
	v_mul_f64 v[34:35], v[18:19], 0.5
	v_fmac_f64_e32 v[34:35], v[32:33], v[30:31]
	v_fma_f64 v[18:19], v[26:27], v[34:35], -v[18:19]
	v_fmac_f64_e32 v[18:19], s[38:39], v[32:33]
	v_add_f64 v[16:17], v[16:17], -v[18:19]
	v_xor_b32_e32 v15, 0x80000000, v17
	v_and_b32_e32 v17, 1, v1
	v_cmp_eq_u32_e32 vcc, 0, v17
	v_lshlrev_b32_e32 v1, 30, v1
	s_nop 0
	v_cndmask_b32_e32 v26, v16, v28, vcc
	v_mul_f64 v[16:17], v[20:21], v[24:25]
	v_div_scale_f64 v[18:19], s[18:19], v[38:39], v[38:39], v[16:17]
	v_rcp_f64_e32 v[20:21], v[18:19]
	v_cndmask_b32_e64 v24, 0, v26, s[0:1]
	v_cndmask_b32_e32 v15, v15, v29, vcc
	v_bitop3_b32 v1, v15, v1, s33 bitop3:0x78
	v_fma_f64 v[26:27], -v[18:19], v[20:21], 1.0
	v_fmac_f64_e32 v[20:21], v[20:21], v[26:27]
	v_fma_f64 v[26:27], -v[18:19], v[20:21], 1.0
	v_fmac_f64_e32 v[20:21], v[20:21], v[26:27]
	v_div_scale_f64 v[26:27], vcc, v[16:17], v[38:39], v[16:17]
	v_mul_f64 v[28:29], v[26:27], v[20:21]
	v_fma_f64 v[18:19], -v[18:19], v[28:29], v[26:27]
	v_cndmask_b32_e64 v25, v42, v1, s[0:1]
	s_nop 0
	v_div_fmas_f64 v[18:19], v[18:19], v[20:21], v[28:29]
	v_div_fixup_f64 v[16:17], v[18:19], v[38:39], v[16:17]
	v_mul_f64 v[16:17], v[16:17], v[24:25]
	v_fma_f64 v[10:11], v[22:23], v[10:11], -v[16:17]
	v_mul_f64 v[2:3], v[2:3], v[10:11]
.LBB5_23:
	s_or_b64 exec, exec, s[16:17]
.LBB5_24:
	s_or_b64 exec, exec, s[14:15]
.LBB5_25:
	s_or_b64 exec, exec, s[12:13]
	v_cmp_neq_f64_e64 s[0:1], |v[12:13]|, s[10:11]
	s_and_saveexec_b64 s[10:11], s[0:1]
	s_cbranch_execz .LBB5_47
; %bb.26:
	s_mov_b32 s0, 0x872b020c
	s_mov_b32 s1, 0x4059f916
	v_cmp_nlt_f64_e32 vcc, s[0:1], v[12:13]
	v_mov_b64_e32 v[4:5], 0
	s_and_saveexec_b64 s[12:13], vcc
	s_cbranch_execz .LBB5_46
; %bb.27:
	s_mov_b32 s1, 0xc000b851
	s_mov_b32 s0, 0xeb851eb8
	v_cmp_ngt_f64_e32 vcc, s[0:1], v[12:13]
	s_and_saveexec_b64 s[14:15], vcc
	s_xor_b64 s[14:15], exec, s[14:15]
	s_cbranch_execz .LBB5_35
; %bb.28:
	s_mov_b32 s1, 0x4000b851
	v_cmp_nle_f64_e64 s[16:17], s[0:1], v[12:13]
	v_cmp_le_f64_e32 vcc, s[0:1], v[12:13]
	v_mov_b64_e32 v[4:5], 0
	s_mov_b64 s[0:1], s[16:17]
	s_and_saveexec_b64 s[18:19], vcc
	s_cbranch_execz .LBB5_30
; %bb.29:
	s_mov_b32 s0, 0
	s_brev_b32 s1, 8
	v_mov_b32_e32 v1, 0x100
	v_cmp_gt_f64_e32 vcc, s[0:1], v[12:13]
	v_mov_b32_e32 v15, 0xffffff80
	v_mov_b32_e32 v28, 0x260
	v_cndmask_b32_e32 v4, 0, v1, vcc
	v_ldexp_f64 v[4:5], v[12:13], v4
	v_rsq_f64_e32 v[10:11], v[4:5]
	v_add_f64 v[16:17], v[12:13], v[12:13]
	s_mov_b32 s20, 0
	s_mov_b32 s21, 0x40080000
	v_mul_f64 v[18:19], v[4:5], v[10:11]
	v_mul_f64 v[10:11], v[10:11], 0.5
	v_fma_f64 v[20:21], -v[10:11], v[18:19], 0.5
	v_fmac_f64_e32 v[18:19], v[18:19], v[20:21]
	v_fma_f64 v[22:23], -v[18:19], v[18:19], v[4:5]
	v_fmac_f64_e32 v[10:11], v[10:11], v[20:21]
	v_fmac_f64_e32 v[18:19], v[22:23], v[10:11]
	v_fma_f64 v[20:21], -v[18:19], v[18:19], v[4:5]
	v_fmac_f64_e32 v[18:19], v[20:21], v[10:11]
	v_cndmask_b32_e32 v10, 0, v15, vcc
	v_ldexp_f64 v[10:11], v[18:19], v10
	v_cmp_class_f64_e32 vcc, v[4:5], v28
	s_nop 1
	v_cndmask_b32_e32 v5, v11, v5, vcc
	v_cndmask_b32_e32 v4, v10, v4, vcc
	v_mul_f64 v[10:11], v[16:17], v[4:5]
	v_div_scale_f64 v[16:17], s[22:23], s[20:21], s[20:21], v[10:11]
	v_rcp_f64_e32 v[18:19], v[16:17]
	s_nop 0
	v_fma_f64 v[20:21], -v[16:17], v[18:19], 1.0
	v_fmac_f64_e32 v[18:19], v[18:19], v[20:21]
	v_fma_f64 v[20:21], -v[16:17], v[18:19], 1.0
	v_fmac_f64_e32 v[18:19], v[18:19], v[20:21]
	v_div_scale_f64 v[20:21], vcc, v[10:11], s[20:21], v[10:11]
	v_mul_f64 v[22:23], v[20:21], v[18:19]
	v_fma_f64 v[16:17], -v[16:17], v[22:23], v[20:21]
	s_nop 1
	v_div_fmas_f64 v[16:17], v[16:17], v[18:19], v[22:23]
	v_div_fixup_f64 v[10:11], v[16:17], s[20:21], v[10:11]
	v_div_scale_f64 v[16:17], s[20:21], v[10:11], v[10:11], 1.0
	v_rcp_f64_e32 v[18:19], v[16:17]
	s_nop 0
	v_fma_f64 v[20:21], -v[16:17], v[18:19], 1.0
	v_fmac_f64_e32 v[18:19], v[18:19], v[20:21]
	v_fma_f64 v[20:21], -v[16:17], v[18:19], 1.0
	v_fmac_f64_e32 v[18:19], v[18:19], v[20:21]
	v_div_scale_f64 v[20:21], vcc, 1.0, v[10:11], 1.0
	v_mul_f64 v[22:23], v[20:21], v[18:19]
	v_fma_f64 v[16:17], -v[16:17], v[22:23], v[20:21]
	v_mov_b32_e32 v20, 0x871a9067
	s_nop 0
	v_div_fmas_f64 v[16:17], v[16:17], v[18:19], v[22:23]
	v_div_fixup_f64 v[16:17], v[16:17], v[10:11], 1.0
	v_mov_b32_e32 v18, 0x2537b658
	v_mov_b32_e32 v19, 0x3fd62dae
	v_fmac_f64_e32 v[18:19], 0, v[16:17]
	v_mov_b32_e32 v21, 0x402803e3
	v_fmac_f64_e32 v[20:21], v[16:17], v[18:19]
	v_mov_b32_e32 v18, 0xde2e1e3
	v_mov_b32_e32 v19, 0x405311e5
	v_fmac_f64_e32 v[18:19], v[16:17], v[20:21]
	v_mov_b32_e32 v20, 0xee40073c
	;; [unrolled: 3-line block ×12, first 2 shown]
	v_mov_b32_e32 v21, 0x402c311b
	v_fmac_f64_e32 v[20:21], v[16:17], v[22:23]
	v_fma_f64 v[20:21], v[16:17], v[20:21], 1.0
	v_fma_f64 v[16:17], v[16:17], v[18:19], 1.0
	v_div_scale_f64 v[18:19], s[20:21], v[20:21], v[20:21], v[16:17]
	v_rcp_f64_e32 v[22:23], v[18:19]
	s_nop 0
	v_fma_f64 v[24:25], -v[18:19], v[22:23], 1.0
	v_fmac_f64_e32 v[22:23], v[22:23], v[24:25]
	v_fma_f64 v[24:25], -v[18:19], v[22:23], 1.0
	v_fmac_f64_e32 v[22:23], v[22:23], v[24:25]
	v_div_scale_f64 v[24:25], vcc, v[16:17], v[20:21], v[16:17]
	v_mul_f64 v[26:27], v[24:25], v[22:23]
	v_fma_f64 v[18:19], -v[18:19], v[26:27], v[24:25]
	s_nop 1
	v_div_fmas_f64 v[18:19], v[18:19], v[22:23], v[26:27]
	v_cmp_gt_f64_e32 vcc, s[0:1], v[4:5]
	v_div_fixup_f64 v[16:17], v[18:19], v[20:21], v[16:17]
	s_mov_b32 s0, 0x50429b6d
	v_cndmask_b32_e32 v1, 0, v1, vcc
	v_ldexp_f64 v[4:5], v[4:5], v1
	v_rsq_f64_e32 v[18:19], v[4:5]
	s_mov_b32 s1, 0x3fe20dd7
	v_mul_f64 v[16:17], v[16:17], s[0:1]
	v_cndmask_b32_e32 v1, 0, v15, vcc
	v_mul_f64 v[20:21], v[4:5], v[18:19]
	v_mul_f64 v[18:19], v[18:19], 0.5
	v_fma_f64 v[22:23], -v[18:19], v[20:21], 0.5
	v_fmac_f64_e32 v[20:21], v[20:21], v[22:23]
	v_fma_f64 v[24:25], -v[20:21], v[20:21], v[4:5]
	v_fmac_f64_e32 v[18:19], v[18:19], v[22:23]
	v_fmac_f64_e32 v[20:21], v[24:25], v[18:19]
	v_fma_f64 v[22:23], -v[20:21], v[20:21], v[4:5]
	v_fmac_f64_e32 v[20:21], v[22:23], v[18:19]
	s_mov_b32 s0, 0x652b82fe
	v_ldexp_f64 v[18:19], v[20:21], v1
	v_cmp_class_f64_e32 vcc, v[4:5], v28
	s_mov_b32 s1, 0x3ff71547
	v_mov_b32_e32 v22, 0xfca7ab0c
	v_cndmask_b32_e32 v5, v19, v5, vcc
	v_cndmask_b32_e32 v4, v18, v4, vcc
	v_mul_f64 v[18:19], v[10:11], s[0:1]
	s_mov_b32 s0, 0xfefa39ef
	v_rndne_f64_e32 v[18:19], v[18:19]
	s_mov_b32 s1, 0xbfe62e42
	v_fma_f64 v[20:21], s[0:1], v[18:19], v[10:11]
	s_mov_b32 s0, 0x3b39803f
	s_mov_b32 s1, 0xbc7abc9e
	v_fmac_f64_e32 v[20:21], s[0:1], v[18:19]
	s_mov_b32 s0, 0x6a5dcb37
	v_mov_b32_e32 v23, 0x3e928af3
	s_mov_b32 s1, 0x3e5ade15
	v_fmac_f64_e32 v[22:23], s[0:1], v[20:21]
	v_mov_b32_e32 v24, 0x623fde64
	v_mov_b32_e32 v25, 0x3ec71dee
	v_fmac_f64_e32 v[24:25], v[20:21], v[22:23]
	v_mov_b32_e32 v22, 0x7c89e6b0
	v_mov_b32_e32 v23, 0x3efa0199
	;; [unrolled: 3-line block ×8, first 2 shown]
	s_mov_b32 s0, 0
	v_fmac_f64_e32 v[22:23], v[20:21], v[24:25]
	s_mov_b32 s1, 0x40900000
	v_fma_f64 v[22:23], v[20:21], v[22:23], 1.0
	v_cmp_nlt_f64_e32 vcc, s[0:1], v[10:11]
	s_mov_b32 s0, 0
	v_fma_f64 v[20:21], v[20:21], v[22:23], 1.0
	v_cvt_i32_f64_e32 v1, v[18:19]
	s_mov_b32 s1, 0xc090cc00
	v_ldexp_f64 v[18:19], v[20:21], v1
	v_mov_b32_e32 v1, 0x7ff00000
	v_cmp_ngt_f64_e64 s[0:1], s[0:1], v[10:11]
	v_cndmask_b32_e32 v1, v1, v19, vcc
	s_and_b64 vcc, s[0:1], vcc
	v_add_f64 v[4:5], v[4:5], v[4:5]
	v_cndmask_b32_e64 v11, 0, v1, s[0:1]
	v_cndmask_b32_e32 v10, 0, v18, vcc
	v_mul_f64 v[4:5], v[4:5], v[10:11]
	v_div_scale_f64 v[10:11], s[0:1], v[4:5], v[4:5], v[16:17]
	v_rcp_f64_e32 v[18:19], v[10:11]
	s_mov_b32 s0, 0xfd0a823a
	s_mov_b32 s1, 0x4020a402
	v_fma_f64 v[20:21], -v[10:11], v[18:19], 1.0
	v_fmac_f64_e32 v[18:19], v[18:19], v[20:21]
	v_fma_f64 v[20:21], -v[10:11], v[18:19], 1.0
	v_fmac_f64_e32 v[18:19], v[18:19], v[20:21]
	v_div_scale_f64 v[20:21], vcc, v[16:17], v[4:5], v[16:17]
	v_mul_f64 v[22:23], v[20:21], v[18:19]
	v_fma_f64 v[10:11], -v[10:11], v[22:23], v[20:21]
	s_nop 1
	v_div_fmas_f64 v[10:11], v[10:11], v[18:19], v[22:23]
	v_cmp_nlt_f64_e32 vcc, s[0:1], v[12:13]
	s_andn2_b64 s[0:1], s[16:17], exec
	s_and_b64 s[20:21], vcc, exec
	v_div_fixup_f64 v[4:5], v[10:11], v[4:5], v[16:17]
	s_or_b64 s[0:1], s[0:1], s[20:21]
.LBB5_30:
	s_or_b64 exec, exec, s[18:19]
	s_and_saveexec_b64 s[18:19], s[0:1]
	s_cbranch_execz .LBB5_34
; %bb.31:
	v_mul_f64 v[10:11], v[12:13], v[12:13]
	s_mov_b32 s22, 0
	v_mul_f64 v[16:17], v[12:13], v[10:11]
	v_mov_b64_e32 v[22:23], 1.0
	s_mov_b64 s[20:21], 0
	v_mov_b64_e32 v[20:21], 1.0
	s_mov_b32 s23, 0x3cb00000
	v_mov_b64_e32 v[18:19], v[12:13]
	v_mov_b64_e32 v[10:11], 1.0
.LBB5_32:                               ; =>This Inner Loop Header: Depth=1
	v_mul_f64 v[22:23], v[16:17], v[22:23]
	v_add_f64 v[24:25], v[20:21], 1.0
	v_mul_f64 v[12:13], v[16:17], v[12:13]
	v_div_scale_f64 v[26:27], s[0:1], v[24:25], v[24:25], v[22:23]
	v_add_f64 v[30:31], v[24:25], 1.0
	v_rcp_f64_e32 v[32:33], v[26:27]
	v_div_scale_f64 v[34:35], s[0:1], v[30:31], v[30:31], v[12:13]
	v_rcp_f64_e32 v[38:39], v[34:35]
	v_fma_f64 v[40:41], -v[26:27], v[32:33], 1.0
	v_fmac_f64_e32 v[32:33], v[32:33], v[40:41]
	v_fma_f64 v[42:43], -v[26:27], v[32:33], 1.0
	v_fma_f64 v[40:41], -v[34:35], v[38:39], 1.0
	v_fmac_f64_e32 v[38:39], v[38:39], v[40:41]
	v_div_scale_f64 v[28:29], vcc, v[22:23], v[24:25], v[22:23]
	v_fmac_f64_e32 v[32:33], v[32:33], v[42:43]
	v_fma_f64 v[40:41], -v[34:35], v[38:39], 1.0
	v_div_scale_f64 v[36:37], s[0:1], v[12:13], v[30:31], v[12:13]
	v_mul_f64 v[42:43], v[28:29], v[32:33]
	v_fmac_f64_e32 v[38:39], v[38:39], v[40:41]
	v_fma_f64 v[26:27], -v[26:27], v[42:43], v[28:29]
	v_mul_f64 v[28:29], v[36:37], v[38:39]
	v_div_fmas_f64 v[26:27], v[26:27], v[32:33], v[42:43]
	v_fma_f64 v[32:33], -v[34:35], v[28:29], v[36:37]
	s_mov_b64 vcc, s[0:1]
	v_div_fixup_f64 v[22:23], v[26:27], v[24:25], v[22:23]
	v_div_fmas_f64 v[24:25], v[32:33], v[38:39], v[28:29]
	v_div_fixup_f64 v[12:13], v[24:25], v[30:31], v[12:13]
	v_div_scale_f64 v[24:25], s[0:1], v[30:31], v[30:31], v[22:23]
	v_add_f64 v[20:21], v[30:31], 1.0
	v_rcp_f64_e32 v[28:29], v[24:25]
	v_div_scale_f64 v[32:33], s[0:1], v[20:21], v[20:21], v[12:13]
	v_rcp_f64_e32 v[36:37], v[32:33]
	v_fma_f64 v[38:39], -v[24:25], v[28:29], 1.0
	v_fmac_f64_e32 v[28:29], v[28:29], v[38:39]
	v_fma_f64 v[40:41], -v[24:25], v[28:29], 1.0
	v_fma_f64 v[38:39], -v[32:33], v[36:37], 1.0
	v_div_scale_f64 v[26:27], vcc, v[22:23], v[30:31], v[22:23]
	v_fmac_f64_e32 v[36:37], v[36:37], v[38:39]
	v_fmac_f64_e32 v[28:29], v[28:29], v[40:41]
	v_fma_f64 v[38:39], -v[32:33], v[36:37], 1.0
	v_mul_f64 v[40:41], v[26:27], v[28:29]
	v_div_scale_f64 v[34:35], s[0:1], v[12:13], v[20:21], v[12:13]
	v_fmac_f64_e32 v[36:37], v[36:37], v[38:39]
	v_fma_f64 v[24:25], -v[24:25], v[40:41], v[26:27]
	v_mul_f64 v[26:27], v[34:35], v[36:37]
	v_div_fmas_f64 v[24:25], v[24:25], v[28:29], v[40:41]
	v_fma_f64 v[28:29], -v[32:33], v[26:27], v[34:35]
	v_div_fixup_f64 v[22:23], v[24:25], v[30:31], v[22:23]
	s_mov_b64 vcc, s[0:1]
	v_div_fmas_f64 v[24:25], v[28:29], v[36:37], v[26:27]
	v_add_f64 v[10:11], v[10:11], v[22:23]
	v_div_fixup_f64 v[12:13], v[24:25], v[20:21], v[12:13]
	v_div_scale_f64 v[24:25], s[0:1], v[10:11], v[10:11], v[22:23]
	v_rcp_f64_e32 v[26:27], v[24:25]
	v_div_scale_f64 v[28:29], vcc, v[22:23], v[10:11], v[22:23]
	v_add_f64 v[18:19], v[18:19], v[12:13]
	v_fma_f64 v[30:31], -v[24:25], v[26:27], 1.0
	v_fmac_f64_e32 v[26:27], v[26:27], v[30:31]
	v_fma_f64 v[30:31], -v[24:25], v[26:27], 1.0
	v_fmac_f64_e32 v[26:27], v[26:27], v[30:31]
	v_mul_f64 v[30:31], v[28:29], v[26:27]
	v_fma_f64 v[24:25], -v[24:25], v[30:31], v[28:29]
	v_div_fmas_f64 v[24:25], v[24:25], v[26:27], v[30:31]
	v_div_fixup_f64 v[24:25], v[24:25], v[10:11], v[22:23]
	v_cmp_ngt_f64_e64 s[0:1], |v[24:25]|, s[22:23]
	s_or_b64 s[20:21], s[0:1], s[20:21]
	s_andn2_b64 exec, exec, s[20:21]
	s_cbranch_execnz .LBB5_32
; %bb.33:
	s_or_b64 exec, exec, s[20:21]
	s_mov_b32 s0, 0x42b70f8b
	s_mov_b32 s1, 0xbfd0907f
	v_mul_f64 v[12:13], v[18:19], s[0:1]
	s_mov_b32 s0, 0x962715b8
	s_mov_b32 s1, 0x3fd6b8c7
	v_fmac_f64_e32 v[12:13], s[0:1], v[10:11]
	v_cndmask_b32_e64 v5, v5, v13, s[16:17]
	v_cndmask_b32_e64 v4, v4, v12, s[16:17]
.LBB5_34:
	s_or_b64 exec, exec, s[18:19]
                                        ; implicit-def: $vgpr12_vgpr13
.LBB5_35:
	s_andn2_saveexec_b64 s[14:15], s[14:15]
	s_cbranch_execz .LBB5_45
; %bb.36:
	s_mov_b32 s0, 0
	s_brev_b32 s1, 9
	v_mov_b32_e32 v1, 0x100
	v_cmp_lt_f64_e32 vcc, s[0:1], v[12:13]
	s_mov_b32 s16, 0
	s_mov_b32 s17, 0x40080000
	v_cndmask_b32_e32 v1, 0, v1, vcc
	v_ldexp_f64 v[4:5], -v[12:13], v1
	v_rsq_f64_e32 v[10:11], v[4:5]
	v_mov_b32_e32 v1, 0xffffff80
	v_cndmask_b32_e32 v1, 0, v1, vcc
	v_mul_f64 v[12:13], v[12:13], -2.0
	v_mul_f64 v[16:17], v[4:5], v[10:11]
	v_mul_f64 v[10:11], v[10:11], 0.5
	v_fma_f64 v[18:19], -v[10:11], v[16:17], 0.5
	v_fmac_f64_e32 v[16:17], v[16:17], v[18:19]
	v_fma_f64 v[20:21], -v[16:17], v[16:17], v[4:5]
	v_fmac_f64_e32 v[10:11], v[10:11], v[18:19]
	v_fmac_f64_e32 v[16:17], v[20:21], v[10:11]
	v_fma_f64 v[18:19], -v[16:17], v[16:17], v[4:5]
	v_fmac_f64_e32 v[16:17], v[18:19], v[10:11]
	v_ldexp_f64 v[10:11], v[16:17], v1
	v_mov_b32_e32 v1, 0x260
	v_cmp_class_f64_e32 vcc, v[4:5], v1
	s_mov_b32 s19, 0x3fe921fb
	s_mov_b32 s18, 0x54442d18
	v_cndmask_b32_e32 v5, v11, v5, vcc
	v_cndmask_b32_e32 v4, v10, v4, vcc
	v_mul_f64 v[10:11], v[12:13], v[4:5]
	v_div_scale_f64 v[12:13], s[0:1], s[16:17], s[16:17], v[10:11]
	v_rcp_f64_e32 v[16:17], v[12:13]
	s_movk_i32 s0, 0xff80
                                        ; implicit-def: $vgpr15
                                        ; implicit-def: $vgpr22_vgpr23
	v_fma_f64 v[18:19], -v[12:13], v[16:17], 1.0
	v_fmac_f64_e32 v[16:17], v[16:17], v[18:19]
	v_fma_f64 v[18:19], -v[12:13], v[16:17], 1.0
	v_fmac_f64_e32 v[16:17], v[16:17], v[18:19]
	v_div_scale_f64 v[18:19], vcc, v[10:11], s[16:17], v[10:11]
	v_mul_f64 v[20:21], v[18:19], v[16:17]
	v_fma_f64 v[12:13], -v[12:13], v[20:21], v[18:19]
	s_nop 1
	v_div_fmas_f64 v[12:13], v[12:13], v[16:17], v[20:21]
	v_div_fixup_f64 v[18:19], v[12:13], s[16:17], v[10:11]
	s_mov_b32 s16, 0
	v_add_f64 v[10:11], v[18:19], s[18:19]
	s_mov_b32 s17, 0x41d00000
	v_cmp_nlt_f64_e64 s[16:17], |v[10:11]|, s[16:17]
	v_trig_preop_f64 v[28:29], |v[10:11]|, 0
	v_trig_preop_f64 v[26:27], |v[10:11]|, 1
	;; [unrolled: 1-line block ×3, first 2 shown]
                                        ; implicit-def: $vgpr20_vgpr21
	s_and_saveexec_b64 s[20:21], s[16:17]
	s_xor_b64 s[20:21], exec, s[20:21]
	s_cbranch_execz .LBB5_38
; %bb.37:
	s_mov_b32 s22, 0
	s_mov_b32 s23, 0x7b000000
	v_and_b32_e32 v1, 0x7fffffff, v11
	v_ldexp_f64 v[12:13], |v[10:11]|, s0
	v_cmp_ge_f64_e64 vcc, |v[10:11]|, s[22:23]
	s_mov_b32 s0, 0
	s_mov_b32 s1, 0x7ff00000
	v_cndmask_b32_e32 v13, v1, v13, vcc
	v_cndmask_b32_e32 v12, v10, v12, vcc
	v_mul_f64 v[20:21], v[28:29], v[12:13]
	v_mul_f64 v[16:17], v[26:27], v[12:13]
	v_fma_f64 v[22:23], v[28:29], v[12:13], -v[20:21]
	v_add_f64 v[30:31], v[16:17], v[22:23]
	v_add_f64 v[38:39], v[30:31], -v[16:17]
	v_add_f64 v[22:23], v[22:23], -v[38:39]
	;; [unrolled: 1-line block ×4, first 2 shown]
	v_add_f64 v[22:23], v[22:23], v[38:39]
	v_fma_f64 v[16:17], v[26:27], v[12:13], -v[16:17]
	v_mul_f64 v[38:39], v[24:25], v[12:13]
	v_add_f64 v[40:41], v[38:39], v[16:17]
	v_add_f64 v[32:33], v[20:21], v[30:31]
	;; [unrolled: 1-line block ×3, first 2 shown]
	v_ldexp_f64 v[34:35], v[32:33], -2
	v_add_f64 v[20:21], v[32:33], -v[20:21]
	v_add_f64 v[32:33], v[42:43], -v[40:41]
	;; [unrolled: 1-line block ×5, first 2 shown]
	v_add_f64 v[22:23], v[22:23], v[32:33]
	v_add_f64 v[32:33], v[40:41], -v[38:39]
	v_add_f64 v[16:17], v[16:17], -v[32:33]
	;; [unrolled: 1-line block ×5, first 2 shown]
	v_add_f64 v[16:17], v[16:17], v[32:33]
	v_fract_f64_e32 v[36:37], v[34:35]
	v_add_f64 v[30:31], v[20:21], v[42:43]
	v_add_f64 v[16:17], v[16:17], v[22:23]
	v_fma_f64 v[12:13], v[24:25], v[12:13], -v[38:39]
	v_add_f64 v[20:21], v[30:31], -v[20:21]
	v_add_f64 v[12:13], v[12:13], v[16:17]
	v_ldexp_f64 v[16:17], v[36:37], 2
	v_cmp_neq_f64_e64 vcc, |v[34:35]|, s[0:1]
	v_add_f64 v[20:21], v[42:43], -v[20:21]
	v_add_f64 v[12:13], v[20:21], v[12:13]
	v_cndmask_b32_e32 v17, 0, v17, vcc
	v_cndmask_b32_e32 v16, 0, v16, vcc
	v_add_f64 v[20:21], v[30:31], v[16:17]
	v_mov_b32_e32 v1, 0x40100000
	v_cmp_gt_f64_e32 vcc, 0, v[20:21]
	v_mov_b32_e32 v20, 0
	s_mov_b32 s19, 0x3ff921fb
	v_cndmask_b32_e32 v21, 0, v1, vcc
	v_add_f64 v[16:17], v[16:17], v[20:21]
	v_add_f64 v[22:23], v[30:31], v[16:17]
	v_cvt_i32_f64_e32 v1, v[22:23]
	v_cvt_f64_i32_e32 v[22:23], v1
	v_add_f64 v[16:17], v[16:17], -v[22:23]
	v_add_f64 v[22:23], v[30:31], v[16:17]
	v_cmp_le_f64_e32 vcc, 0.5, v[22:23]
	v_add_f64 v[16:17], v[22:23], -v[16:17]
	v_add_f64 v[16:17], v[30:31], -v[16:17]
	v_addc_co_u32_e64 v15, s[0:1], 0, v1, vcc
	v_mov_b32_e32 v1, 0x3ff00000
	v_cndmask_b32_e32 v21, 0, v1, vcc
	v_add_f64 v[12:13], v[12:13], v[16:17]
	v_add_f64 v[16:17], v[22:23], -v[20:21]
	v_add_f64 v[20:21], v[16:17], v[12:13]
	v_add_f64 v[16:17], v[20:21], -v[16:17]
	v_add_f64 v[12:13], v[12:13], -v[16:17]
	v_mul_f64 v[16:17], v[20:21], s[18:19]
	s_mov_b32 s0, 0x33145c07
	v_fma_f64 v[22:23], v[20:21], s[18:19], -v[16:17]
	s_mov_b32 s1, 0x3c91a626
	v_fmac_f64_e32 v[22:23], s[0:1], v[20:21]
	v_fmac_f64_e32 v[22:23], s[18:19], v[12:13]
	v_add_f64 v[20:21], v[16:17], v[22:23]
	v_add_f64 v[12:13], v[20:21], -v[16:17]
	v_add_f64 v[22:23], v[22:23], -v[12:13]
	s_andn2_saveexec_b64 s[0:1], s[20:21]
	s_cbranch_execz .LBB5_40
	s_branch .LBB5_39
.LBB5_38:
	s_andn2_saveexec_b64 s[0:1], s[20:21]
	s_cbranch_execz .LBB5_40
.LBB5_39:
	s_mov_b32 s18, 0x6dc9c883
	s_mov_b32 s19, 0x3fe45f30
	v_mul_f64 v[12:13], |v[10:11]|, s[18:19]
	s_mov_b32 s18, 0x54442d18
	v_rndne_f64_e32 v[12:13], v[12:13]
	s_mov_b32 s19, 0xbff921fb
	v_fma_f64 v[16:17], v[12:13], s[18:19], |v[10:11]|
	s_mov_b32 s19, 0xbc91a626
	s_mov_b32 s18, 0x33145c00
	v_mul_f64 v[20:21], v[12:13], s[18:19]
	v_add_f64 v[32:33], v[16:17], v[20:21]
	v_fma_f64 v[22:23], s[18:19], v[12:13], v[16:17]
	s_mov_b32 s19, 0x3c91a626
	v_add_f64 v[16:17], v[16:17], -v[32:33]
	v_fma_f64 v[30:31], s[18:19], v[12:13], v[20:21]
	v_add_f64 v[16:17], v[16:17], v[20:21]
	v_add_f64 v[20:21], v[32:33], -v[22:23]
	v_add_f64 v[16:17], v[20:21], v[16:17]
	s_mov_b32 s18, 0x252049c0
	v_add_f64 v[16:17], v[16:17], -v[30:31]
	s_mov_b32 s19, 0xb97b839a
	v_fmac_f64_e32 v[16:17], s[18:19], v[12:13]
	v_add_f64 v[20:21], v[22:23], v[16:17]
	v_add_f64 v[22:23], v[20:21], -v[22:23]
	v_add_f64 v[22:23], v[16:17], -v[22:23]
	v_cvt_i32_f64_e32 v15, v[12:13]
.LBB5_40:
	s_or_b64 exec, exec, s[0:1]
                                        ; implicit-def: $vgpr1
                                        ; implicit-def: $vgpr12_vgpr13
                                        ; implicit-def: $vgpr16_vgpr17
	s_and_saveexec_b64 s[0:1], s[16:17]
	s_xor_b64 s[16:17], exec, s[0:1]
	s_cbranch_execz .LBB5_42
; %bb.41:
	s_mov_b32 s0, 0
	s_mov_b32 s1, 0x7b000000
	s_movk_i32 s18, 0xff80
	v_and_b32_e32 v1, 0x7fffffff, v11
	v_ldexp_f64 v[12:13], |v[10:11]|, s18
	v_cmp_ge_f64_e64 vcc, |v[10:11]|, s[0:1]
	s_mov_b32 s0, 0
	s_mov_b32 s1, 0x7ff00000
	v_cndmask_b32_e32 v13, v1, v13, vcc
	v_cndmask_b32_e32 v12, v10, v12, vcc
	v_mul_f64 v[30:31], v[28:29], v[12:13]
	v_mul_f64 v[16:17], v[26:27], v[12:13]
	v_fma_f64 v[28:29], v[28:29], v[12:13], -v[30:31]
	v_add_f64 v[32:33], v[16:17], v[28:29]
	v_add_f64 v[40:41], v[32:33], -v[16:17]
	v_add_f64 v[28:29], v[28:29], -v[40:41]
	v_add_f64 v[40:41], v[32:33], -v[40:41]
	v_add_f64 v[40:41], v[16:17], -v[40:41]
	v_fma_f64 v[16:17], v[26:27], v[12:13], -v[16:17]
	v_mul_f64 v[26:27], v[24:25], v[12:13]
	v_add_f64 v[28:29], v[28:29], v[40:41]
	v_add_f64 v[40:41], v[26:27], v[16:17]
	;; [unrolled: 1-line block ×4, first 2 shown]
	v_ldexp_f64 v[36:37], v[34:35], -2
	v_add_f64 v[30:31], v[34:35], -v[30:31]
	v_add_f64 v[34:35], v[42:43], -v[40:41]
	;; [unrolled: 1-line block ×5, first 2 shown]
	v_add_f64 v[28:29], v[28:29], v[34:35]
	v_add_f64 v[34:35], v[40:41], -v[26:27]
	v_add_f64 v[16:17], v[16:17], -v[34:35]
	;; [unrolled: 1-line block ×4, first 2 shown]
	v_add_f64 v[16:17], v[16:17], v[34:35]
	v_fract_f64_e32 v[38:39], v[36:37]
	v_add_f64 v[16:17], v[16:17], v[28:29]
	v_fma_f64 v[12:13], v[24:25], v[12:13], -v[26:27]
	v_add_f64 v[30:31], v[32:33], -v[30:31]
	v_add_f64 v[12:13], v[12:13], v[16:17]
	v_ldexp_f64 v[16:17], v[38:39], 2
	v_cmp_neq_f64_e64 vcc, |v[36:37]|, s[0:1]
	v_add_f64 v[32:33], v[30:31], v[42:43]
	v_mov_b32_e32 v1, 0x40100000
	v_cndmask_b32_e32 v17, 0, v17, vcc
	v_cndmask_b32_e32 v16, 0, v16, vcc
	v_add_f64 v[24:25], v[32:33], v[16:17]
	v_cmp_gt_f64_e32 vcc, 0, v[24:25]
	v_mov_b32_e32 v24, 0
	v_add_f64 v[30:31], v[32:33], -v[30:31]
	v_cndmask_b32_e32 v25, 0, v1, vcc
	v_add_f64 v[16:17], v[16:17], v[24:25]
	v_add_f64 v[26:27], v[32:33], v[16:17]
	v_cvt_i32_f64_e32 v1, v[26:27]
	v_cvt_f64_i32_e32 v[26:27], v1
	v_add_f64 v[16:17], v[16:17], -v[26:27]
	v_add_f64 v[26:27], v[32:33], v[16:17]
	v_add_f64 v[30:31], v[42:43], -v[30:31]
	v_add_f64 v[16:17], v[26:27], -v[16:17]
	v_add_f64 v[12:13], v[30:31], v[12:13]
	v_add_f64 v[16:17], v[32:33], -v[16:17]
	v_add_f64 v[12:13], v[12:13], v[16:17]
	v_cmp_le_f64_e32 vcc, 0.5, v[26:27]
	v_mov_b32_e32 v16, 0x3ff00000
	s_mov_b32 s18, 0x33145c07
	v_cndmask_b32_e32 v25, 0, v16, vcc
	v_addc_co_u32_e64 v1, s[0:1], 0, v1, vcc
	v_add_f64 v[16:17], v[26:27], -v[24:25]
	v_add_f64 v[24:25], v[16:17], v[12:13]
	s_mov_b32 s0, 0x54442d18
	v_add_f64 v[16:17], v[24:25], -v[16:17]
	s_mov_b32 s1, 0x3ff921fb
	v_add_f64 v[12:13], v[12:13], -v[16:17]
	v_mul_f64 v[16:17], v[24:25], s[0:1]
	v_fma_f64 v[26:27], v[24:25], s[0:1], -v[16:17]
	s_mov_b32 s19, 0x3c91a626
	v_fmac_f64_e32 v[26:27], s[18:19], v[24:25]
	v_fmac_f64_e32 v[26:27], s[0:1], v[12:13]
	v_add_f64 v[12:13], v[16:17], v[26:27]
	v_add_f64 v[16:17], v[12:13], -v[16:17]
	v_add_f64 v[16:17], v[26:27], -v[16:17]
	s_andn2_saveexec_b64 s[0:1], s[16:17]
	s_cbranch_execnz .LBB5_43
	s_branch .LBB5_44
.LBB5_42:
	s_andn2_saveexec_b64 s[0:1], s[16:17]
	s_cbranch_execz .LBB5_44
.LBB5_43:
	s_mov_b32 s16, 0x6dc9c883
	s_mov_b32 s17, 0x3fe45f30
	v_mul_f64 v[12:13], |v[10:11]|, s[16:17]
	s_mov_b32 s16, 0x54442d18
	v_rndne_f64_e32 v[24:25], v[12:13]
	s_mov_b32 s17, 0xbff921fb
	v_fma_f64 v[12:13], v[24:25], s[16:17], |v[10:11]|
	s_mov_b32 s17, 0xbc91a626
	s_mov_b32 s16, 0x33145c00
	v_mul_f64 v[26:27], v[24:25], s[16:17]
	v_add_f64 v[30:31], v[12:13], v[26:27]
	v_fma_f64 v[16:17], s[16:17], v[24:25], v[12:13]
	s_mov_b32 s17, 0x3c91a626
	v_add_f64 v[12:13], v[12:13], -v[30:31]
	v_fma_f64 v[28:29], s[16:17], v[24:25], v[26:27]
	v_add_f64 v[12:13], v[12:13], v[26:27]
	v_add_f64 v[26:27], v[30:31], -v[16:17]
	v_add_f64 v[12:13], v[26:27], v[12:13]
	s_mov_b32 s16, 0x252049c0
	v_add_f64 v[26:27], v[12:13], -v[28:29]
	s_mov_b32 s17, 0xb97b839a
	v_fmac_f64_e32 v[26:27], s[16:17], v[24:25]
	v_add_f64 v[12:13], v[16:17], v[26:27]
	v_add_f64 v[16:17], v[12:13], -v[16:17]
	v_add_f64 v[16:17], v[26:27], -v[16:17]
	v_cvt_i32_f64_e32 v1, v[24:25]
.LBB5_44:
	s_or_b64 exec, exec, s[0:1]
	v_div_scale_f64 v[24:25], s[0:1], v[18:19], v[18:19], 1.0
	v_rcp_f64_e32 v[26:27], v[24:25]
	v_div_scale_f64 v[28:29], vcc, 1.0, v[18:19], 1.0
	v_mov_b32_e32 v32, 0xb99518a7
	v_fma_f64 v[30:31], -v[24:25], v[26:27], 1.0
	v_fmac_f64_e32 v[26:27], v[26:27], v[30:31]
	v_fma_f64 v[30:31], -v[24:25], v[26:27], 1.0
	v_fmac_f64_e32 v[26:27], v[26:27], v[30:31]
	v_mul_f64 v[30:31], v[28:29], v[26:27]
	v_fma_f64 v[24:25], -v[24:25], v[30:31], v[28:29]
	v_div_fmas_f64 v[24:25], v[24:25], v[26:27], v[30:31]
	v_div_fixup_f64 v[18:19], v[24:25], v[18:19], 1.0
	v_mul_f64 v[24:25], v[18:19], v[18:19]
	v_mov_b32_e32 v26, 0xd50ae6fb
	v_mov_b32_e32 v27, 0xbfc0db6c
	v_fmac_f64_e32 v[26:27], 0, v[24:25]
	v_mov_b32_e32 v28, 0x98566852
	v_mov_b32_e32 v29, 0xbfe40bee
	v_fmac_f64_e32 v[28:29], v[24:25], v[26:27]
	;; [unrolled: 3-line block ×16, first 2 shown]
	v_mov_b32_e32 v33, 0x3e9e52b9
	v_mul_f64 v[34:35], v[20:21], v[20:21]
	v_fmac_f64_e32 v[32:33], v[24:25], v[30:31]
	v_mov_b32_e32 v30, 0xf68ea2d2
	v_mov_b32_e32 v31, 0xbe52041c
	v_mul_f64 v[26:27], v[34:35], 0.5
	v_fmac_f64_e32 v[30:31], v[24:25], v[28:29]
	v_add_f64 v[28:29], -v[26:27], 1.0
	s_mov_b32 s0, 0x9037ab78
	v_add_f64 v[36:37], -v[28:29], 1.0
	s_mov_b32 s1, 0x3e21eeb6
	s_mov_b32 s16, 0x46cc5e42
	v_add_f64 v[36:37], v[36:37], -v[26:27]
	s_mov_b32 s17, 0xbda907db
	v_mov_b64_e32 v[26:27], s[0:1]
	s_mov_b32 s18, 0xa17f65f6
	v_fma_f64 v[40:41], s[16:17], v[34:35], v[26:27]
	s_mov_b32 s19, 0xbe927e4f
	s_mov_b32 s20, 0x19f4ec90
	v_fma_f64 v[40:41], v[34:35], v[40:41], s[18:19]
	s_mov_b32 s21, 0x3efa01a0
	;; [unrolled: 3-line block ×4, first 2 shown]
	v_mul_f64 v[38:39], v[34:35], v[34:35]
	v_fma_f64 v[40:41], v[34:35], v[40:41], s[24:25]
	v_fma_f64 v[36:37], v[20:21], -v[22:23], v[36:37]
	s_mov_b32 s0, 0xb42fdfa7
	v_fmac_f64_e32 v[36:37], v[38:39], v[40:41]
	s_mov_b32 s1, 0xbe5ae600
	s_mov_b32 s26, 0xf9a43bb8
	v_add_f64 v[36:37], v[28:29], v[36:37]
	s_mov_b32 s27, 0x3de5e0b2
	v_mov_b64_e32 v[28:29], s[0:1]
	s_mov_b32 s28, 0x796cde01
	v_fma_f64 v[38:39], s[26:27], v[34:35], v[28:29]
	s_mov_b32 s29, 0x3ec71de3
	s_mov_b32 s30, 0x19e83e5c
	v_fma_f64 v[38:39], v[34:35], v[38:39], s[28:29]
	s_mov_b32 s31, 0xbf2a01a0
	;; [unrolled: 3-line block ×3, first 2 shown]
	v_fma_f64 v[38:39], v[34:35], v[38:39], s[34:35]
	v_mul_f64 v[40:41], v[20:21], -v[34:35]
	v_mul_f64 v[42:43], v[22:23], 0.5
	v_fmac_f64_e32 v[42:43], v[40:41], v[38:39]
	v_fma_f64 v[22:23], v[34:35], v[42:43], -v[22:23]
	s_mov_b32 s37, 0xbfc55555
	s_mov_b32 s36, s24
	v_fmac_f64_e32 v[22:23], s[36:37], v[40:41]
	v_add_f64 v[20:21], v[20:21], -v[22:23]
	v_and_b32_e32 v22, 1, v15
	v_cmp_eq_u32_e32 vcc, 0, v22
	v_lshlrev_b32_e32 v15, 30, v15
	v_xor_b32_e32 v15, v15, v11
	v_cndmask_b32_e32 v34, v36, v20, vcc
	v_cndmask_b32_e32 v20, v37, v21, vcc
	s_brev_b32 s33, 1
	v_bitop3_b32 v15, v20, v15, s33 bitop3:0x78
	v_mul_f64 v[20:21], v[24:25], v[30:31]
	v_div_scale_f64 v[22:23], s[0:1], v[32:33], v[32:33], v[20:21]
	v_rcp_f64_e32 v[30:31], v[22:23]
	s_movk_i32 s38, 0x1f8
	v_cmp_class_f64_e64 s[0:1], v[10:11], s38
	s_mov_b32 s38, 0
	v_mov_b32_e32 v40, 0x7ff80000
	v_cndmask_b32_e64 v10, 0, v34, s[0:1]
	v_fma_f64 v[34:35], -v[22:23], v[30:31], 1.0
	v_fmac_f64_e32 v[30:31], v[30:31], v[34:35]
	v_fma_f64 v[34:35], -v[22:23], v[30:31], 1.0
	v_fmac_f64_e32 v[30:31], v[30:31], v[34:35]
	v_div_scale_f64 v[34:35], vcc, v[20:21], v[32:33], v[20:21]
	v_mul_f64 v[36:37], v[34:35], v[30:31]
	v_fma_f64 v[22:23], -v[22:23], v[36:37], v[34:35]
	s_brev_b32 s39, 8
	s_nop 0
	v_div_fmas_f64 v[22:23], v[22:23], v[30:31], v[36:37]
	v_div_fixup_f64 v[20:21], v[22:23], v[32:33], v[20:21]
	v_mov_b32_e32 v22, 0xddcfbbde
	v_mov_b32_e32 v23, 0x3f943525
	v_fmac_f64_e32 v[22:23], 0, v[24:25]
	v_mov_b32_e32 v30, 0x6437b7
	v_mov_b32_e32 v31, 0x3fd907d5
	v_fmac_f64_e32 v[30:31], v[24:25], v[22:23]
	;; [unrolled: 3-line block ×15, first 2 shown]
	v_mov_b32_e32 v30, 0xc195ece3
	v_mov_b32_e32 v31, 0x3fee8992
	v_cndmask_b32_e64 v11, v40, v15, s[0:1]
	v_fmac_f64_e32 v[30:31], v[24:25], v[32:33]
	v_mov_b32_e32 v32, 0xed64a9ee
	v_mov_b32_e32 v33, 0x3fb6221d
	;; [unrolled: 1-line block ×3, first 2 shown]
	v_cmp_gt_f64_e32 vcc, s[38:39], v[4:5]
	v_fmac_f64_e32 v[32:33], v[24:25], v[30:31]
	v_mov_b32_e32 v30, 0x6be393bb
	v_mov_b32_e32 v31, 0x3f70e704
	v_cndmask_b32_e32 v15, 0, v15, vcc
	v_fmac_f64_e32 v[30:31], v[24:25], v[32:33]
	v_mov_b32_e32 v32, 0xd603a5a0
	v_mov_b32_e32 v33, 0x3f1a8b61
	v_ldexp_f64 v[4:5], v[4:5], v15
	v_fmac_f64_e32 v[32:33], v[24:25], v[30:31]
	v_rsq_f64_e32 v[30:31], v[4:5]
	v_mov_b32_e32 v34, 0xdb0724e8
	v_mov_b32_e32 v35, 0x3eb3a845
	v_fmac_f64_e32 v[34:35], v[24:25], v[32:33]
	v_mul_f64 v[32:33], v[4:5], v[30:31]
	v_mul_f64 v[30:31], v[30:31], 0.5
	v_fma_f64 v[36:37], -v[30:31], v[32:33], 0.5
	v_fmac_f64_e32 v[32:33], v[32:33], v[36:37]
	v_fma_f64 v[38:39], -v[32:33], v[32:33], v[4:5]
	v_fmac_f64_e32 v[30:31], v[30:31], v[36:37]
	v_fmac_f64_e32 v[32:33], v[38:39], v[30:31]
	v_fma_f64 v[36:37], -v[32:33], v[32:33], v[4:5]
	v_mov_b32_e32 v15, 0xffffff80
	v_fmac_f64_e32 v[32:33], v[36:37], v[30:31]
	v_cndmask_b32_e32 v15, 0, v15, vcc
	v_ldexp_f64 v[30:31], v[32:33], v15
	v_mov_b32_e32 v15, 0x260
	v_cmp_class_f64_e32 vcc, v[4:5], v15
	s_mov_b32 s38, 0x50429b6d
	s_mov_b32 s39, 0x3fe20dd7
	v_cndmask_b32_e32 v5, v31, v5, vcc
	v_cndmask_b32_e32 v4, v30, v4, vcc
	v_div_scale_f64 v[30:31], s[40:41], v[4:5], v[4:5], s[38:39]
	v_rcp_f64_e32 v[32:33], v[30:31]
	v_mov_b32_e32 v36, 0x3dd589d4
	v_mov_b32_e32 v37, 0x3e351fc7
	v_fmac_f64_e32 v[36:37], v[24:25], v[34:35]
	v_fma_f64 v[24:25], -v[30:31], v[32:33], 1.0
	v_fmac_f64_e32 v[32:33], v[32:33], v[24:25]
	v_fma_f64 v[24:25], -v[30:31], v[32:33], 1.0
	v_fmac_f64_e32 v[32:33], v[32:33], v[24:25]
	v_div_scale_f64 v[24:25], vcc, s[38:39], v[4:5], s[38:39]
	v_mul_f64 v[34:35], v[24:25], v[32:33]
	v_fma_f64 v[24:25], -v[30:31], v[34:35], v[24:25]
	v_and_b32_e32 v15, 1, v1
	s_nop 0
	v_div_fmas_f64 v[24:25], v[24:25], v[32:33], v[34:35]
	v_div_fixup_f64 v[4:5], v[24:25], v[4:5], s[38:39]
	v_mul_f64 v[24:25], v[12:13], v[12:13]
	v_mul_f64 v[30:31], v[24:25], 0.5
	v_fmac_f64_e32 v[26:27], s[16:17], v[24:25]
	v_add_f64 v[32:33], -v[30:31], 1.0
	v_fma_f64 v[26:27], v[24:25], v[26:27], s[18:19]
	v_add_f64 v[34:35], -v[32:33], 1.0
	v_fma_f64 v[26:27], v[24:25], v[26:27], s[20:21]
	v_add_f64 v[30:31], v[34:35], -v[30:31]
	v_fma_f64 v[26:27], v[24:25], v[26:27], s[22:23]
	v_fmac_f64_e32 v[28:29], s[26:27], v[24:25]
	v_mul_f64 v[34:35], v[24:25], v[24:25]
	v_fma_f64 v[26:27], v[24:25], v[26:27], s[24:25]
	v_fma_f64 v[30:31], v[12:13], -v[16:17], v[30:31]
	v_fma_f64 v[28:29], v[24:25], v[28:29], s[28:29]
	v_fmac_f64_e32 v[30:31], v[34:35], v[26:27]
	v_fma_f64 v[28:29], v[24:25], v[28:29], s[30:31]
	v_add_f64 v[26:27], v[32:33], v[30:31]
	v_fma_f64 v[28:29], v[24:25], v[28:29], s[34:35]
	v_mul_f64 v[30:31], v[12:13], -v[24:25]
	v_mul_f64 v[32:33], v[16:17], 0.5
	v_fmac_f64_e32 v[32:33], v[30:31], v[28:29]
	v_fma_f64 v[16:17], v[24:25], v[32:33], -v[16:17]
	v_fmac_f64_e32 v[16:17], s[36:37], v[30:31]
	v_add_f64 v[12:13], v[12:13], -v[16:17]
	v_xor_b32_e32 v13, 0x80000000, v13
	v_cmp_eq_u32_e32 vcc, 0, v15
	v_lshlrev_b32_e32 v1, 30, v1
	v_add_f64 v[20:21], v[20:21], 1.0
	v_cndmask_b32_e32 v15, v12, v26, vcc
	v_cndmask_b32_e32 v24, v13, v27, vcc
	v_mul_f64 v[12:13], v[18:19], v[22:23]
	v_div_scale_f64 v[16:17], s[16:17], v[36:37], v[36:37], v[12:13]
	v_rcp_f64_e32 v[18:19], v[16:17]
	v_bitop3_b32 v1, v24, v1, s33 bitop3:0x78
	v_cndmask_b32_e64 v22, 0, v15, s[0:1]
	v_cndmask_b32_e64 v23, v40, v1, s[0:1]
	v_fma_f64 v[24:25], -v[16:17], v[18:19], 1.0
	v_fmac_f64_e32 v[18:19], v[18:19], v[24:25]
	v_fma_f64 v[24:25], -v[16:17], v[18:19], 1.0
	v_fmac_f64_e32 v[18:19], v[18:19], v[24:25]
	v_div_scale_f64 v[24:25], vcc, v[12:13], v[36:37], v[12:13]
	v_mul_f64 v[26:27], v[24:25], v[18:19]
	v_fma_f64 v[16:17], -v[16:17], v[26:27], v[24:25]
	s_nop 1
	v_div_fmas_f64 v[16:17], v[16:17], v[18:19], v[26:27]
	v_div_fixup_f64 v[12:13], v[16:17], v[36:37], v[12:13]
	v_mul_f64 v[12:13], v[12:13], v[22:23]
	v_fma_f64 v[10:11], v[20:21], v[10:11], -v[12:13]
	v_mul_f64 v[4:5], v[4:5], v[10:11]
.LBB5_45:
	s_or_b64 exec, exec, s[14:15]
.LBB5_46:
	s_or_b64 exec, exec, s[12:13]
.LBB5_47:
	s_or_b64 exec, exec, s[10:11]
	s_mov_b32 s10, 0
	s_mov_b32 s11, 0x7ff00000
	v_mov_b32_e32 v12, 0
	v_mov_b32_e32 v10, 0
	s_waitcnt vmcnt(0)
	v_cmp_neq_f64_e64 s[0:1], |v[6:7]|, s[10:11]
	v_mov_b32_e32 v13, 0x7ff80000
	v_mov_b32_e32 v11, 0x7ff80000
	s_and_saveexec_b64 s[12:13], s[0:1]
	s_cbranch_execz .LBB5_69
; %bb.48:
	s_mov_b32 s0, 0x872b020c
	s_mov_b32 s1, 0x4059f916
	v_cmp_nlt_f64_e32 vcc, s[0:1], v[6:7]
	v_mov_b64_e32 v[10:11], 0
	s_and_saveexec_b64 s[14:15], vcc
	s_cbranch_execz .LBB5_68
; %bb.49:
	s_mov_b32 s1, 0xc000b851
	s_mov_b32 s0, 0xeb851eb8
	v_cmp_ngt_f64_e32 vcc, s[0:1], v[6:7]
	s_and_saveexec_b64 s[16:17], vcc
	s_xor_b64 s[16:17], exec, s[16:17]
	s_cbranch_execz .LBB5_57
; %bb.50:
	s_mov_b32 s1, 0x4000b851
	v_cmp_nle_f64_e64 s[18:19], s[0:1], v[6:7]
	v_cmp_le_f64_e32 vcc, s[0:1], v[6:7]
	v_mov_b64_e32 v[10:11], 0
	s_mov_b64 s[0:1], s[18:19]
	s_and_saveexec_b64 s[20:21], vcc
	s_cbranch_execz .LBB5_52
; %bb.51:
	s_mov_b32 s0, 0
	s_brev_b32 s1, 8
	v_mov_b32_e32 v1, 0x100
	v_cmp_gt_f64_e32 vcc, s[0:1], v[6:7]
	v_mov_b32_e32 v15, 0xffffff80
	v_mov_b32_e32 v30, 0x260
	v_cndmask_b32_e32 v10, 0, v1, vcc
	v_ldexp_f64 v[10:11], v[6:7], v10
	v_rsq_f64_e32 v[16:17], v[10:11]
	v_add_f64 v[18:19], v[6:7], v[6:7]
	s_mov_b32 s22, 0
	s_mov_b32 s23, 0x40080000
	v_mul_f64 v[20:21], v[10:11], v[16:17]
	v_mul_f64 v[16:17], v[16:17], 0.5
	v_fma_f64 v[22:23], -v[16:17], v[20:21], 0.5
	v_fmac_f64_e32 v[20:21], v[20:21], v[22:23]
	v_fma_f64 v[24:25], -v[20:21], v[20:21], v[10:11]
	v_fmac_f64_e32 v[16:17], v[16:17], v[22:23]
	v_fmac_f64_e32 v[20:21], v[24:25], v[16:17]
	v_fma_f64 v[22:23], -v[20:21], v[20:21], v[10:11]
	v_fmac_f64_e32 v[20:21], v[22:23], v[16:17]
	v_cndmask_b32_e32 v16, 0, v15, vcc
	v_ldexp_f64 v[16:17], v[20:21], v16
	v_cmp_class_f64_e32 vcc, v[10:11], v30
	s_nop 1
	v_cndmask_b32_e32 v11, v17, v11, vcc
	v_cndmask_b32_e32 v10, v16, v10, vcc
	v_mul_f64 v[16:17], v[18:19], v[10:11]
	v_div_scale_f64 v[18:19], s[24:25], s[22:23], s[22:23], v[16:17]
	v_rcp_f64_e32 v[20:21], v[18:19]
	s_nop 0
	v_fma_f64 v[22:23], -v[18:19], v[20:21], 1.0
	v_fmac_f64_e32 v[20:21], v[20:21], v[22:23]
	v_fma_f64 v[22:23], -v[18:19], v[20:21], 1.0
	v_fmac_f64_e32 v[20:21], v[20:21], v[22:23]
	v_div_scale_f64 v[22:23], vcc, v[16:17], s[22:23], v[16:17]
	v_mul_f64 v[24:25], v[22:23], v[20:21]
	v_fma_f64 v[18:19], -v[18:19], v[24:25], v[22:23]
	s_nop 1
	v_div_fmas_f64 v[18:19], v[18:19], v[20:21], v[24:25]
	v_div_fixup_f64 v[16:17], v[18:19], s[22:23], v[16:17]
	v_div_scale_f64 v[18:19], s[22:23], v[16:17], v[16:17], 1.0
	v_rcp_f64_e32 v[20:21], v[18:19]
	s_nop 0
	v_fma_f64 v[22:23], -v[18:19], v[20:21], 1.0
	v_fmac_f64_e32 v[20:21], v[20:21], v[22:23]
	v_fma_f64 v[22:23], -v[18:19], v[20:21], 1.0
	v_fmac_f64_e32 v[20:21], v[20:21], v[22:23]
	v_div_scale_f64 v[22:23], vcc, 1.0, v[16:17], 1.0
	v_mul_f64 v[24:25], v[22:23], v[20:21]
	v_fma_f64 v[18:19], -v[18:19], v[24:25], v[22:23]
	v_mov_b32_e32 v22, 0x871a9067
	s_nop 0
	v_div_fmas_f64 v[18:19], v[18:19], v[20:21], v[24:25]
	v_div_fixup_f64 v[18:19], v[18:19], v[16:17], 1.0
	v_mov_b32_e32 v20, 0x2537b658
	v_mov_b32_e32 v21, 0x3fd62dae
	v_fmac_f64_e32 v[20:21], 0, v[18:19]
	v_mov_b32_e32 v23, 0x402803e3
	v_fmac_f64_e32 v[22:23], v[18:19], v[20:21]
	v_mov_b32_e32 v20, 0xde2e1e3
	v_mov_b32_e32 v21, 0x405311e5
	v_fmac_f64_e32 v[20:21], v[18:19], v[22:23]
	v_mov_b32_e32 v22, 0xee40073c
	;; [unrolled: 3-line block ×12, first 2 shown]
	v_mov_b32_e32 v23, 0x402c311b
	v_fmac_f64_e32 v[22:23], v[18:19], v[24:25]
	v_fma_f64 v[22:23], v[18:19], v[22:23], 1.0
	v_fma_f64 v[18:19], v[18:19], v[20:21], 1.0
	v_div_scale_f64 v[20:21], s[22:23], v[22:23], v[22:23], v[18:19]
	v_rcp_f64_e32 v[24:25], v[20:21]
	s_nop 0
	v_fma_f64 v[26:27], -v[20:21], v[24:25], 1.0
	v_fmac_f64_e32 v[24:25], v[24:25], v[26:27]
	v_fma_f64 v[26:27], -v[20:21], v[24:25], 1.0
	v_fmac_f64_e32 v[24:25], v[24:25], v[26:27]
	v_div_scale_f64 v[26:27], vcc, v[18:19], v[22:23], v[18:19]
	v_mul_f64 v[28:29], v[26:27], v[24:25]
	v_fma_f64 v[20:21], -v[20:21], v[28:29], v[26:27]
	s_nop 1
	v_div_fmas_f64 v[20:21], v[20:21], v[24:25], v[28:29]
	v_cmp_gt_f64_e32 vcc, s[0:1], v[10:11]
	v_div_fixup_f64 v[18:19], v[20:21], v[22:23], v[18:19]
	s_mov_b32 s0, 0x50429b6d
	v_cndmask_b32_e32 v1, 0, v1, vcc
	v_ldexp_f64 v[10:11], v[10:11], v1
	v_rsq_f64_e32 v[20:21], v[10:11]
	s_mov_b32 s1, 0x3fe20dd7
	v_mul_f64 v[18:19], v[18:19], s[0:1]
	v_cndmask_b32_e32 v1, 0, v15, vcc
	v_mul_f64 v[22:23], v[10:11], v[20:21]
	v_mul_f64 v[20:21], v[20:21], 0.5
	v_fma_f64 v[24:25], -v[20:21], v[22:23], 0.5
	v_fmac_f64_e32 v[22:23], v[22:23], v[24:25]
	v_fma_f64 v[26:27], -v[22:23], v[22:23], v[10:11]
	v_fmac_f64_e32 v[20:21], v[20:21], v[24:25]
	v_fmac_f64_e32 v[22:23], v[26:27], v[20:21]
	v_fma_f64 v[24:25], -v[22:23], v[22:23], v[10:11]
	v_fmac_f64_e32 v[22:23], v[24:25], v[20:21]
	s_mov_b32 s0, 0x652b82fe
	v_ldexp_f64 v[20:21], v[22:23], v1
	v_cmp_class_f64_e32 vcc, v[10:11], v30
	s_mov_b32 s1, 0x3ff71547
	v_mov_b32_e32 v24, 0xfca7ab0c
	v_cndmask_b32_e32 v11, v21, v11, vcc
	v_cndmask_b32_e32 v10, v20, v10, vcc
	v_mul_f64 v[20:21], v[16:17], s[0:1]
	s_mov_b32 s0, 0xfefa39ef
	v_rndne_f64_e32 v[20:21], v[20:21]
	s_mov_b32 s1, 0xbfe62e42
	v_fma_f64 v[22:23], s[0:1], v[20:21], v[16:17]
	s_mov_b32 s0, 0x3b39803f
	s_mov_b32 s1, 0xbc7abc9e
	v_fmac_f64_e32 v[22:23], s[0:1], v[20:21]
	s_mov_b32 s0, 0x6a5dcb37
	v_mov_b32_e32 v25, 0x3e928af3
	s_mov_b32 s1, 0x3e5ade15
	v_fmac_f64_e32 v[24:25], s[0:1], v[22:23]
	v_mov_b32_e32 v26, 0x623fde64
	v_mov_b32_e32 v27, 0x3ec71dee
	v_fmac_f64_e32 v[26:27], v[22:23], v[24:25]
	v_mov_b32_e32 v24, 0x7c89e6b0
	v_mov_b32_e32 v25, 0x3efa0199
	;; [unrolled: 3-line block ×8, first 2 shown]
	s_mov_b32 s0, 0
	v_fmac_f64_e32 v[24:25], v[22:23], v[26:27]
	s_mov_b32 s1, 0x40900000
	v_fma_f64 v[24:25], v[22:23], v[24:25], 1.0
	v_cmp_nlt_f64_e32 vcc, s[0:1], v[16:17]
	s_mov_b32 s0, 0
	v_fma_f64 v[22:23], v[22:23], v[24:25], 1.0
	v_cvt_i32_f64_e32 v1, v[20:21]
	s_mov_b32 s1, 0xc090cc00
	v_ldexp_f64 v[20:21], v[22:23], v1
	v_mov_b32_e32 v1, 0x7ff00000
	v_cmp_ngt_f64_e64 s[0:1], s[0:1], v[16:17]
	v_cndmask_b32_e32 v1, v1, v21, vcc
	s_and_b64 vcc, s[0:1], vcc
	v_add_f64 v[10:11], v[10:11], v[10:11]
	v_cndmask_b32_e64 v17, 0, v1, s[0:1]
	v_cndmask_b32_e32 v16, 0, v20, vcc
	v_mul_f64 v[10:11], v[10:11], v[16:17]
	v_div_scale_f64 v[16:17], s[0:1], v[10:11], v[10:11], v[18:19]
	v_rcp_f64_e32 v[20:21], v[16:17]
	s_mov_b32 s0, 0xfd0a823a
	s_mov_b32 s1, 0x4020a402
	v_fma_f64 v[22:23], -v[16:17], v[20:21], 1.0
	v_fmac_f64_e32 v[20:21], v[20:21], v[22:23]
	v_fma_f64 v[22:23], -v[16:17], v[20:21], 1.0
	v_fmac_f64_e32 v[20:21], v[20:21], v[22:23]
	v_div_scale_f64 v[22:23], vcc, v[18:19], v[10:11], v[18:19]
	v_mul_f64 v[24:25], v[22:23], v[20:21]
	v_fma_f64 v[16:17], -v[16:17], v[24:25], v[22:23]
	s_nop 1
	v_div_fmas_f64 v[16:17], v[16:17], v[20:21], v[24:25]
	v_cmp_nlt_f64_e32 vcc, s[0:1], v[6:7]
	s_andn2_b64 s[0:1], s[18:19], exec
	s_and_b64 s[22:23], vcc, exec
	v_div_fixup_f64 v[10:11], v[16:17], v[10:11], v[18:19]
	s_or_b64 s[0:1], s[0:1], s[22:23]
.LBB5_52:
	s_or_b64 exec, exec, s[20:21]
	s_and_saveexec_b64 s[20:21], s[0:1]
	s_cbranch_execz .LBB5_56
; %bb.53:
	v_mul_f64 v[16:17], v[6:7], v[6:7]
	s_mov_b32 s24, 0
	v_mul_f64 v[18:19], v[6:7], v[16:17]
	v_mov_b64_e32 v[24:25], 1.0
	s_mov_b64 s[22:23], 0
	v_mov_b64_e32 v[22:23], 1.0
	s_mov_b32 s25, 0x3cb00000
	v_mov_b64_e32 v[20:21], v[6:7]
	v_mov_b64_e32 v[16:17], 1.0
.LBB5_54:                               ; =>This Inner Loop Header: Depth=1
	v_mul_f64 v[24:25], v[18:19], v[24:25]
	v_add_f64 v[26:27], v[22:23], 1.0
	v_mul_f64 v[6:7], v[18:19], v[6:7]
	v_div_scale_f64 v[28:29], s[0:1], v[26:27], v[26:27], v[24:25]
	v_add_f64 v[32:33], v[26:27], 1.0
	v_rcp_f64_e32 v[34:35], v[28:29]
	v_div_scale_f64 v[36:37], s[0:1], v[32:33], v[32:33], v[6:7]
	v_rcp_f64_e32 v[40:41], v[36:37]
	v_fma_f64 v[42:43], -v[28:29], v[34:35], 1.0
	v_fmac_f64_e32 v[34:35], v[34:35], v[42:43]
	v_fma_f64 v[44:45], -v[28:29], v[34:35], 1.0
	v_fma_f64 v[42:43], -v[36:37], v[40:41], 1.0
	v_fmac_f64_e32 v[40:41], v[40:41], v[42:43]
	v_div_scale_f64 v[30:31], vcc, v[24:25], v[26:27], v[24:25]
	v_fmac_f64_e32 v[34:35], v[34:35], v[44:45]
	v_fma_f64 v[42:43], -v[36:37], v[40:41], 1.0
	v_div_scale_f64 v[38:39], s[0:1], v[6:7], v[32:33], v[6:7]
	v_mul_f64 v[44:45], v[30:31], v[34:35]
	v_fmac_f64_e32 v[40:41], v[40:41], v[42:43]
	v_fma_f64 v[28:29], -v[28:29], v[44:45], v[30:31]
	v_mul_f64 v[30:31], v[38:39], v[40:41]
	v_div_fmas_f64 v[28:29], v[28:29], v[34:35], v[44:45]
	v_fma_f64 v[34:35], -v[36:37], v[30:31], v[38:39]
	s_mov_b64 vcc, s[0:1]
	v_div_fixup_f64 v[24:25], v[28:29], v[26:27], v[24:25]
	v_div_fmas_f64 v[26:27], v[34:35], v[40:41], v[30:31]
	v_div_fixup_f64 v[6:7], v[26:27], v[32:33], v[6:7]
	v_div_scale_f64 v[26:27], s[0:1], v[32:33], v[32:33], v[24:25]
	v_add_f64 v[22:23], v[32:33], 1.0
	v_rcp_f64_e32 v[30:31], v[26:27]
	v_div_scale_f64 v[34:35], s[0:1], v[22:23], v[22:23], v[6:7]
	v_rcp_f64_e32 v[38:39], v[34:35]
	v_fma_f64 v[40:41], -v[26:27], v[30:31], 1.0
	v_fmac_f64_e32 v[30:31], v[30:31], v[40:41]
	v_fma_f64 v[42:43], -v[26:27], v[30:31], 1.0
	v_fma_f64 v[40:41], -v[34:35], v[38:39], 1.0
	v_div_scale_f64 v[28:29], vcc, v[24:25], v[32:33], v[24:25]
	v_fmac_f64_e32 v[38:39], v[38:39], v[40:41]
	v_fmac_f64_e32 v[30:31], v[30:31], v[42:43]
	v_fma_f64 v[40:41], -v[34:35], v[38:39], 1.0
	v_mul_f64 v[42:43], v[28:29], v[30:31]
	v_div_scale_f64 v[36:37], s[0:1], v[6:7], v[22:23], v[6:7]
	v_fmac_f64_e32 v[38:39], v[38:39], v[40:41]
	v_fma_f64 v[26:27], -v[26:27], v[42:43], v[28:29]
	v_mul_f64 v[28:29], v[36:37], v[38:39]
	v_div_fmas_f64 v[26:27], v[26:27], v[30:31], v[42:43]
	v_fma_f64 v[30:31], -v[34:35], v[28:29], v[36:37]
	v_div_fixup_f64 v[24:25], v[26:27], v[32:33], v[24:25]
	s_mov_b64 vcc, s[0:1]
	v_div_fmas_f64 v[26:27], v[30:31], v[38:39], v[28:29]
	v_add_f64 v[16:17], v[16:17], v[24:25]
	v_div_fixup_f64 v[6:7], v[26:27], v[22:23], v[6:7]
	v_div_scale_f64 v[26:27], s[0:1], v[16:17], v[16:17], v[24:25]
	v_rcp_f64_e32 v[28:29], v[26:27]
	v_div_scale_f64 v[30:31], vcc, v[24:25], v[16:17], v[24:25]
	v_add_f64 v[20:21], v[20:21], v[6:7]
	v_fma_f64 v[32:33], -v[26:27], v[28:29], 1.0
	v_fmac_f64_e32 v[28:29], v[28:29], v[32:33]
	v_fma_f64 v[32:33], -v[26:27], v[28:29], 1.0
	v_fmac_f64_e32 v[28:29], v[28:29], v[32:33]
	v_mul_f64 v[32:33], v[30:31], v[28:29]
	v_fma_f64 v[26:27], -v[26:27], v[32:33], v[30:31]
	v_div_fmas_f64 v[26:27], v[26:27], v[28:29], v[32:33]
	v_div_fixup_f64 v[26:27], v[26:27], v[16:17], v[24:25]
	v_cmp_ngt_f64_e64 s[0:1], |v[26:27]|, s[24:25]
	s_or_b64 s[22:23], s[0:1], s[22:23]
	s_andn2_b64 exec, exec, s[22:23]
	s_cbranch_execnz .LBB5_54
; %bb.55:
	s_or_b64 exec, exec, s[22:23]
	s_mov_b32 s0, 0x42b70f8b
	s_mov_b32 s1, 0xbfd0907f
	v_mul_f64 v[6:7], v[20:21], s[0:1]
	s_mov_b32 s0, 0x962715b8
	s_mov_b32 s1, 0x3fd6b8c7
	v_fmac_f64_e32 v[6:7], s[0:1], v[16:17]
	v_cndmask_b32_e64 v11, v11, v7, s[18:19]
	v_cndmask_b32_e64 v10, v10, v6, s[18:19]
.LBB5_56:
	s_or_b64 exec, exec, s[20:21]
.LBB5_57:
	s_andn2_saveexec_b64 s[16:17], s[16:17]
	s_cbranch_execz .LBB5_67
; %bb.58:
	s_mov_b32 s0, 0
	s_brev_b32 s1, 9
	v_mov_b32_e32 v1, 0x100
	v_cmp_lt_f64_e32 vcc, s[0:1], v[6:7]
	v_mul_f64 v[18:19], v[6:7], -2.0
	s_mov_b32 s18, 0
	v_cndmask_b32_e32 v1, 0, v1, vcc
	v_ldexp_f64 v[10:11], -v[6:7], v1
	v_rsq_f64_e32 v[16:17], v[10:11]
	v_mov_b32_e32 v1, 0xffffff80
	v_cndmask_b32_e32 v1, 0, v1, vcc
	s_mov_b32 s19, 0x40080000
	v_mul_f64 v[6:7], v[10:11], v[16:17]
	v_mul_f64 v[16:17], v[16:17], 0.5
	v_fma_f64 v[20:21], -v[16:17], v[6:7], 0.5
	v_fmac_f64_e32 v[6:7], v[6:7], v[20:21]
	v_fma_f64 v[22:23], -v[6:7], v[6:7], v[10:11]
	v_fmac_f64_e32 v[16:17], v[16:17], v[20:21]
	v_fmac_f64_e32 v[6:7], v[22:23], v[16:17]
	v_fma_f64 v[20:21], -v[6:7], v[6:7], v[10:11]
	v_fmac_f64_e32 v[6:7], v[20:21], v[16:17]
	v_ldexp_f64 v[6:7], v[6:7], v1
	v_mov_b32_e32 v1, 0x260
	v_cmp_class_f64_e32 vcc, v[10:11], v1
	s_mov_b32 s21, 0x3fe921fb
	s_mov_b32 s20, 0x54442d18
	v_cndmask_b32_e32 v7, v7, v11, vcc
	v_cndmask_b32_e32 v6, v6, v10, vcc
	v_mul_f64 v[10:11], v[18:19], v[6:7]
	v_div_scale_f64 v[16:17], s[0:1], s[18:19], s[18:19], v[10:11]
	v_rcp_f64_e32 v[18:19], v[16:17]
	s_movk_i32 s0, 0xff80
                                        ; implicit-def: $vgpr15
                                        ; implicit-def: $vgpr24_vgpr25
	v_fma_f64 v[20:21], -v[16:17], v[18:19], 1.0
	v_fmac_f64_e32 v[18:19], v[18:19], v[20:21]
	v_fma_f64 v[20:21], -v[16:17], v[18:19], 1.0
	v_fmac_f64_e32 v[18:19], v[18:19], v[20:21]
	v_div_scale_f64 v[20:21], vcc, v[10:11], s[18:19], v[10:11]
	v_mul_f64 v[22:23], v[20:21], v[18:19]
	v_fma_f64 v[16:17], -v[16:17], v[22:23], v[20:21]
	s_nop 1
	v_div_fmas_f64 v[16:17], v[16:17], v[18:19], v[22:23]
	v_div_fixup_f64 v[20:21], v[16:17], s[18:19], v[10:11]
	s_mov_b32 s18, 0
	v_add_f64 v[10:11], v[20:21], s[20:21]
	s_mov_b32 s19, 0x41d00000
	v_cmp_nlt_f64_e64 s[18:19], |v[10:11]|, s[18:19]
	v_trig_preop_f64 v[30:31], |v[10:11]|, 0
	v_trig_preop_f64 v[28:29], |v[10:11]|, 1
	;; [unrolled: 1-line block ×3, first 2 shown]
                                        ; implicit-def: $vgpr22_vgpr23
	s_and_saveexec_b64 s[22:23], s[18:19]
	s_xor_b64 s[22:23], exec, s[22:23]
	s_cbranch_execz .LBB5_60
; %bb.59:
	s_mov_b32 s24, 0
	s_mov_b32 s25, 0x7b000000
	v_and_b32_e32 v1, 0x7fffffff, v11
	v_ldexp_f64 v[16:17], |v[10:11]|, s0
	v_cmp_ge_f64_e64 vcc, |v[10:11]|, s[24:25]
	s_mov_b32 s0, 0
	s_mov_b32 s1, 0x7ff00000
	v_cndmask_b32_e32 v17, v1, v17, vcc
	v_cndmask_b32_e32 v16, v10, v16, vcc
	v_mul_f64 v[22:23], v[30:31], v[16:17]
	v_mul_f64 v[18:19], v[28:29], v[16:17]
	v_fma_f64 v[24:25], v[30:31], v[16:17], -v[22:23]
	v_add_f64 v[32:33], v[18:19], v[24:25]
	v_add_f64 v[40:41], v[32:33], -v[18:19]
	v_add_f64 v[24:25], v[24:25], -v[40:41]
	;; [unrolled: 1-line block ×4, first 2 shown]
	v_add_f64 v[24:25], v[24:25], v[40:41]
	v_fma_f64 v[18:19], v[28:29], v[16:17], -v[18:19]
	v_mul_f64 v[40:41], v[26:27], v[16:17]
	v_add_f64 v[42:43], v[40:41], v[18:19]
	v_add_f64 v[34:35], v[22:23], v[32:33]
	;; [unrolled: 1-line block ×3, first 2 shown]
	v_ldexp_f64 v[36:37], v[34:35], -2
	v_add_f64 v[22:23], v[34:35], -v[22:23]
	v_add_f64 v[34:35], v[44:45], -v[42:43]
	;; [unrolled: 1-line block ×5, first 2 shown]
	v_add_f64 v[24:25], v[24:25], v[34:35]
	v_add_f64 v[34:35], v[42:43], -v[40:41]
	v_add_f64 v[18:19], v[18:19], -v[34:35]
	;; [unrolled: 1-line block ×5, first 2 shown]
	v_add_f64 v[18:19], v[18:19], v[34:35]
	v_fract_f64_e32 v[38:39], v[36:37]
	v_add_f64 v[32:33], v[22:23], v[44:45]
	v_add_f64 v[18:19], v[18:19], v[24:25]
	v_fma_f64 v[16:17], v[26:27], v[16:17], -v[40:41]
	v_add_f64 v[22:23], v[32:33], -v[22:23]
	v_add_f64 v[16:17], v[16:17], v[18:19]
	v_ldexp_f64 v[18:19], v[38:39], 2
	v_cmp_neq_f64_e64 vcc, |v[36:37]|, s[0:1]
	v_add_f64 v[22:23], v[44:45], -v[22:23]
	v_add_f64 v[16:17], v[22:23], v[16:17]
	v_cndmask_b32_e32 v19, 0, v19, vcc
	v_cndmask_b32_e32 v18, 0, v18, vcc
	v_add_f64 v[22:23], v[32:33], v[18:19]
	v_mov_b32_e32 v1, 0x40100000
	v_cmp_gt_f64_e32 vcc, 0, v[22:23]
	v_mov_b32_e32 v22, 0
	s_mov_b32 s21, 0x3ff921fb
	v_cndmask_b32_e32 v23, 0, v1, vcc
	v_add_f64 v[18:19], v[18:19], v[22:23]
	v_add_f64 v[24:25], v[32:33], v[18:19]
	v_cvt_i32_f64_e32 v1, v[24:25]
	v_cvt_f64_i32_e32 v[24:25], v1
	v_add_f64 v[18:19], v[18:19], -v[24:25]
	v_add_f64 v[24:25], v[32:33], v[18:19]
	v_cmp_le_f64_e32 vcc, 0.5, v[24:25]
	v_add_f64 v[18:19], v[24:25], -v[18:19]
	v_add_f64 v[18:19], v[32:33], -v[18:19]
	v_addc_co_u32_e64 v15, s[0:1], 0, v1, vcc
	v_mov_b32_e32 v1, 0x3ff00000
	v_cndmask_b32_e32 v23, 0, v1, vcc
	v_add_f64 v[16:17], v[16:17], v[18:19]
	v_add_f64 v[18:19], v[24:25], -v[22:23]
	v_add_f64 v[22:23], v[18:19], v[16:17]
	v_add_f64 v[18:19], v[22:23], -v[18:19]
	v_add_f64 v[16:17], v[16:17], -v[18:19]
	v_mul_f64 v[18:19], v[22:23], s[20:21]
	s_mov_b32 s0, 0x33145c07
	v_fma_f64 v[24:25], v[22:23], s[20:21], -v[18:19]
	s_mov_b32 s1, 0x3c91a626
	v_fmac_f64_e32 v[24:25], s[0:1], v[22:23]
	v_fmac_f64_e32 v[24:25], s[20:21], v[16:17]
	v_add_f64 v[22:23], v[18:19], v[24:25]
	v_add_f64 v[16:17], v[22:23], -v[18:19]
	v_add_f64 v[24:25], v[24:25], -v[16:17]
	s_andn2_saveexec_b64 s[0:1], s[22:23]
	s_cbranch_execz .LBB5_62
	s_branch .LBB5_61
.LBB5_60:
	s_andn2_saveexec_b64 s[0:1], s[22:23]
	s_cbranch_execz .LBB5_62
.LBB5_61:
	s_mov_b32 s20, 0x6dc9c883
	s_mov_b32 s21, 0x3fe45f30
	v_mul_f64 v[16:17], |v[10:11]|, s[20:21]
	s_mov_b32 s20, 0x54442d18
	v_rndne_f64_e32 v[16:17], v[16:17]
	s_mov_b32 s21, 0xbff921fb
	v_fma_f64 v[18:19], v[16:17], s[20:21], |v[10:11]|
	s_mov_b32 s21, 0xbc91a626
	s_mov_b32 s20, 0x33145c00
	v_mul_f64 v[22:23], v[16:17], s[20:21]
	v_add_f64 v[34:35], v[18:19], v[22:23]
	v_fma_f64 v[24:25], s[20:21], v[16:17], v[18:19]
	s_mov_b32 s21, 0x3c91a626
	v_add_f64 v[18:19], v[18:19], -v[34:35]
	v_fma_f64 v[32:33], s[20:21], v[16:17], v[22:23]
	v_add_f64 v[18:19], v[18:19], v[22:23]
	v_add_f64 v[22:23], v[34:35], -v[24:25]
	v_add_f64 v[18:19], v[22:23], v[18:19]
	s_mov_b32 s20, 0x252049c0
	v_add_f64 v[18:19], v[18:19], -v[32:33]
	s_mov_b32 s21, 0xb97b839a
	v_fmac_f64_e32 v[18:19], s[20:21], v[16:17]
	v_add_f64 v[22:23], v[24:25], v[18:19]
	v_add_f64 v[24:25], v[22:23], -v[24:25]
	v_add_f64 v[24:25], v[18:19], -v[24:25]
	v_cvt_i32_f64_e32 v15, v[16:17]
.LBB5_62:
	s_or_b64 exec, exec, s[0:1]
                                        ; implicit-def: $vgpr1
                                        ; implicit-def: $vgpr16_vgpr17
                                        ; implicit-def: $vgpr18_vgpr19
	s_and_saveexec_b64 s[0:1], s[18:19]
	s_xor_b64 s[18:19], exec, s[0:1]
	s_cbranch_execz .LBB5_64
; %bb.63:
	s_mov_b32 s0, 0
	s_mov_b32 s1, 0x7b000000
	s_movk_i32 s20, 0xff80
	v_and_b32_e32 v1, 0x7fffffff, v11
	v_ldexp_f64 v[16:17], |v[10:11]|, s20
	v_cmp_ge_f64_e64 vcc, |v[10:11]|, s[0:1]
	s_mov_b32 s0, 0
	s_mov_b32 s1, 0x7ff00000
	v_cndmask_b32_e32 v17, v1, v17, vcc
	v_cndmask_b32_e32 v16, v10, v16, vcc
	v_mul_f64 v[32:33], v[30:31], v[16:17]
	v_mul_f64 v[18:19], v[28:29], v[16:17]
	v_fma_f64 v[30:31], v[30:31], v[16:17], -v[32:33]
	v_add_f64 v[34:35], v[18:19], v[30:31]
	v_add_f64 v[42:43], v[34:35], -v[18:19]
	v_add_f64 v[30:31], v[30:31], -v[42:43]
	;; [unrolled: 1-line block ×4, first 2 shown]
	v_fma_f64 v[18:19], v[28:29], v[16:17], -v[18:19]
	v_mul_f64 v[28:29], v[26:27], v[16:17]
	v_add_f64 v[30:31], v[30:31], v[42:43]
	v_add_f64 v[42:43], v[28:29], v[18:19]
	;; [unrolled: 1-line block ×4, first 2 shown]
	v_ldexp_f64 v[38:39], v[36:37], -2
	v_add_f64 v[32:33], v[36:37], -v[32:33]
	v_add_f64 v[36:37], v[44:45], -v[42:43]
	;; [unrolled: 1-line block ×5, first 2 shown]
	v_add_f64 v[30:31], v[30:31], v[36:37]
	v_add_f64 v[36:37], v[42:43], -v[28:29]
	v_add_f64 v[18:19], v[18:19], -v[36:37]
	;; [unrolled: 1-line block ×4, first 2 shown]
	v_add_f64 v[18:19], v[18:19], v[36:37]
	v_fract_f64_e32 v[40:41], v[38:39]
	v_add_f64 v[18:19], v[18:19], v[30:31]
	v_fma_f64 v[16:17], v[26:27], v[16:17], -v[28:29]
	v_add_f64 v[32:33], v[34:35], -v[32:33]
	v_add_f64 v[16:17], v[16:17], v[18:19]
	v_ldexp_f64 v[18:19], v[40:41], 2
	v_cmp_neq_f64_e64 vcc, |v[38:39]|, s[0:1]
	v_add_f64 v[34:35], v[32:33], v[44:45]
	v_mov_b32_e32 v1, 0x40100000
	v_cndmask_b32_e32 v19, 0, v19, vcc
	v_cndmask_b32_e32 v18, 0, v18, vcc
	v_add_f64 v[26:27], v[34:35], v[18:19]
	v_cmp_gt_f64_e32 vcc, 0, v[26:27]
	v_mov_b32_e32 v26, 0
	v_add_f64 v[32:33], v[34:35], -v[32:33]
	v_cndmask_b32_e32 v27, 0, v1, vcc
	v_add_f64 v[18:19], v[18:19], v[26:27]
	v_add_f64 v[28:29], v[34:35], v[18:19]
	v_cvt_i32_f64_e32 v1, v[28:29]
	v_cvt_f64_i32_e32 v[28:29], v1
	v_add_f64 v[18:19], v[18:19], -v[28:29]
	v_add_f64 v[28:29], v[34:35], v[18:19]
	v_add_f64 v[32:33], v[44:45], -v[32:33]
	v_add_f64 v[18:19], v[28:29], -v[18:19]
	v_add_f64 v[16:17], v[32:33], v[16:17]
	v_add_f64 v[18:19], v[34:35], -v[18:19]
	v_add_f64 v[16:17], v[16:17], v[18:19]
	v_cmp_le_f64_e32 vcc, 0.5, v[28:29]
	v_mov_b32_e32 v18, 0x3ff00000
	s_mov_b32 s20, 0x33145c07
	v_cndmask_b32_e32 v27, 0, v18, vcc
	v_addc_co_u32_e64 v1, s[0:1], 0, v1, vcc
	v_add_f64 v[18:19], v[28:29], -v[26:27]
	v_add_f64 v[26:27], v[18:19], v[16:17]
	s_mov_b32 s0, 0x54442d18
	v_add_f64 v[18:19], v[26:27], -v[18:19]
	s_mov_b32 s1, 0x3ff921fb
	v_add_f64 v[16:17], v[16:17], -v[18:19]
	v_mul_f64 v[18:19], v[26:27], s[0:1]
	v_fma_f64 v[28:29], v[26:27], s[0:1], -v[18:19]
	s_mov_b32 s21, 0x3c91a626
	v_fmac_f64_e32 v[28:29], s[20:21], v[26:27]
	v_fmac_f64_e32 v[28:29], s[0:1], v[16:17]
	v_add_f64 v[16:17], v[18:19], v[28:29]
	v_add_f64 v[18:19], v[16:17], -v[18:19]
	v_add_f64 v[18:19], v[28:29], -v[18:19]
	s_andn2_saveexec_b64 s[0:1], s[18:19]
	s_cbranch_execnz .LBB5_65
	s_branch .LBB5_66
.LBB5_64:
	s_andn2_saveexec_b64 s[0:1], s[18:19]
	s_cbranch_execz .LBB5_66
.LBB5_65:
	s_mov_b32 s18, 0x6dc9c883
	s_mov_b32 s19, 0x3fe45f30
	v_mul_f64 v[16:17], |v[10:11]|, s[18:19]
	s_mov_b32 s18, 0x54442d18
	v_rndne_f64_e32 v[26:27], v[16:17]
	s_mov_b32 s19, 0xbff921fb
	v_fma_f64 v[16:17], v[26:27], s[18:19], |v[10:11]|
	s_mov_b32 s19, 0xbc91a626
	s_mov_b32 s18, 0x33145c00
	v_mul_f64 v[28:29], v[26:27], s[18:19]
	v_add_f64 v[32:33], v[16:17], v[28:29]
	v_fma_f64 v[18:19], s[18:19], v[26:27], v[16:17]
	s_mov_b32 s19, 0x3c91a626
	v_add_f64 v[16:17], v[16:17], -v[32:33]
	v_fma_f64 v[30:31], s[18:19], v[26:27], v[28:29]
	v_add_f64 v[16:17], v[16:17], v[28:29]
	v_add_f64 v[28:29], v[32:33], -v[18:19]
	v_add_f64 v[16:17], v[28:29], v[16:17]
	s_mov_b32 s18, 0x252049c0
	v_add_f64 v[28:29], v[16:17], -v[30:31]
	s_mov_b32 s19, 0xb97b839a
	v_fmac_f64_e32 v[28:29], s[18:19], v[26:27]
	v_add_f64 v[16:17], v[18:19], v[28:29]
	v_add_f64 v[18:19], v[16:17], -v[18:19]
	v_add_f64 v[18:19], v[28:29], -v[18:19]
	v_cvt_i32_f64_e32 v1, v[26:27]
.LBB5_66:
	s_or_b64 exec, exec, s[0:1]
	v_div_scale_f64 v[26:27], s[0:1], v[20:21], v[20:21], 1.0
	v_rcp_f64_e32 v[28:29], v[26:27]
	v_div_scale_f64 v[30:31], vcc, 1.0, v[20:21], 1.0
	v_mov_b32_e32 v34, 0xb99518a7
	v_fma_f64 v[32:33], -v[26:27], v[28:29], 1.0
	v_fmac_f64_e32 v[28:29], v[28:29], v[32:33]
	v_fma_f64 v[32:33], -v[26:27], v[28:29], 1.0
	v_fmac_f64_e32 v[28:29], v[28:29], v[32:33]
	v_mul_f64 v[32:33], v[30:31], v[28:29]
	v_fma_f64 v[26:27], -v[26:27], v[32:33], v[30:31]
	v_div_fmas_f64 v[26:27], v[26:27], v[28:29], v[32:33]
	v_div_fixup_f64 v[20:21], v[26:27], v[20:21], 1.0
	v_mul_f64 v[26:27], v[20:21], v[20:21]
	v_mov_b32_e32 v28, 0xd50ae6fb
	v_mov_b32_e32 v29, 0xbfc0db6c
	v_fmac_f64_e32 v[28:29], 0, v[26:27]
	v_mov_b32_e32 v30, 0x98566852
	v_mov_b32_e32 v31, 0xbfe40bee
	v_fmac_f64_e32 v[30:31], v[26:27], v[28:29]
	;; [unrolled: 3-line block ×16, first 2 shown]
	v_mov_b32_e32 v35, 0x3e9e52b9
	v_mul_f64 v[36:37], v[22:23], v[22:23]
	v_fmac_f64_e32 v[34:35], v[26:27], v[32:33]
	v_mov_b32_e32 v32, 0xf68ea2d2
	v_mov_b32_e32 v33, 0xbe52041c
	v_mul_f64 v[28:29], v[36:37], 0.5
	v_fmac_f64_e32 v[32:33], v[26:27], v[30:31]
	v_add_f64 v[30:31], -v[28:29], 1.0
	s_mov_b32 s0, 0x9037ab78
	v_add_f64 v[38:39], -v[30:31], 1.0
	s_mov_b32 s1, 0x3e21eeb6
	s_mov_b32 s18, 0x46cc5e42
	v_add_f64 v[38:39], v[38:39], -v[28:29]
	s_mov_b32 s19, 0xbda907db
	v_mov_b64_e32 v[28:29], s[0:1]
	s_mov_b32 s20, 0xa17f65f6
	v_fma_f64 v[42:43], s[18:19], v[36:37], v[28:29]
	s_mov_b32 s21, 0xbe927e4f
	s_mov_b32 s22, 0x19f4ec90
	v_fma_f64 v[42:43], v[36:37], v[42:43], s[20:21]
	s_mov_b32 s23, 0x3efa01a0
	;; [unrolled: 3-line block ×4, first 2 shown]
	v_mul_f64 v[40:41], v[36:37], v[36:37]
	v_fma_f64 v[42:43], v[36:37], v[42:43], s[26:27]
	v_fma_f64 v[38:39], v[22:23], -v[24:25], v[38:39]
	s_mov_b32 s0, 0xb42fdfa7
	v_fmac_f64_e32 v[38:39], v[40:41], v[42:43]
	s_mov_b32 s1, 0xbe5ae600
	s_mov_b32 s28, 0xf9a43bb8
	v_add_f64 v[38:39], v[30:31], v[38:39]
	s_mov_b32 s29, 0x3de5e0b2
	v_mov_b64_e32 v[30:31], s[0:1]
	s_mov_b32 s30, 0x796cde01
	v_fma_f64 v[40:41], s[28:29], v[36:37], v[30:31]
	s_mov_b32 s31, 0x3ec71de3
	s_mov_b32 s34, 0x19e83e5c
	v_fma_f64 v[40:41], v[36:37], v[40:41], s[30:31]
	s_mov_b32 s35, 0xbf2a01a0
	;; [unrolled: 3-line block ×3, first 2 shown]
	v_fma_f64 v[40:41], v[36:37], v[40:41], s[36:37]
	v_mul_f64 v[42:43], v[22:23], -v[36:37]
	v_mul_f64 v[44:45], v[24:25], 0.5
	v_fmac_f64_e32 v[44:45], v[42:43], v[40:41]
	v_fma_f64 v[24:25], v[36:37], v[44:45], -v[24:25]
	s_mov_b32 s39, 0xbfc55555
	s_mov_b32 s38, s26
	v_fmac_f64_e32 v[24:25], s[38:39], v[42:43]
	v_add_f64 v[22:23], v[22:23], -v[24:25]
	v_and_b32_e32 v24, 1, v15
	v_cmp_eq_u32_e32 vcc, 0, v24
	v_lshlrev_b32_e32 v15, 30, v15
	v_xor_b32_e32 v15, v15, v11
	v_cndmask_b32_e32 v36, v38, v22, vcc
	v_cndmask_b32_e32 v22, v39, v23, vcc
	s_brev_b32 s33, 1
	v_bitop3_b32 v15, v22, v15, s33 bitop3:0x78
	v_mul_f64 v[22:23], v[26:27], v[32:33]
	v_div_scale_f64 v[24:25], s[0:1], v[34:35], v[34:35], v[22:23]
	v_rcp_f64_e32 v[32:33], v[24:25]
	s_movk_i32 s40, 0x1f8
	v_cmp_class_f64_e64 s[0:1], v[10:11], s40
	s_mov_b32 s40, 0
	v_mov_b32_e32 v42, 0x7ff80000
	v_cndmask_b32_e64 v10, 0, v36, s[0:1]
	v_fma_f64 v[36:37], -v[24:25], v[32:33], 1.0
	v_fmac_f64_e32 v[32:33], v[32:33], v[36:37]
	v_fma_f64 v[36:37], -v[24:25], v[32:33], 1.0
	v_fmac_f64_e32 v[32:33], v[32:33], v[36:37]
	v_div_scale_f64 v[36:37], vcc, v[22:23], v[34:35], v[22:23]
	v_mul_f64 v[38:39], v[36:37], v[32:33]
	v_fma_f64 v[24:25], -v[24:25], v[38:39], v[36:37]
	s_brev_b32 s41, 8
	s_nop 0
	v_div_fmas_f64 v[24:25], v[24:25], v[32:33], v[38:39]
	v_div_fixup_f64 v[22:23], v[24:25], v[34:35], v[22:23]
	v_mov_b32_e32 v24, 0xddcfbbde
	v_mov_b32_e32 v25, 0x3f943525
	v_fmac_f64_e32 v[24:25], 0, v[26:27]
	v_mov_b32_e32 v32, 0x6437b7
	v_mov_b32_e32 v33, 0x3fd907d5
	v_fmac_f64_e32 v[32:33], v[26:27], v[24:25]
	;; [unrolled: 3-line block ×15, first 2 shown]
	v_mov_b32_e32 v32, 0xc195ece3
	v_mov_b32_e32 v33, 0x3fee8992
	v_cndmask_b32_e64 v11, v42, v15, s[0:1]
	v_fmac_f64_e32 v[32:33], v[26:27], v[34:35]
	v_mov_b32_e32 v34, 0xed64a9ee
	v_mov_b32_e32 v35, 0x3fb6221d
	;; [unrolled: 1-line block ×3, first 2 shown]
	v_cmp_gt_f64_e32 vcc, s[40:41], v[6:7]
	v_fmac_f64_e32 v[34:35], v[26:27], v[32:33]
	v_mov_b32_e32 v32, 0x6be393bb
	v_mov_b32_e32 v33, 0x3f70e704
	v_cndmask_b32_e32 v15, 0, v15, vcc
	v_fmac_f64_e32 v[32:33], v[26:27], v[34:35]
	v_mov_b32_e32 v34, 0xd603a5a0
	v_mov_b32_e32 v35, 0x3f1a8b61
	v_ldexp_f64 v[6:7], v[6:7], v15
	v_fmac_f64_e32 v[34:35], v[26:27], v[32:33]
	v_rsq_f64_e32 v[32:33], v[6:7]
	v_mov_b32_e32 v36, 0xdb0724e8
	v_mov_b32_e32 v37, 0x3eb3a845
	v_fmac_f64_e32 v[36:37], v[26:27], v[34:35]
	v_mul_f64 v[34:35], v[6:7], v[32:33]
	v_mul_f64 v[32:33], v[32:33], 0.5
	v_fma_f64 v[38:39], -v[32:33], v[34:35], 0.5
	v_fmac_f64_e32 v[34:35], v[34:35], v[38:39]
	v_fma_f64 v[40:41], -v[34:35], v[34:35], v[6:7]
	v_fmac_f64_e32 v[32:33], v[32:33], v[38:39]
	v_fmac_f64_e32 v[34:35], v[40:41], v[32:33]
	v_fma_f64 v[38:39], -v[34:35], v[34:35], v[6:7]
	v_mov_b32_e32 v15, 0xffffff80
	v_fmac_f64_e32 v[34:35], v[38:39], v[32:33]
	v_cndmask_b32_e32 v15, 0, v15, vcc
	v_ldexp_f64 v[32:33], v[34:35], v15
	v_mov_b32_e32 v15, 0x260
	v_cmp_class_f64_e32 vcc, v[6:7], v15
	s_mov_b32 s40, 0x50429b6d
	s_mov_b32 s41, 0x3fe20dd7
	v_cndmask_b32_e32 v7, v33, v7, vcc
	v_cndmask_b32_e32 v6, v32, v6, vcc
	v_div_scale_f64 v[32:33], s[42:43], v[6:7], v[6:7], s[40:41]
	v_rcp_f64_e32 v[34:35], v[32:33]
	v_mov_b32_e32 v38, 0x3dd589d4
	v_mov_b32_e32 v39, 0x3e351fc7
	v_fmac_f64_e32 v[38:39], v[26:27], v[36:37]
	v_fma_f64 v[26:27], -v[32:33], v[34:35], 1.0
	v_fmac_f64_e32 v[34:35], v[34:35], v[26:27]
	v_fma_f64 v[26:27], -v[32:33], v[34:35], 1.0
	v_fmac_f64_e32 v[34:35], v[34:35], v[26:27]
	v_div_scale_f64 v[26:27], vcc, s[40:41], v[6:7], s[40:41]
	v_mul_f64 v[36:37], v[26:27], v[34:35]
	v_fma_f64 v[26:27], -v[32:33], v[36:37], v[26:27]
	v_add_f64 v[22:23], v[22:23], 1.0
	s_nop 0
	v_div_fmas_f64 v[26:27], v[26:27], v[34:35], v[36:37]
	v_div_fixup_f64 v[6:7], v[26:27], v[6:7], s[40:41]
	v_mul_f64 v[26:27], v[16:17], v[16:17]
	v_mul_f64 v[32:33], v[26:27], 0.5
	v_fmac_f64_e32 v[28:29], s[18:19], v[26:27]
	v_add_f64 v[34:35], -v[32:33], 1.0
	v_fma_f64 v[28:29], v[26:27], v[28:29], s[20:21]
	v_add_f64 v[36:37], -v[34:35], 1.0
	v_fma_f64 v[28:29], v[26:27], v[28:29], s[22:23]
	v_add_f64 v[32:33], v[36:37], -v[32:33]
	v_fma_f64 v[28:29], v[26:27], v[28:29], s[24:25]
	v_fmac_f64_e32 v[30:31], s[28:29], v[26:27]
	v_mul_f64 v[36:37], v[26:27], v[26:27]
	v_fma_f64 v[28:29], v[26:27], v[28:29], s[26:27]
	v_fma_f64 v[32:33], v[16:17], -v[18:19], v[32:33]
	v_fma_f64 v[30:31], v[26:27], v[30:31], s[30:31]
	v_fmac_f64_e32 v[32:33], v[36:37], v[28:29]
	v_fma_f64 v[30:31], v[26:27], v[30:31], s[34:35]
	v_add_f64 v[28:29], v[34:35], v[32:33]
	v_fma_f64 v[30:31], v[26:27], v[30:31], s[36:37]
	v_mul_f64 v[32:33], v[16:17], -v[26:27]
	v_mul_f64 v[34:35], v[18:19], 0.5
	v_fmac_f64_e32 v[34:35], v[32:33], v[30:31]
	v_fma_f64 v[18:19], v[26:27], v[34:35], -v[18:19]
	v_fmac_f64_e32 v[18:19], s[38:39], v[32:33]
	v_add_f64 v[16:17], v[16:17], -v[18:19]
	v_xor_b32_e32 v15, 0x80000000, v17
	v_and_b32_e32 v17, 1, v1
	v_cmp_eq_u32_e32 vcc, 0, v17
	v_lshlrev_b32_e32 v1, 30, v1
	s_nop 0
	v_cndmask_b32_e32 v26, v16, v28, vcc
	v_mul_f64 v[16:17], v[20:21], v[24:25]
	v_div_scale_f64 v[18:19], s[18:19], v[38:39], v[38:39], v[16:17]
	v_rcp_f64_e32 v[20:21], v[18:19]
	v_cndmask_b32_e64 v24, 0, v26, s[0:1]
	v_cndmask_b32_e32 v15, v15, v29, vcc
	v_bitop3_b32 v1, v15, v1, s33 bitop3:0x78
	v_fma_f64 v[26:27], -v[18:19], v[20:21], 1.0
	v_fmac_f64_e32 v[20:21], v[20:21], v[26:27]
	v_fma_f64 v[26:27], -v[18:19], v[20:21], 1.0
	v_fmac_f64_e32 v[20:21], v[20:21], v[26:27]
	v_div_scale_f64 v[26:27], vcc, v[16:17], v[38:39], v[16:17]
	v_mul_f64 v[28:29], v[26:27], v[20:21]
	v_fma_f64 v[18:19], -v[18:19], v[28:29], v[26:27]
	v_cndmask_b32_e64 v25, v42, v1, s[0:1]
	s_nop 0
	v_div_fmas_f64 v[18:19], v[18:19], v[20:21], v[28:29]
	v_div_fixup_f64 v[16:17], v[18:19], v[38:39], v[16:17]
	v_mul_f64 v[16:17], v[16:17], v[24:25]
	v_fma_f64 v[10:11], v[22:23], v[10:11], -v[16:17]
	v_mul_f64 v[10:11], v[6:7], v[10:11]
.LBB5_67:
	s_or_b64 exec, exec, s[16:17]
.LBB5_68:
	s_or_b64 exec, exec, s[14:15]
.LBB5_69:
	s_or_b64 exec, exec, s[12:13]
	v_cmp_neq_f64_e64 s[0:1], |v[8:9]|, s[10:11]
	s_and_saveexec_b64 s[10:11], s[0:1]
	s_cbranch_execz .LBB5_91
; %bb.70:
	s_mov_b32 s0, 0x872b020c
	s_mov_b32 s1, 0x4059f916
	v_cmp_nlt_f64_e32 vcc, s[0:1], v[8:9]
	v_mov_b64_e32 v[12:13], 0
	s_and_saveexec_b64 s[12:13], vcc
	s_cbranch_execz .LBB5_90
; %bb.71:
	s_mov_b32 s1, 0xc000b851
	s_mov_b32 s0, 0xeb851eb8
	v_cmp_ngt_f64_e32 vcc, s[0:1], v[8:9]
	s_and_saveexec_b64 s[14:15], vcc
	s_xor_b64 s[14:15], exec, s[14:15]
	s_cbranch_execz .LBB5_79
; %bb.72:
	s_mov_b32 s1, 0x4000b851
	v_cmp_nle_f64_e64 s[16:17], s[0:1], v[8:9]
	v_cmp_le_f64_e32 vcc, s[0:1], v[8:9]
	v_mov_b64_e32 v[12:13], 0
	s_mov_b64 s[0:1], s[16:17]
	s_and_saveexec_b64 s[18:19], vcc
	s_cbranch_execz .LBB5_74
; %bb.73:
	s_mov_b32 s0, 0
	s_brev_b32 s1, 8
	v_mov_b32_e32 v1, 0x100
	v_cmp_gt_f64_e32 vcc, s[0:1], v[8:9]
	v_mov_b32_e32 v15, 0xffffff80
	v_mov_b32_e32 v28, 0x260
	v_cndmask_b32_e32 v6, 0, v1, vcc
	v_ldexp_f64 v[6:7], v[8:9], v6
	v_rsq_f64_e32 v[12:13], v[6:7]
	v_add_f64 v[16:17], v[8:9], v[8:9]
	s_mov_b32 s20, 0
	s_mov_b32 s21, 0x40080000
	v_mul_f64 v[18:19], v[6:7], v[12:13]
	v_mul_f64 v[12:13], v[12:13], 0.5
	v_fma_f64 v[20:21], -v[12:13], v[18:19], 0.5
	v_fmac_f64_e32 v[18:19], v[18:19], v[20:21]
	v_fma_f64 v[22:23], -v[18:19], v[18:19], v[6:7]
	v_fmac_f64_e32 v[12:13], v[12:13], v[20:21]
	v_fmac_f64_e32 v[18:19], v[22:23], v[12:13]
	v_fma_f64 v[20:21], -v[18:19], v[18:19], v[6:7]
	v_fmac_f64_e32 v[18:19], v[20:21], v[12:13]
	v_cndmask_b32_e32 v12, 0, v15, vcc
	v_ldexp_f64 v[12:13], v[18:19], v12
	v_cmp_class_f64_e32 vcc, v[6:7], v28
	s_nop 1
	v_cndmask_b32_e32 v7, v13, v7, vcc
	v_cndmask_b32_e32 v6, v12, v6, vcc
	v_mul_f64 v[12:13], v[16:17], v[6:7]
	v_div_scale_f64 v[16:17], s[22:23], s[20:21], s[20:21], v[12:13]
	v_rcp_f64_e32 v[18:19], v[16:17]
	s_nop 0
	v_fma_f64 v[20:21], -v[16:17], v[18:19], 1.0
	v_fmac_f64_e32 v[18:19], v[18:19], v[20:21]
	v_fma_f64 v[20:21], -v[16:17], v[18:19], 1.0
	v_fmac_f64_e32 v[18:19], v[18:19], v[20:21]
	v_div_scale_f64 v[20:21], vcc, v[12:13], s[20:21], v[12:13]
	v_mul_f64 v[22:23], v[20:21], v[18:19]
	v_fma_f64 v[16:17], -v[16:17], v[22:23], v[20:21]
	s_nop 1
	v_div_fmas_f64 v[16:17], v[16:17], v[18:19], v[22:23]
	v_div_fixup_f64 v[12:13], v[16:17], s[20:21], v[12:13]
	v_div_scale_f64 v[16:17], s[20:21], v[12:13], v[12:13], 1.0
	v_rcp_f64_e32 v[18:19], v[16:17]
	s_nop 0
	v_fma_f64 v[20:21], -v[16:17], v[18:19], 1.0
	v_fmac_f64_e32 v[18:19], v[18:19], v[20:21]
	v_fma_f64 v[20:21], -v[16:17], v[18:19], 1.0
	v_fmac_f64_e32 v[18:19], v[18:19], v[20:21]
	v_div_scale_f64 v[20:21], vcc, 1.0, v[12:13], 1.0
	v_mul_f64 v[22:23], v[20:21], v[18:19]
	v_fma_f64 v[16:17], -v[16:17], v[22:23], v[20:21]
	v_mov_b32_e32 v20, 0x871a9067
	s_nop 0
	v_div_fmas_f64 v[16:17], v[16:17], v[18:19], v[22:23]
	v_div_fixup_f64 v[16:17], v[16:17], v[12:13], 1.0
	v_mov_b32_e32 v18, 0x2537b658
	v_mov_b32_e32 v19, 0x3fd62dae
	v_fmac_f64_e32 v[18:19], 0, v[16:17]
	v_mov_b32_e32 v21, 0x402803e3
	v_fmac_f64_e32 v[20:21], v[16:17], v[18:19]
	v_mov_b32_e32 v18, 0xde2e1e3
	v_mov_b32_e32 v19, 0x405311e5
	v_fmac_f64_e32 v[18:19], v[16:17], v[20:21]
	v_mov_b32_e32 v20, 0xee40073c
	;; [unrolled: 3-line block ×12, first 2 shown]
	v_mov_b32_e32 v21, 0x402c311b
	v_fmac_f64_e32 v[20:21], v[16:17], v[22:23]
	v_fma_f64 v[20:21], v[16:17], v[20:21], 1.0
	v_fma_f64 v[16:17], v[16:17], v[18:19], 1.0
	v_div_scale_f64 v[18:19], s[20:21], v[20:21], v[20:21], v[16:17]
	v_rcp_f64_e32 v[22:23], v[18:19]
	s_nop 0
	v_fma_f64 v[24:25], -v[18:19], v[22:23], 1.0
	v_fmac_f64_e32 v[22:23], v[22:23], v[24:25]
	v_fma_f64 v[24:25], -v[18:19], v[22:23], 1.0
	v_fmac_f64_e32 v[22:23], v[22:23], v[24:25]
	v_div_scale_f64 v[24:25], vcc, v[16:17], v[20:21], v[16:17]
	v_mul_f64 v[26:27], v[24:25], v[22:23]
	v_fma_f64 v[18:19], -v[18:19], v[26:27], v[24:25]
	s_nop 1
	v_div_fmas_f64 v[18:19], v[18:19], v[22:23], v[26:27]
	v_cmp_gt_f64_e32 vcc, s[0:1], v[6:7]
	v_div_fixup_f64 v[16:17], v[18:19], v[20:21], v[16:17]
	s_mov_b32 s0, 0x50429b6d
	v_cndmask_b32_e32 v1, 0, v1, vcc
	v_ldexp_f64 v[6:7], v[6:7], v1
	v_rsq_f64_e32 v[18:19], v[6:7]
	s_mov_b32 s1, 0x3fe20dd7
	v_mul_f64 v[16:17], v[16:17], s[0:1]
	v_cndmask_b32_e32 v1, 0, v15, vcc
	v_mul_f64 v[20:21], v[6:7], v[18:19]
	v_mul_f64 v[18:19], v[18:19], 0.5
	v_fma_f64 v[22:23], -v[18:19], v[20:21], 0.5
	v_fmac_f64_e32 v[20:21], v[20:21], v[22:23]
	v_fma_f64 v[24:25], -v[20:21], v[20:21], v[6:7]
	v_fmac_f64_e32 v[18:19], v[18:19], v[22:23]
	v_fmac_f64_e32 v[20:21], v[24:25], v[18:19]
	v_fma_f64 v[22:23], -v[20:21], v[20:21], v[6:7]
	v_fmac_f64_e32 v[20:21], v[22:23], v[18:19]
	s_mov_b32 s0, 0x652b82fe
	v_ldexp_f64 v[18:19], v[20:21], v1
	v_cmp_class_f64_e32 vcc, v[6:7], v28
	s_mov_b32 s1, 0x3ff71547
	v_mov_b32_e32 v22, 0xfca7ab0c
	v_cndmask_b32_e32 v7, v19, v7, vcc
	v_cndmask_b32_e32 v6, v18, v6, vcc
	v_mul_f64 v[18:19], v[12:13], s[0:1]
	s_mov_b32 s0, 0xfefa39ef
	v_rndne_f64_e32 v[18:19], v[18:19]
	s_mov_b32 s1, 0xbfe62e42
	v_fma_f64 v[20:21], s[0:1], v[18:19], v[12:13]
	s_mov_b32 s0, 0x3b39803f
	s_mov_b32 s1, 0xbc7abc9e
	v_fmac_f64_e32 v[20:21], s[0:1], v[18:19]
	s_mov_b32 s0, 0x6a5dcb37
	v_mov_b32_e32 v23, 0x3e928af3
	s_mov_b32 s1, 0x3e5ade15
	v_fmac_f64_e32 v[22:23], s[0:1], v[20:21]
	v_mov_b32_e32 v24, 0x623fde64
	v_mov_b32_e32 v25, 0x3ec71dee
	v_fmac_f64_e32 v[24:25], v[20:21], v[22:23]
	v_mov_b32_e32 v22, 0x7c89e6b0
	v_mov_b32_e32 v23, 0x3efa0199
	;; [unrolled: 3-line block ×8, first 2 shown]
	s_mov_b32 s0, 0
	v_fmac_f64_e32 v[22:23], v[20:21], v[24:25]
	s_mov_b32 s1, 0x40900000
	v_fma_f64 v[22:23], v[20:21], v[22:23], 1.0
	v_cmp_nlt_f64_e32 vcc, s[0:1], v[12:13]
	s_mov_b32 s0, 0
	v_fma_f64 v[20:21], v[20:21], v[22:23], 1.0
	v_cvt_i32_f64_e32 v1, v[18:19]
	s_mov_b32 s1, 0xc090cc00
	v_ldexp_f64 v[18:19], v[20:21], v1
	v_mov_b32_e32 v1, 0x7ff00000
	v_cmp_ngt_f64_e64 s[0:1], s[0:1], v[12:13]
	v_cndmask_b32_e32 v1, v1, v19, vcc
	s_and_b64 vcc, s[0:1], vcc
	v_add_f64 v[6:7], v[6:7], v[6:7]
	v_cndmask_b32_e64 v13, 0, v1, s[0:1]
	v_cndmask_b32_e32 v12, 0, v18, vcc
	v_mul_f64 v[6:7], v[6:7], v[12:13]
	v_div_scale_f64 v[12:13], s[0:1], v[6:7], v[6:7], v[16:17]
	v_rcp_f64_e32 v[18:19], v[12:13]
	s_mov_b32 s0, 0xfd0a823a
	s_mov_b32 s1, 0x4020a402
	v_fma_f64 v[20:21], -v[12:13], v[18:19], 1.0
	v_fmac_f64_e32 v[18:19], v[18:19], v[20:21]
	v_fma_f64 v[20:21], -v[12:13], v[18:19], 1.0
	v_fmac_f64_e32 v[18:19], v[18:19], v[20:21]
	v_div_scale_f64 v[20:21], vcc, v[16:17], v[6:7], v[16:17]
	v_mul_f64 v[22:23], v[20:21], v[18:19]
	v_fma_f64 v[12:13], -v[12:13], v[22:23], v[20:21]
	s_nop 1
	v_div_fmas_f64 v[12:13], v[12:13], v[18:19], v[22:23]
	v_cmp_nlt_f64_e32 vcc, s[0:1], v[8:9]
	s_andn2_b64 s[0:1], s[16:17], exec
	s_and_b64 s[20:21], vcc, exec
	v_div_fixup_f64 v[12:13], v[12:13], v[6:7], v[16:17]
	s_or_b64 s[0:1], s[0:1], s[20:21]
.LBB5_74:
	s_or_b64 exec, exec, s[18:19]
	s_and_saveexec_b64 s[18:19], s[0:1]
	s_cbranch_execz .LBB5_78
; %bb.75:
	v_mul_f64 v[6:7], v[8:9], v[8:9]
	s_mov_b32 s22, 0
	v_mul_f64 v[16:17], v[8:9], v[6:7]
	v_mov_b64_e32 v[22:23], 1.0
	s_mov_b64 s[20:21], 0
	v_mov_b64_e32 v[20:21], 1.0
	s_mov_b32 s23, 0x3cb00000
	v_mov_b64_e32 v[18:19], v[8:9]
	v_mov_b64_e32 v[6:7], 1.0
.LBB5_76:                               ; =>This Inner Loop Header: Depth=1
	v_mul_f64 v[22:23], v[16:17], v[22:23]
	v_add_f64 v[24:25], v[20:21], 1.0
	v_mul_f64 v[8:9], v[16:17], v[8:9]
	v_div_scale_f64 v[26:27], s[0:1], v[24:25], v[24:25], v[22:23]
	v_add_f64 v[30:31], v[24:25], 1.0
	v_rcp_f64_e32 v[32:33], v[26:27]
	v_div_scale_f64 v[34:35], s[0:1], v[30:31], v[30:31], v[8:9]
	v_rcp_f64_e32 v[38:39], v[34:35]
	v_fma_f64 v[40:41], -v[26:27], v[32:33], 1.0
	v_fmac_f64_e32 v[32:33], v[32:33], v[40:41]
	v_fma_f64 v[42:43], -v[26:27], v[32:33], 1.0
	v_fma_f64 v[40:41], -v[34:35], v[38:39], 1.0
	v_fmac_f64_e32 v[38:39], v[38:39], v[40:41]
	v_div_scale_f64 v[28:29], vcc, v[22:23], v[24:25], v[22:23]
	v_fmac_f64_e32 v[32:33], v[32:33], v[42:43]
	v_fma_f64 v[40:41], -v[34:35], v[38:39], 1.0
	v_div_scale_f64 v[36:37], s[0:1], v[8:9], v[30:31], v[8:9]
	v_mul_f64 v[42:43], v[28:29], v[32:33]
	v_fmac_f64_e32 v[38:39], v[38:39], v[40:41]
	v_fma_f64 v[26:27], -v[26:27], v[42:43], v[28:29]
	v_mul_f64 v[28:29], v[36:37], v[38:39]
	v_div_fmas_f64 v[26:27], v[26:27], v[32:33], v[42:43]
	v_fma_f64 v[32:33], -v[34:35], v[28:29], v[36:37]
	s_mov_b64 vcc, s[0:1]
	v_div_fixup_f64 v[22:23], v[26:27], v[24:25], v[22:23]
	v_div_fmas_f64 v[24:25], v[32:33], v[38:39], v[28:29]
	v_div_fixup_f64 v[8:9], v[24:25], v[30:31], v[8:9]
	v_div_scale_f64 v[24:25], s[0:1], v[30:31], v[30:31], v[22:23]
	v_add_f64 v[20:21], v[30:31], 1.0
	v_rcp_f64_e32 v[28:29], v[24:25]
	v_div_scale_f64 v[32:33], s[0:1], v[20:21], v[20:21], v[8:9]
	v_rcp_f64_e32 v[36:37], v[32:33]
	v_fma_f64 v[38:39], -v[24:25], v[28:29], 1.0
	v_fmac_f64_e32 v[28:29], v[28:29], v[38:39]
	v_fma_f64 v[40:41], -v[24:25], v[28:29], 1.0
	v_fma_f64 v[38:39], -v[32:33], v[36:37], 1.0
	v_div_scale_f64 v[26:27], vcc, v[22:23], v[30:31], v[22:23]
	v_fmac_f64_e32 v[36:37], v[36:37], v[38:39]
	v_fmac_f64_e32 v[28:29], v[28:29], v[40:41]
	v_fma_f64 v[38:39], -v[32:33], v[36:37], 1.0
	v_mul_f64 v[40:41], v[26:27], v[28:29]
	v_div_scale_f64 v[34:35], s[0:1], v[8:9], v[20:21], v[8:9]
	v_fmac_f64_e32 v[36:37], v[36:37], v[38:39]
	v_fma_f64 v[24:25], -v[24:25], v[40:41], v[26:27]
	v_mul_f64 v[26:27], v[34:35], v[36:37]
	v_div_fmas_f64 v[24:25], v[24:25], v[28:29], v[40:41]
	v_fma_f64 v[28:29], -v[32:33], v[26:27], v[34:35]
	v_div_fixup_f64 v[22:23], v[24:25], v[30:31], v[22:23]
	s_mov_b64 vcc, s[0:1]
	v_div_fmas_f64 v[24:25], v[28:29], v[36:37], v[26:27]
	v_add_f64 v[6:7], v[6:7], v[22:23]
	v_div_fixup_f64 v[8:9], v[24:25], v[20:21], v[8:9]
	v_div_scale_f64 v[24:25], s[0:1], v[6:7], v[6:7], v[22:23]
	v_rcp_f64_e32 v[26:27], v[24:25]
	v_div_scale_f64 v[28:29], vcc, v[22:23], v[6:7], v[22:23]
	v_add_f64 v[18:19], v[18:19], v[8:9]
	v_fma_f64 v[30:31], -v[24:25], v[26:27], 1.0
	v_fmac_f64_e32 v[26:27], v[26:27], v[30:31]
	v_fma_f64 v[30:31], -v[24:25], v[26:27], 1.0
	v_fmac_f64_e32 v[26:27], v[26:27], v[30:31]
	v_mul_f64 v[30:31], v[28:29], v[26:27]
	v_fma_f64 v[24:25], -v[24:25], v[30:31], v[28:29]
	v_div_fmas_f64 v[24:25], v[24:25], v[26:27], v[30:31]
	v_div_fixup_f64 v[24:25], v[24:25], v[6:7], v[22:23]
	v_cmp_ngt_f64_e64 s[0:1], |v[24:25]|, s[22:23]
	s_or_b64 s[20:21], s[0:1], s[20:21]
	s_andn2_b64 exec, exec, s[20:21]
	s_cbranch_execnz .LBB5_76
; %bb.77:
	s_or_b64 exec, exec, s[20:21]
	s_mov_b32 s0, 0x42b70f8b
	s_mov_b32 s1, 0xbfd0907f
	v_mul_f64 v[8:9], v[18:19], s[0:1]
	s_mov_b32 s0, 0x962715b8
	s_mov_b32 s1, 0x3fd6b8c7
	v_fmac_f64_e32 v[8:9], s[0:1], v[6:7]
	v_cndmask_b32_e64 v13, v13, v9, s[16:17]
	v_cndmask_b32_e64 v12, v12, v8, s[16:17]
.LBB5_78:
	s_or_b64 exec, exec, s[18:19]
                                        ; implicit-def: $vgpr8_vgpr9
.LBB5_79:
	s_andn2_saveexec_b64 s[14:15], s[14:15]
	s_cbranch_execz .LBB5_89
; %bb.80:
	s_mov_b32 s0, 0
	s_brev_b32 s1, 9
	v_mov_b32_e32 v1, 0x100
	v_cmp_lt_f64_e32 vcc, s[0:1], v[8:9]
	s_mov_b32 s16, 0
	s_mov_b32 s17, 0x40080000
	v_cndmask_b32_e32 v1, 0, v1, vcc
	v_ldexp_f64 v[6:7], -v[8:9], v1
	v_rsq_f64_e32 v[12:13], v[6:7]
	v_mov_b32_e32 v1, 0xffffff80
	v_cndmask_b32_e32 v1, 0, v1, vcc
	v_mul_f64 v[8:9], v[8:9], -2.0
	v_mul_f64 v[16:17], v[6:7], v[12:13]
	v_mul_f64 v[12:13], v[12:13], 0.5
	v_fma_f64 v[18:19], -v[12:13], v[16:17], 0.5
	v_fmac_f64_e32 v[16:17], v[16:17], v[18:19]
	v_fma_f64 v[20:21], -v[16:17], v[16:17], v[6:7]
	v_fmac_f64_e32 v[12:13], v[12:13], v[18:19]
	v_fmac_f64_e32 v[16:17], v[20:21], v[12:13]
	v_fma_f64 v[18:19], -v[16:17], v[16:17], v[6:7]
	v_fmac_f64_e32 v[16:17], v[18:19], v[12:13]
	v_ldexp_f64 v[12:13], v[16:17], v1
	v_mov_b32_e32 v1, 0x260
	v_cmp_class_f64_e32 vcc, v[6:7], v1
	s_mov_b32 s19, 0x3fe921fb
	s_mov_b32 s18, 0x54442d18
	v_cndmask_b32_e32 v7, v13, v7, vcc
	v_cndmask_b32_e32 v6, v12, v6, vcc
	v_mul_f64 v[8:9], v[8:9], v[6:7]
	v_div_scale_f64 v[12:13], s[0:1], s[16:17], s[16:17], v[8:9]
	v_rcp_f64_e32 v[16:17], v[12:13]
	s_movk_i32 s0, 0xff80
                                        ; implicit-def: $vgpr15
                                        ; implicit-def: $vgpr22_vgpr23
	v_fma_f64 v[18:19], -v[12:13], v[16:17], 1.0
	v_fmac_f64_e32 v[16:17], v[16:17], v[18:19]
	v_fma_f64 v[18:19], -v[12:13], v[16:17], 1.0
	v_fmac_f64_e32 v[16:17], v[16:17], v[18:19]
	v_div_scale_f64 v[18:19], vcc, v[8:9], s[16:17], v[8:9]
	v_mul_f64 v[20:21], v[18:19], v[16:17]
	v_fma_f64 v[12:13], -v[12:13], v[20:21], v[18:19]
	s_nop 1
	v_div_fmas_f64 v[12:13], v[12:13], v[16:17], v[20:21]
	v_div_fixup_f64 v[18:19], v[12:13], s[16:17], v[8:9]
	s_mov_b32 s16, 0
	v_add_f64 v[8:9], v[18:19], s[18:19]
	s_mov_b32 s17, 0x41d00000
	v_cmp_nlt_f64_e64 s[16:17], |v[8:9]|, s[16:17]
	v_trig_preop_f64 v[28:29], |v[8:9]|, 0
	v_trig_preop_f64 v[26:27], |v[8:9]|, 1
	;; [unrolled: 1-line block ×3, first 2 shown]
                                        ; implicit-def: $vgpr20_vgpr21
	s_and_saveexec_b64 s[20:21], s[16:17]
	s_xor_b64 s[20:21], exec, s[20:21]
	s_cbranch_execz .LBB5_82
; %bb.81:
	s_mov_b32 s22, 0
	s_mov_b32 s23, 0x7b000000
	v_and_b32_e32 v1, 0x7fffffff, v9
	v_ldexp_f64 v[12:13], |v[8:9]|, s0
	v_cmp_ge_f64_e64 vcc, |v[8:9]|, s[22:23]
	s_mov_b32 s0, 0
	s_mov_b32 s1, 0x7ff00000
	v_cndmask_b32_e32 v13, v1, v13, vcc
	v_cndmask_b32_e32 v12, v8, v12, vcc
	v_mul_f64 v[20:21], v[28:29], v[12:13]
	v_mul_f64 v[16:17], v[26:27], v[12:13]
	v_fma_f64 v[22:23], v[28:29], v[12:13], -v[20:21]
	v_add_f64 v[30:31], v[16:17], v[22:23]
	v_add_f64 v[38:39], v[30:31], -v[16:17]
	v_add_f64 v[22:23], v[22:23], -v[38:39]
	v_add_f64 v[38:39], v[30:31], -v[38:39]
	v_add_f64 v[38:39], v[16:17], -v[38:39]
	v_add_f64 v[22:23], v[22:23], v[38:39]
	v_fma_f64 v[16:17], v[26:27], v[12:13], -v[16:17]
	v_mul_f64 v[38:39], v[24:25], v[12:13]
	v_add_f64 v[40:41], v[38:39], v[16:17]
	v_add_f64 v[32:33], v[20:21], v[30:31]
	;; [unrolled: 1-line block ×3, first 2 shown]
	v_ldexp_f64 v[34:35], v[32:33], -2
	v_add_f64 v[20:21], v[32:33], -v[20:21]
	v_add_f64 v[32:33], v[42:43], -v[40:41]
	;; [unrolled: 1-line block ×5, first 2 shown]
	v_add_f64 v[22:23], v[22:23], v[32:33]
	v_add_f64 v[32:33], v[40:41], -v[38:39]
	v_add_f64 v[16:17], v[16:17], -v[32:33]
	;; [unrolled: 1-line block ×5, first 2 shown]
	v_add_f64 v[16:17], v[16:17], v[32:33]
	v_fract_f64_e32 v[36:37], v[34:35]
	v_add_f64 v[30:31], v[20:21], v[42:43]
	v_add_f64 v[16:17], v[16:17], v[22:23]
	v_fma_f64 v[12:13], v[24:25], v[12:13], -v[38:39]
	v_add_f64 v[20:21], v[30:31], -v[20:21]
	v_add_f64 v[12:13], v[12:13], v[16:17]
	v_ldexp_f64 v[16:17], v[36:37], 2
	v_cmp_neq_f64_e64 vcc, |v[34:35]|, s[0:1]
	v_add_f64 v[20:21], v[42:43], -v[20:21]
	v_add_f64 v[12:13], v[20:21], v[12:13]
	v_cndmask_b32_e32 v17, 0, v17, vcc
	v_cndmask_b32_e32 v16, 0, v16, vcc
	v_add_f64 v[20:21], v[30:31], v[16:17]
	v_mov_b32_e32 v1, 0x40100000
	v_cmp_gt_f64_e32 vcc, 0, v[20:21]
	v_mov_b32_e32 v20, 0
	s_mov_b32 s19, 0x3ff921fb
	v_cndmask_b32_e32 v21, 0, v1, vcc
	v_add_f64 v[16:17], v[16:17], v[20:21]
	v_add_f64 v[22:23], v[30:31], v[16:17]
	v_cvt_i32_f64_e32 v1, v[22:23]
	v_cvt_f64_i32_e32 v[22:23], v1
	v_add_f64 v[16:17], v[16:17], -v[22:23]
	v_add_f64 v[22:23], v[30:31], v[16:17]
	v_cmp_le_f64_e32 vcc, 0.5, v[22:23]
	v_add_f64 v[16:17], v[22:23], -v[16:17]
	v_add_f64 v[16:17], v[30:31], -v[16:17]
	v_addc_co_u32_e64 v15, s[0:1], 0, v1, vcc
	v_mov_b32_e32 v1, 0x3ff00000
	v_cndmask_b32_e32 v21, 0, v1, vcc
	v_add_f64 v[12:13], v[12:13], v[16:17]
	v_add_f64 v[16:17], v[22:23], -v[20:21]
	v_add_f64 v[20:21], v[16:17], v[12:13]
	v_add_f64 v[16:17], v[20:21], -v[16:17]
	v_add_f64 v[12:13], v[12:13], -v[16:17]
	v_mul_f64 v[16:17], v[20:21], s[18:19]
	s_mov_b32 s0, 0x33145c07
	v_fma_f64 v[22:23], v[20:21], s[18:19], -v[16:17]
	s_mov_b32 s1, 0x3c91a626
	v_fmac_f64_e32 v[22:23], s[0:1], v[20:21]
	v_fmac_f64_e32 v[22:23], s[18:19], v[12:13]
	v_add_f64 v[20:21], v[16:17], v[22:23]
	v_add_f64 v[12:13], v[20:21], -v[16:17]
	v_add_f64 v[22:23], v[22:23], -v[12:13]
	s_andn2_saveexec_b64 s[0:1], s[20:21]
	s_cbranch_execz .LBB5_84
	s_branch .LBB5_83
.LBB5_82:
	s_andn2_saveexec_b64 s[0:1], s[20:21]
	s_cbranch_execz .LBB5_84
.LBB5_83:
	s_mov_b32 s18, 0x6dc9c883
	s_mov_b32 s19, 0x3fe45f30
	v_mul_f64 v[12:13], |v[8:9]|, s[18:19]
	s_mov_b32 s18, 0x54442d18
	v_rndne_f64_e32 v[12:13], v[12:13]
	s_mov_b32 s19, 0xbff921fb
	v_fma_f64 v[16:17], v[12:13], s[18:19], |v[8:9]|
	s_mov_b32 s19, 0xbc91a626
	s_mov_b32 s18, 0x33145c00
	v_mul_f64 v[20:21], v[12:13], s[18:19]
	v_add_f64 v[32:33], v[16:17], v[20:21]
	v_fma_f64 v[22:23], s[18:19], v[12:13], v[16:17]
	s_mov_b32 s19, 0x3c91a626
	v_add_f64 v[16:17], v[16:17], -v[32:33]
	v_fma_f64 v[30:31], s[18:19], v[12:13], v[20:21]
	v_add_f64 v[16:17], v[16:17], v[20:21]
	v_add_f64 v[20:21], v[32:33], -v[22:23]
	v_add_f64 v[16:17], v[20:21], v[16:17]
	s_mov_b32 s18, 0x252049c0
	v_add_f64 v[16:17], v[16:17], -v[30:31]
	s_mov_b32 s19, 0xb97b839a
	v_fmac_f64_e32 v[16:17], s[18:19], v[12:13]
	v_add_f64 v[20:21], v[22:23], v[16:17]
	v_add_f64 v[22:23], v[20:21], -v[22:23]
	v_add_f64 v[22:23], v[16:17], -v[22:23]
	v_cvt_i32_f64_e32 v15, v[12:13]
.LBB5_84:
	s_or_b64 exec, exec, s[0:1]
                                        ; implicit-def: $vgpr1
                                        ; implicit-def: $vgpr12_vgpr13
                                        ; implicit-def: $vgpr16_vgpr17
	s_and_saveexec_b64 s[0:1], s[16:17]
	s_xor_b64 s[16:17], exec, s[0:1]
	s_cbranch_execz .LBB5_86
; %bb.85:
	s_mov_b32 s0, 0
	s_mov_b32 s1, 0x7b000000
	s_movk_i32 s18, 0xff80
	v_and_b32_e32 v1, 0x7fffffff, v9
	v_ldexp_f64 v[12:13], |v[8:9]|, s18
	v_cmp_ge_f64_e64 vcc, |v[8:9]|, s[0:1]
	s_mov_b32 s0, 0
	s_mov_b32 s1, 0x7ff00000
	v_cndmask_b32_e32 v13, v1, v13, vcc
	v_cndmask_b32_e32 v12, v8, v12, vcc
	v_mul_f64 v[30:31], v[28:29], v[12:13]
	v_mul_f64 v[16:17], v[26:27], v[12:13]
	v_fma_f64 v[28:29], v[28:29], v[12:13], -v[30:31]
	v_add_f64 v[32:33], v[16:17], v[28:29]
	v_add_f64 v[40:41], v[32:33], -v[16:17]
	v_add_f64 v[28:29], v[28:29], -v[40:41]
	;; [unrolled: 1-line block ×4, first 2 shown]
	v_fma_f64 v[16:17], v[26:27], v[12:13], -v[16:17]
	v_mul_f64 v[26:27], v[24:25], v[12:13]
	v_add_f64 v[28:29], v[28:29], v[40:41]
	v_add_f64 v[40:41], v[26:27], v[16:17]
	;; [unrolled: 1-line block ×4, first 2 shown]
	v_ldexp_f64 v[36:37], v[34:35], -2
	v_add_f64 v[30:31], v[34:35], -v[30:31]
	v_add_f64 v[34:35], v[42:43], -v[40:41]
	;; [unrolled: 1-line block ×5, first 2 shown]
	v_add_f64 v[28:29], v[28:29], v[34:35]
	v_add_f64 v[34:35], v[40:41], -v[26:27]
	v_add_f64 v[16:17], v[16:17], -v[34:35]
	;; [unrolled: 1-line block ×4, first 2 shown]
	v_add_f64 v[16:17], v[16:17], v[34:35]
	v_fract_f64_e32 v[38:39], v[36:37]
	v_add_f64 v[16:17], v[16:17], v[28:29]
	v_fma_f64 v[12:13], v[24:25], v[12:13], -v[26:27]
	v_add_f64 v[30:31], v[32:33], -v[30:31]
	v_add_f64 v[12:13], v[12:13], v[16:17]
	v_ldexp_f64 v[16:17], v[38:39], 2
	v_cmp_neq_f64_e64 vcc, |v[36:37]|, s[0:1]
	v_add_f64 v[32:33], v[30:31], v[42:43]
	v_mov_b32_e32 v1, 0x40100000
	v_cndmask_b32_e32 v17, 0, v17, vcc
	v_cndmask_b32_e32 v16, 0, v16, vcc
	v_add_f64 v[24:25], v[32:33], v[16:17]
	v_cmp_gt_f64_e32 vcc, 0, v[24:25]
	v_mov_b32_e32 v24, 0
	v_add_f64 v[30:31], v[32:33], -v[30:31]
	v_cndmask_b32_e32 v25, 0, v1, vcc
	v_add_f64 v[16:17], v[16:17], v[24:25]
	v_add_f64 v[26:27], v[32:33], v[16:17]
	v_cvt_i32_f64_e32 v1, v[26:27]
	v_cvt_f64_i32_e32 v[26:27], v1
	v_add_f64 v[16:17], v[16:17], -v[26:27]
	v_add_f64 v[26:27], v[32:33], v[16:17]
	v_add_f64 v[30:31], v[42:43], -v[30:31]
	v_add_f64 v[16:17], v[26:27], -v[16:17]
	v_add_f64 v[12:13], v[30:31], v[12:13]
	v_add_f64 v[16:17], v[32:33], -v[16:17]
	v_add_f64 v[12:13], v[12:13], v[16:17]
	v_cmp_le_f64_e32 vcc, 0.5, v[26:27]
	v_mov_b32_e32 v16, 0x3ff00000
	s_mov_b32 s18, 0x33145c07
	v_cndmask_b32_e32 v25, 0, v16, vcc
	v_addc_co_u32_e64 v1, s[0:1], 0, v1, vcc
	v_add_f64 v[16:17], v[26:27], -v[24:25]
	v_add_f64 v[24:25], v[16:17], v[12:13]
	s_mov_b32 s0, 0x54442d18
	v_add_f64 v[16:17], v[24:25], -v[16:17]
	s_mov_b32 s1, 0x3ff921fb
	v_add_f64 v[12:13], v[12:13], -v[16:17]
	v_mul_f64 v[16:17], v[24:25], s[0:1]
	v_fma_f64 v[26:27], v[24:25], s[0:1], -v[16:17]
	s_mov_b32 s19, 0x3c91a626
	v_fmac_f64_e32 v[26:27], s[18:19], v[24:25]
	v_fmac_f64_e32 v[26:27], s[0:1], v[12:13]
	v_add_f64 v[12:13], v[16:17], v[26:27]
	v_add_f64 v[16:17], v[12:13], -v[16:17]
	v_add_f64 v[16:17], v[26:27], -v[16:17]
	s_andn2_saveexec_b64 s[0:1], s[16:17]
	s_cbranch_execnz .LBB5_87
	s_branch .LBB5_88
.LBB5_86:
	s_andn2_saveexec_b64 s[0:1], s[16:17]
	s_cbranch_execz .LBB5_88
.LBB5_87:
	s_mov_b32 s16, 0x6dc9c883
	s_mov_b32 s17, 0x3fe45f30
	v_mul_f64 v[12:13], |v[8:9]|, s[16:17]
	s_mov_b32 s16, 0x54442d18
	v_rndne_f64_e32 v[24:25], v[12:13]
	s_mov_b32 s17, 0xbff921fb
	v_fma_f64 v[12:13], v[24:25], s[16:17], |v[8:9]|
	s_mov_b32 s17, 0xbc91a626
	s_mov_b32 s16, 0x33145c00
	v_mul_f64 v[26:27], v[24:25], s[16:17]
	v_add_f64 v[30:31], v[12:13], v[26:27]
	v_fma_f64 v[16:17], s[16:17], v[24:25], v[12:13]
	s_mov_b32 s17, 0x3c91a626
	v_add_f64 v[12:13], v[12:13], -v[30:31]
	v_fma_f64 v[28:29], s[16:17], v[24:25], v[26:27]
	v_add_f64 v[12:13], v[12:13], v[26:27]
	v_add_f64 v[26:27], v[30:31], -v[16:17]
	v_add_f64 v[12:13], v[26:27], v[12:13]
	s_mov_b32 s16, 0x252049c0
	v_add_f64 v[26:27], v[12:13], -v[28:29]
	s_mov_b32 s17, 0xb97b839a
	v_fmac_f64_e32 v[26:27], s[16:17], v[24:25]
	v_add_f64 v[12:13], v[16:17], v[26:27]
	v_add_f64 v[16:17], v[12:13], -v[16:17]
	v_add_f64 v[16:17], v[26:27], -v[16:17]
	v_cvt_i32_f64_e32 v1, v[24:25]
.LBB5_88:
	s_or_b64 exec, exec, s[0:1]
	v_div_scale_f64 v[24:25], s[0:1], v[18:19], v[18:19], 1.0
	v_rcp_f64_e32 v[26:27], v[24:25]
	v_div_scale_f64 v[28:29], vcc, 1.0, v[18:19], 1.0
	v_mov_b32_e32 v32, 0xb99518a7
	v_fma_f64 v[30:31], -v[24:25], v[26:27], 1.0
	v_fmac_f64_e32 v[26:27], v[26:27], v[30:31]
	v_fma_f64 v[30:31], -v[24:25], v[26:27], 1.0
	v_fmac_f64_e32 v[26:27], v[26:27], v[30:31]
	v_mul_f64 v[30:31], v[28:29], v[26:27]
	v_fma_f64 v[24:25], -v[24:25], v[30:31], v[28:29]
	v_div_fmas_f64 v[24:25], v[24:25], v[26:27], v[30:31]
	v_div_fixup_f64 v[18:19], v[24:25], v[18:19], 1.0
	v_mul_f64 v[24:25], v[18:19], v[18:19]
	v_mov_b32_e32 v26, 0xd50ae6fb
	v_mov_b32_e32 v27, 0xbfc0db6c
	v_fmac_f64_e32 v[26:27], 0, v[24:25]
	v_mov_b32_e32 v28, 0x98566852
	v_mov_b32_e32 v29, 0xbfe40bee
	v_fmac_f64_e32 v[28:29], v[24:25], v[26:27]
	;; [unrolled: 3-line block ×16, first 2 shown]
	v_mov_b32_e32 v33, 0x3e9e52b9
	v_mul_f64 v[34:35], v[20:21], v[20:21]
	v_fmac_f64_e32 v[32:33], v[24:25], v[30:31]
	v_mov_b32_e32 v30, 0xf68ea2d2
	v_mov_b32_e32 v31, 0xbe52041c
	v_mul_f64 v[26:27], v[34:35], 0.5
	v_fmac_f64_e32 v[30:31], v[24:25], v[28:29]
	v_add_f64 v[28:29], -v[26:27], 1.0
	s_mov_b32 s0, 0x9037ab78
	v_add_f64 v[36:37], -v[28:29], 1.0
	s_mov_b32 s1, 0x3e21eeb6
	s_mov_b32 s16, 0x46cc5e42
	v_add_f64 v[36:37], v[36:37], -v[26:27]
	s_mov_b32 s17, 0xbda907db
	v_mov_b64_e32 v[26:27], s[0:1]
	s_mov_b32 s18, 0xa17f65f6
	v_fma_f64 v[40:41], s[16:17], v[34:35], v[26:27]
	s_mov_b32 s19, 0xbe927e4f
	s_mov_b32 s20, 0x19f4ec90
	v_fma_f64 v[40:41], v[34:35], v[40:41], s[18:19]
	s_mov_b32 s21, 0x3efa01a0
	;; [unrolled: 3-line block ×4, first 2 shown]
	v_mul_f64 v[38:39], v[34:35], v[34:35]
	v_fma_f64 v[40:41], v[34:35], v[40:41], s[24:25]
	v_fma_f64 v[36:37], v[20:21], -v[22:23], v[36:37]
	s_mov_b32 s0, 0xb42fdfa7
	v_fmac_f64_e32 v[36:37], v[38:39], v[40:41]
	s_mov_b32 s1, 0xbe5ae600
	s_mov_b32 s26, 0xf9a43bb8
	v_add_f64 v[36:37], v[28:29], v[36:37]
	s_mov_b32 s27, 0x3de5e0b2
	v_mov_b64_e32 v[28:29], s[0:1]
	s_mov_b32 s28, 0x796cde01
	v_fma_f64 v[38:39], s[26:27], v[34:35], v[28:29]
	s_mov_b32 s29, 0x3ec71de3
	s_mov_b32 s30, 0x19e83e5c
	v_fma_f64 v[38:39], v[34:35], v[38:39], s[28:29]
	s_mov_b32 s31, 0xbf2a01a0
	;; [unrolled: 3-line block ×3, first 2 shown]
	v_fma_f64 v[38:39], v[34:35], v[38:39], s[34:35]
	v_mul_f64 v[40:41], v[20:21], -v[34:35]
	v_mul_f64 v[42:43], v[22:23], 0.5
	v_fmac_f64_e32 v[42:43], v[40:41], v[38:39]
	v_fma_f64 v[22:23], v[34:35], v[42:43], -v[22:23]
	s_mov_b32 s37, 0xbfc55555
	s_mov_b32 s36, s24
	v_fmac_f64_e32 v[22:23], s[36:37], v[40:41]
	v_add_f64 v[20:21], v[20:21], -v[22:23]
	v_and_b32_e32 v22, 1, v15
	v_cmp_eq_u32_e32 vcc, 0, v22
	v_lshlrev_b32_e32 v15, 30, v15
	v_xor_b32_e32 v15, v15, v9
	v_cndmask_b32_e32 v34, v36, v20, vcc
	v_cndmask_b32_e32 v20, v37, v21, vcc
	s_brev_b32 s33, 1
	v_bitop3_b32 v15, v20, v15, s33 bitop3:0x78
	v_mul_f64 v[20:21], v[24:25], v[30:31]
	v_div_scale_f64 v[22:23], s[0:1], v[32:33], v[32:33], v[20:21]
	v_rcp_f64_e32 v[30:31], v[22:23]
	s_movk_i32 s38, 0x1f8
	v_cmp_class_f64_e64 s[0:1], v[8:9], s38
	s_mov_b32 s38, 0
	v_mov_b32_e32 v40, 0x7ff80000
	v_cndmask_b32_e64 v8, 0, v34, s[0:1]
	v_fma_f64 v[34:35], -v[22:23], v[30:31], 1.0
	v_fmac_f64_e32 v[30:31], v[30:31], v[34:35]
	v_fma_f64 v[34:35], -v[22:23], v[30:31], 1.0
	v_fmac_f64_e32 v[30:31], v[30:31], v[34:35]
	v_div_scale_f64 v[34:35], vcc, v[20:21], v[32:33], v[20:21]
	v_mul_f64 v[36:37], v[34:35], v[30:31]
	v_fma_f64 v[22:23], -v[22:23], v[36:37], v[34:35]
	s_brev_b32 s39, 8
	s_nop 0
	v_div_fmas_f64 v[22:23], v[22:23], v[30:31], v[36:37]
	v_div_fixup_f64 v[20:21], v[22:23], v[32:33], v[20:21]
	v_mov_b32_e32 v22, 0xddcfbbde
	v_mov_b32_e32 v23, 0x3f943525
	v_fmac_f64_e32 v[22:23], 0, v[24:25]
	v_mov_b32_e32 v30, 0x6437b7
	v_mov_b32_e32 v31, 0x3fd907d5
	v_fmac_f64_e32 v[30:31], v[24:25], v[22:23]
	;; [unrolled: 3-line block ×15, first 2 shown]
	v_mov_b32_e32 v30, 0xc195ece3
	v_mov_b32_e32 v31, 0x3fee8992
	v_cndmask_b32_e64 v9, v40, v15, s[0:1]
	v_fmac_f64_e32 v[30:31], v[24:25], v[32:33]
	v_mov_b32_e32 v32, 0xed64a9ee
	v_mov_b32_e32 v33, 0x3fb6221d
	;; [unrolled: 1-line block ×3, first 2 shown]
	v_cmp_gt_f64_e32 vcc, s[38:39], v[6:7]
	v_fmac_f64_e32 v[32:33], v[24:25], v[30:31]
	v_mov_b32_e32 v30, 0x6be393bb
	v_mov_b32_e32 v31, 0x3f70e704
	v_cndmask_b32_e32 v15, 0, v15, vcc
	v_fmac_f64_e32 v[30:31], v[24:25], v[32:33]
	v_mov_b32_e32 v32, 0xd603a5a0
	v_mov_b32_e32 v33, 0x3f1a8b61
	v_ldexp_f64 v[6:7], v[6:7], v15
	v_fmac_f64_e32 v[32:33], v[24:25], v[30:31]
	v_rsq_f64_e32 v[30:31], v[6:7]
	v_mov_b32_e32 v34, 0xdb0724e8
	v_mov_b32_e32 v35, 0x3eb3a845
	v_fmac_f64_e32 v[34:35], v[24:25], v[32:33]
	v_mul_f64 v[32:33], v[6:7], v[30:31]
	v_mul_f64 v[30:31], v[30:31], 0.5
	v_fma_f64 v[36:37], -v[30:31], v[32:33], 0.5
	v_fmac_f64_e32 v[32:33], v[32:33], v[36:37]
	v_fma_f64 v[38:39], -v[32:33], v[32:33], v[6:7]
	v_fmac_f64_e32 v[30:31], v[30:31], v[36:37]
	v_fmac_f64_e32 v[32:33], v[38:39], v[30:31]
	v_fma_f64 v[36:37], -v[32:33], v[32:33], v[6:7]
	v_mov_b32_e32 v15, 0xffffff80
	v_fmac_f64_e32 v[32:33], v[36:37], v[30:31]
	v_cndmask_b32_e32 v15, 0, v15, vcc
	v_ldexp_f64 v[30:31], v[32:33], v15
	v_mov_b32_e32 v15, 0x260
	v_cmp_class_f64_e32 vcc, v[6:7], v15
	s_mov_b32 s38, 0x50429b6d
	s_mov_b32 s39, 0x3fe20dd7
	v_cndmask_b32_e32 v7, v31, v7, vcc
	v_cndmask_b32_e32 v6, v30, v6, vcc
	v_div_scale_f64 v[30:31], s[40:41], v[6:7], v[6:7], s[38:39]
	v_rcp_f64_e32 v[32:33], v[30:31]
	v_mov_b32_e32 v36, 0x3dd589d4
	v_mov_b32_e32 v37, 0x3e351fc7
	v_fmac_f64_e32 v[36:37], v[24:25], v[34:35]
	v_fma_f64 v[24:25], -v[30:31], v[32:33], 1.0
	v_fmac_f64_e32 v[32:33], v[32:33], v[24:25]
	v_fma_f64 v[24:25], -v[30:31], v[32:33], 1.0
	v_fmac_f64_e32 v[32:33], v[32:33], v[24:25]
	v_div_scale_f64 v[24:25], vcc, s[38:39], v[6:7], s[38:39]
	v_mul_f64 v[34:35], v[24:25], v[32:33]
	v_fma_f64 v[24:25], -v[30:31], v[34:35], v[24:25]
	v_and_b32_e32 v15, 1, v1
	s_nop 0
	v_div_fmas_f64 v[24:25], v[24:25], v[32:33], v[34:35]
	v_div_fixup_f64 v[6:7], v[24:25], v[6:7], s[38:39]
	v_mul_f64 v[24:25], v[12:13], v[12:13]
	v_mul_f64 v[30:31], v[24:25], 0.5
	v_fmac_f64_e32 v[26:27], s[16:17], v[24:25]
	v_add_f64 v[32:33], -v[30:31], 1.0
	v_fma_f64 v[26:27], v[24:25], v[26:27], s[18:19]
	v_add_f64 v[34:35], -v[32:33], 1.0
	v_fma_f64 v[26:27], v[24:25], v[26:27], s[20:21]
	v_add_f64 v[30:31], v[34:35], -v[30:31]
	v_fma_f64 v[26:27], v[24:25], v[26:27], s[22:23]
	v_fmac_f64_e32 v[28:29], s[26:27], v[24:25]
	v_mul_f64 v[34:35], v[24:25], v[24:25]
	v_fma_f64 v[26:27], v[24:25], v[26:27], s[24:25]
	v_fma_f64 v[30:31], v[12:13], -v[16:17], v[30:31]
	v_fma_f64 v[28:29], v[24:25], v[28:29], s[28:29]
	v_fmac_f64_e32 v[30:31], v[34:35], v[26:27]
	v_fma_f64 v[28:29], v[24:25], v[28:29], s[30:31]
	v_add_f64 v[26:27], v[32:33], v[30:31]
	v_fma_f64 v[28:29], v[24:25], v[28:29], s[34:35]
	v_mul_f64 v[30:31], v[12:13], -v[24:25]
	v_mul_f64 v[32:33], v[16:17], 0.5
	v_fmac_f64_e32 v[32:33], v[30:31], v[28:29]
	v_fma_f64 v[16:17], v[24:25], v[32:33], -v[16:17]
	v_fmac_f64_e32 v[16:17], s[36:37], v[30:31]
	v_add_f64 v[12:13], v[12:13], -v[16:17]
	v_xor_b32_e32 v13, 0x80000000, v13
	v_cmp_eq_u32_e32 vcc, 0, v15
	v_lshlrev_b32_e32 v1, 30, v1
	v_add_f64 v[20:21], v[20:21], 1.0
	v_cndmask_b32_e32 v15, v12, v26, vcc
	v_cndmask_b32_e32 v24, v13, v27, vcc
	v_mul_f64 v[12:13], v[18:19], v[22:23]
	v_div_scale_f64 v[16:17], s[16:17], v[36:37], v[36:37], v[12:13]
	v_rcp_f64_e32 v[18:19], v[16:17]
	v_bitop3_b32 v1, v24, v1, s33 bitop3:0x78
	v_cndmask_b32_e64 v22, 0, v15, s[0:1]
	v_cndmask_b32_e64 v23, v40, v1, s[0:1]
	v_fma_f64 v[24:25], -v[16:17], v[18:19], 1.0
	v_fmac_f64_e32 v[18:19], v[18:19], v[24:25]
	v_fma_f64 v[24:25], -v[16:17], v[18:19], 1.0
	v_fmac_f64_e32 v[18:19], v[18:19], v[24:25]
	v_div_scale_f64 v[24:25], vcc, v[12:13], v[36:37], v[12:13]
	v_mul_f64 v[26:27], v[24:25], v[18:19]
	v_fma_f64 v[16:17], -v[16:17], v[26:27], v[24:25]
	s_nop 1
	v_div_fmas_f64 v[16:17], v[16:17], v[18:19], v[26:27]
	v_div_fixup_f64 v[12:13], v[16:17], v[36:37], v[12:13]
	v_mul_f64 v[12:13], v[12:13], v[22:23]
	v_fma_f64 v[8:9], v[20:21], v[8:9], -v[12:13]
	v_mul_f64 v[12:13], v[6:7], v[8:9]
.LBB5_89:
	s_or_b64 exec, exec, s[14:15]
.LBB5_90:
	s_or_b64 exec, exec, s[12:13]
.LBB5_91:
	s_or_b64 exec, exec, s[10:11]
	s_add_u32 s0, s4, s8
	s_addc_u32 s1, s5, s9
	v_mov_b32_e32 v15, 0
	v_lshl_add_u64 v[6:7], s[0:1], 0, v[14:15]
	global_store_dwordx4 v14, v[2:5], s[0:1]
	s_nop 1
	v_add_co_u32_e32 v2, vcc, 0x1000, v6
	s_nop 1
	v_addc_co_u32_e32 v3, vcc, 0, v7, vcc
	global_store_dwordx4 v[2:3], v[10:13], off
.LBB5_92:
	s_endpgm
	.section	.rodata,"a",@progbits
	.p2align	6, 0x0
	.amdhsa_kernel _ZN2at6native29vectorized_elementwise_kernelILi2EZZZNS0_12_GLOBAL__N_119airy_ai_kernel_cudaERNS_18TensorIteratorBaseEENKUlvE_clEvENKUlvE_clEvEUldE_St5arrayIPcLm2EEEEviT0_T1_
		.amdhsa_group_segment_fixed_size 0
		.amdhsa_private_segment_fixed_size 0
		.amdhsa_kernarg_size 24
		.amdhsa_user_sgpr_count 2
		.amdhsa_user_sgpr_dispatch_ptr 0
		.amdhsa_user_sgpr_queue_ptr 0
		.amdhsa_user_sgpr_kernarg_segment_ptr 1
		.amdhsa_user_sgpr_dispatch_id 0
		.amdhsa_user_sgpr_kernarg_preload_length 0
		.amdhsa_user_sgpr_kernarg_preload_offset 0
		.amdhsa_user_sgpr_private_segment_size 0
		.amdhsa_uses_dynamic_stack 0
		.amdhsa_enable_private_segment 0
		.amdhsa_system_sgpr_workgroup_id_x 1
		.amdhsa_system_sgpr_workgroup_id_y 0
		.amdhsa_system_sgpr_workgroup_id_z 0
		.amdhsa_system_sgpr_workgroup_info 0
		.amdhsa_system_vgpr_workitem_id 0
		.amdhsa_next_free_vgpr 68
		.amdhsa_next_free_sgpr 48
		.amdhsa_accum_offset 68
		.amdhsa_reserve_vcc 1
		.amdhsa_float_round_mode_32 0
		.amdhsa_float_round_mode_16_64 0
		.amdhsa_float_denorm_mode_32 3
		.amdhsa_float_denorm_mode_16_64 3
		.amdhsa_dx10_clamp 1
		.amdhsa_ieee_mode 1
		.amdhsa_fp16_overflow 0
		.amdhsa_tg_split 0
		.amdhsa_exception_fp_ieee_invalid_op 0
		.amdhsa_exception_fp_denorm_src 0
		.amdhsa_exception_fp_ieee_div_zero 0
		.amdhsa_exception_fp_ieee_overflow 0
		.amdhsa_exception_fp_ieee_underflow 0
		.amdhsa_exception_fp_ieee_inexact 0
		.amdhsa_exception_int_div_zero 0
	.end_amdhsa_kernel
	.section	.text._ZN2at6native29vectorized_elementwise_kernelILi2EZZZNS0_12_GLOBAL__N_119airy_ai_kernel_cudaERNS_18TensorIteratorBaseEENKUlvE_clEvENKUlvE_clEvEUldE_St5arrayIPcLm2EEEEviT0_T1_,"axG",@progbits,_ZN2at6native29vectorized_elementwise_kernelILi2EZZZNS0_12_GLOBAL__N_119airy_ai_kernel_cudaERNS_18TensorIteratorBaseEENKUlvE_clEvENKUlvE_clEvEUldE_St5arrayIPcLm2EEEEviT0_T1_,comdat
.Lfunc_end5:
	.size	_ZN2at6native29vectorized_elementwise_kernelILi2EZZZNS0_12_GLOBAL__N_119airy_ai_kernel_cudaERNS_18TensorIteratorBaseEENKUlvE_clEvENKUlvE_clEvEUldE_St5arrayIPcLm2EEEEviT0_T1_, .Lfunc_end5-_ZN2at6native29vectorized_elementwise_kernelILi2EZZZNS0_12_GLOBAL__N_119airy_ai_kernel_cudaERNS_18TensorIteratorBaseEENKUlvE_clEvENKUlvE_clEvEUldE_St5arrayIPcLm2EEEEviT0_T1_
                                        ; -- End function
	.set _ZN2at6native29vectorized_elementwise_kernelILi2EZZZNS0_12_GLOBAL__N_119airy_ai_kernel_cudaERNS_18TensorIteratorBaseEENKUlvE_clEvENKUlvE_clEvEUldE_St5arrayIPcLm2EEEEviT0_T1_.num_vgpr, max(46, .L_ZN2at6native25elementwise_kernel_helperILb0EZZZNS0_12_GLOBAL__N_119airy_ai_kernel_cudaERNS_18TensorIteratorBaseEENKUlvE_clEvENKUlvE_clEvEUldE_NS0_6memory8policies11unroll_baseILi256ESt5arrayIPcLm2EE23TrivialOffsetCalculatorILi1EjESF_NS8_15LoadWithoutCastENS8_16StoreWithoutCastELi4ELi1EEEEEvT0_T1_.num_vgpr)
	.set _ZN2at6native29vectorized_elementwise_kernelILi2EZZZNS0_12_GLOBAL__N_119airy_ai_kernel_cudaERNS_18TensorIteratorBaseEENKUlvE_clEvENKUlvE_clEvEUldE_St5arrayIPcLm2EEEEviT0_T1_.num_agpr, max(0, .L_ZN2at6native25elementwise_kernel_helperILb0EZZZNS0_12_GLOBAL__N_119airy_ai_kernel_cudaERNS_18TensorIteratorBaseEENKUlvE_clEvENKUlvE_clEvEUldE_NS0_6memory8policies11unroll_baseILi256ESt5arrayIPcLm2EE23TrivialOffsetCalculatorILi1EjESF_NS8_15LoadWithoutCastENS8_16StoreWithoutCastELi4ELi1EEEEEvT0_T1_.num_agpr)
	.set _ZN2at6native29vectorized_elementwise_kernelILi2EZZZNS0_12_GLOBAL__N_119airy_ai_kernel_cudaERNS_18TensorIteratorBaseEENKUlvE_clEvENKUlvE_clEvEUldE_St5arrayIPcLm2EEEEviT0_T1_.numbered_sgpr, max(44, .L_ZN2at6native25elementwise_kernel_helperILb0EZZZNS0_12_GLOBAL__N_119airy_ai_kernel_cudaERNS_18TensorIteratorBaseEENKUlvE_clEvENKUlvE_clEvEUldE_NS0_6memory8policies11unroll_baseILi256ESt5arrayIPcLm2EE23TrivialOffsetCalculatorILi1EjESF_NS8_15LoadWithoutCastENS8_16StoreWithoutCastELi4ELi1EEEEEvT0_T1_.numbered_sgpr)
	.set _ZN2at6native29vectorized_elementwise_kernelILi2EZZZNS0_12_GLOBAL__N_119airy_ai_kernel_cudaERNS_18TensorIteratorBaseEENKUlvE_clEvENKUlvE_clEvEUldE_St5arrayIPcLm2EEEEviT0_T1_.num_named_barrier, max(0, .L_ZN2at6native25elementwise_kernel_helperILb0EZZZNS0_12_GLOBAL__N_119airy_ai_kernel_cudaERNS_18TensorIteratorBaseEENKUlvE_clEvENKUlvE_clEvEUldE_NS0_6memory8policies11unroll_baseILi256ESt5arrayIPcLm2EE23TrivialOffsetCalculatorILi1EjESF_NS8_15LoadWithoutCastENS8_16StoreWithoutCastELi4ELi1EEEEEvT0_T1_.num_named_barrier)
	.set _ZN2at6native29vectorized_elementwise_kernelILi2EZZZNS0_12_GLOBAL__N_119airy_ai_kernel_cudaERNS_18TensorIteratorBaseEENKUlvE_clEvENKUlvE_clEvEUldE_St5arrayIPcLm2EEEEviT0_T1_.private_seg_size, 0+max(.L_ZN2at6native25elementwise_kernel_helperILb0EZZZNS0_12_GLOBAL__N_119airy_ai_kernel_cudaERNS_18TensorIteratorBaseEENKUlvE_clEvENKUlvE_clEvEUldE_NS0_6memory8policies11unroll_baseILi256ESt5arrayIPcLm2EE23TrivialOffsetCalculatorILi1EjESF_NS8_15LoadWithoutCastENS8_16StoreWithoutCastELi4ELi1EEEEEvT0_T1_.private_seg_size)
	.set _ZN2at6native29vectorized_elementwise_kernelILi2EZZZNS0_12_GLOBAL__N_119airy_ai_kernel_cudaERNS_18TensorIteratorBaseEENKUlvE_clEvENKUlvE_clEvEUldE_St5arrayIPcLm2EEEEviT0_T1_.uses_vcc, or(1, .L_ZN2at6native25elementwise_kernel_helperILb0EZZZNS0_12_GLOBAL__N_119airy_ai_kernel_cudaERNS_18TensorIteratorBaseEENKUlvE_clEvENKUlvE_clEvEUldE_NS0_6memory8policies11unroll_baseILi256ESt5arrayIPcLm2EE23TrivialOffsetCalculatorILi1EjESF_NS8_15LoadWithoutCastENS8_16StoreWithoutCastELi4ELi1EEEEEvT0_T1_.uses_vcc)
	.set _ZN2at6native29vectorized_elementwise_kernelILi2EZZZNS0_12_GLOBAL__N_119airy_ai_kernel_cudaERNS_18TensorIteratorBaseEENKUlvE_clEvENKUlvE_clEvEUldE_St5arrayIPcLm2EEEEviT0_T1_.uses_flat_scratch, or(0, .L_ZN2at6native25elementwise_kernel_helperILb0EZZZNS0_12_GLOBAL__N_119airy_ai_kernel_cudaERNS_18TensorIteratorBaseEENKUlvE_clEvENKUlvE_clEvEUldE_NS0_6memory8policies11unroll_baseILi256ESt5arrayIPcLm2EE23TrivialOffsetCalculatorILi1EjESF_NS8_15LoadWithoutCastENS8_16StoreWithoutCastELi4ELi1EEEEEvT0_T1_.uses_flat_scratch)
	.set _ZN2at6native29vectorized_elementwise_kernelILi2EZZZNS0_12_GLOBAL__N_119airy_ai_kernel_cudaERNS_18TensorIteratorBaseEENKUlvE_clEvENKUlvE_clEvEUldE_St5arrayIPcLm2EEEEviT0_T1_.has_dyn_sized_stack, or(0, .L_ZN2at6native25elementwise_kernel_helperILb0EZZZNS0_12_GLOBAL__N_119airy_ai_kernel_cudaERNS_18TensorIteratorBaseEENKUlvE_clEvENKUlvE_clEvEUldE_NS0_6memory8policies11unroll_baseILi256ESt5arrayIPcLm2EE23TrivialOffsetCalculatorILi1EjESF_NS8_15LoadWithoutCastENS8_16StoreWithoutCastELi4ELi1EEEEEvT0_T1_.has_dyn_sized_stack)
	.set _ZN2at6native29vectorized_elementwise_kernelILi2EZZZNS0_12_GLOBAL__N_119airy_ai_kernel_cudaERNS_18TensorIteratorBaseEENKUlvE_clEvENKUlvE_clEvEUldE_St5arrayIPcLm2EEEEviT0_T1_.has_recursion, or(0, .L_ZN2at6native25elementwise_kernel_helperILb0EZZZNS0_12_GLOBAL__N_119airy_ai_kernel_cudaERNS_18TensorIteratorBaseEENKUlvE_clEvENKUlvE_clEvEUldE_NS0_6memory8policies11unroll_baseILi256ESt5arrayIPcLm2EE23TrivialOffsetCalculatorILi1EjESF_NS8_15LoadWithoutCastENS8_16StoreWithoutCastELi4ELi1EEEEEvT0_T1_.has_recursion)
	.set _ZN2at6native29vectorized_elementwise_kernelILi2EZZZNS0_12_GLOBAL__N_119airy_ai_kernel_cudaERNS_18TensorIteratorBaseEENKUlvE_clEvENKUlvE_clEvEUldE_St5arrayIPcLm2EEEEviT0_T1_.has_indirect_call, or(0, .L_ZN2at6native25elementwise_kernel_helperILb0EZZZNS0_12_GLOBAL__N_119airy_ai_kernel_cudaERNS_18TensorIteratorBaseEENKUlvE_clEvENKUlvE_clEvEUldE_NS0_6memory8policies11unroll_baseILi256ESt5arrayIPcLm2EE23TrivialOffsetCalculatorILi1EjESF_NS8_15LoadWithoutCastENS8_16StoreWithoutCastELi4ELi1EEEEEvT0_T1_.has_indirect_call)
	.section	.AMDGPU.csdata,"",@progbits
; Kernel info:
; codeLenInByte = 24160
; TotalNumSgprs: 54
; NumVgprs: 68
; NumAgprs: 0
; TotalNumVgprs: 68
; ScratchSize: 0
; MemoryBound: 0
; FloatMode: 240
; IeeeMode: 1
; LDSByteSize: 0 bytes/workgroup (compile time only)
; SGPRBlocks: 6
; VGPRBlocks: 8
; NumSGPRsForWavesPerEU: 54
; NumVGPRsForWavesPerEU: 68
; AccumOffset: 68
; Occupancy: 7
; WaveLimiterHint : 1
; COMPUTE_PGM_RSRC2:SCRATCH_EN: 0
; COMPUTE_PGM_RSRC2:USER_SGPR: 2
; COMPUTE_PGM_RSRC2:TRAP_HANDLER: 0
; COMPUTE_PGM_RSRC2:TGID_X_EN: 1
; COMPUTE_PGM_RSRC2:TGID_Y_EN: 0
; COMPUTE_PGM_RSRC2:TGID_Z_EN: 0
; COMPUTE_PGM_RSRC2:TIDIG_COMP_CNT: 0
; COMPUTE_PGM_RSRC3_GFX90A:ACCUM_OFFSET: 16
; COMPUTE_PGM_RSRC3_GFX90A:TG_SPLIT: 0
	.section	.text._ZN2at6native27unrolled_elementwise_kernelIZZZNS0_12_GLOBAL__N_119airy_ai_kernel_cudaERNS_18TensorIteratorBaseEENKUlvE_clEvENKUlvE_clEvEUldE_St5arrayIPcLm2EELi4E23TrivialOffsetCalculatorILi1EjESC_NS0_6memory15LoadWithoutCastENSD_16StoreWithoutCastEEEviT_T0_T2_T3_T4_T5_,"axG",@progbits,_ZN2at6native27unrolled_elementwise_kernelIZZZNS0_12_GLOBAL__N_119airy_ai_kernel_cudaERNS_18TensorIteratorBaseEENKUlvE_clEvENKUlvE_clEvEUldE_St5arrayIPcLm2EELi4E23TrivialOffsetCalculatorILi1EjESC_NS0_6memory15LoadWithoutCastENSD_16StoreWithoutCastEEEviT_T0_T2_T3_T4_T5_,comdat
	.globl	_ZN2at6native27unrolled_elementwise_kernelIZZZNS0_12_GLOBAL__N_119airy_ai_kernel_cudaERNS_18TensorIteratorBaseEENKUlvE_clEvENKUlvE_clEvEUldE_St5arrayIPcLm2EELi4E23TrivialOffsetCalculatorILi1EjESC_NS0_6memory15LoadWithoutCastENSD_16StoreWithoutCastEEEviT_T0_T2_T3_T4_T5_ ; -- Begin function _ZN2at6native27unrolled_elementwise_kernelIZZZNS0_12_GLOBAL__N_119airy_ai_kernel_cudaERNS_18TensorIteratorBaseEENKUlvE_clEvENKUlvE_clEvEUldE_St5arrayIPcLm2EELi4E23TrivialOffsetCalculatorILi1EjESC_NS0_6memory15LoadWithoutCastENSD_16StoreWithoutCastEEEviT_T0_T2_T3_T4_T5_
	.p2align	8
	.type	_ZN2at6native27unrolled_elementwise_kernelIZZZNS0_12_GLOBAL__N_119airy_ai_kernel_cudaERNS_18TensorIteratorBaseEENKUlvE_clEvENKUlvE_clEvEUldE_St5arrayIPcLm2EELi4E23TrivialOffsetCalculatorILi1EjESC_NS0_6memory15LoadWithoutCastENSD_16StoreWithoutCastEEEviT_T0_T2_T3_T4_T5_,@function
_ZN2at6native27unrolled_elementwise_kernelIZZZNS0_12_GLOBAL__N_119airy_ai_kernel_cudaERNS_18TensorIteratorBaseEENKUlvE_clEvENKUlvE_clEvEUldE_St5arrayIPcLm2EELi4E23TrivialOffsetCalculatorILi1EjESC_NS0_6memory15LoadWithoutCastENSD_16StoreWithoutCastEEEviT_T0_T2_T3_T4_T5_: ; @_ZN2at6native27unrolled_elementwise_kernelIZZZNS0_12_GLOBAL__N_119airy_ai_kernel_cudaERNS_18TensorIteratorBaseEENKUlvE_clEvENKUlvE_clEvEUldE_St5arrayIPcLm2EELi4E23TrivialOffsetCalculatorILi1EjESC_NS0_6memory15LoadWithoutCastENSD_16StoreWithoutCastEEEviT_T0_T2_T3_T4_T5_
; %bb.0:
	s_load_dword s3, s[0:1], 0x0
	s_load_dwordx4 s[4:7], s[0:1], 0x8
	s_lshl_b32 s0, s2, 10
	s_mov_b32 s12, s2
	v_mov_b32_e32 v31, v0
	s_waitcnt lgkmcnt(0)
	s_sub_i32 s3, s3, s0
	s_getpc_b64 s[0:1]
	s_add_u32 s0, s0, _ZN2at6native25elementwise_kernel_helperILb0EZZZNS0_12_GLOBAL__N_119airy_ai_kernel_cudaERNS_18TensorIteratorBaseEENKUlvE_clEvENKUlvE_clEvEUldE_NS0_6memory8policies11unroll_baseILi256ESt5arrayIPcLm2EE23TrivialOffsetCalculatorILi1EjESF_NS8_15LoadWithoutCastENS8_16StoreWithoutCastELi4ELi1EEEEEvT0_T1_@rel32@lo+4
	s_addc_u32 s1, s1, _ZN2at6native25elementwise_kernel_helperILb0EZZZNS0_12_GLOBAL__N_119airy_ai_kernel_cudaERNS_18TensorIteratorBaseEENKUlvE_clEvENKUlvE_clEvEUldE_NS0_6memory8policies11unroll_baseILi256ESt5arrayIPcLm2EE23TrivialOffsetCalculatorILi1EjESF_NS8_15LoadWithoutCastENS8_16StoreWithoutCastELi4ELi1EEEEEvT0_T1_@rel32@hi+12
	v_mov_b32_e32 v0, s4
	v_mov_b32_e32 v1, s5
	;; [unrolled: 1-line block ×5, first 2 shown]
	s_mov_b32 s32, 0
	s_swappc_b64 s[30:31], s[0:1]
	s_endpgm
	.section	.rodata,"a",@progbits
	.p2align	6, 0x0
	.amdhsa_kernel _ZN2at6native27unrolled_elementwise_kernelIZZZNS0_12_GLOBAL__N_119airy_ai_kernel_cudaERNS_18TensorIteratorBaseEENKUlvE_clEvENKUlvE_clEvEUldE_St5arrayIPcLm2EELi4E23TrivialOffsetCalculatorILi1EjESC_NS0_6memory15LoadWithoutCastENSD_16StoreWithoutCastEEEviT_T0_T2_T3_T4_T5_
		.amdhsa_group_segment_fixed_size 0
		.amdhsa_private_segment_fixed_size 0
		.amdhsa_kernarg_size 28
		.amdhsa_user_sgpr_count 2
		.amdhsa_user_sgpr_dispatch_ptr 0
		.amdhsa_user_sgpr_queue_ptr 0
		.amdhsa_user_sgpr_kernarg_segment_ptr 1
		.amdhsa_user_sgpr_dispatch_id 0
		.amdhsa_user_sgpr_kernarg_preload_length 0
		.amdhsa_user_sgpr_kernarg_preload_offset 0
		.amdhsa_user_sgpr_private_segment_size 0
		.amdhsa_uses_dynamic_stack 0
		.amdhsa_enable_private_segment 0
		.amdhsa_system_sgpr_workgroup_id_x 1
		.amdhsa_system_sgpr_workgroup_id_y 0
		.amdhsa_system_sgpr_workgroup_id_z 0
		.amdhsa_system_sgpr_workgroup_info 0
		.amdhsa_system_vgpr_workitem_id 0
		.amdhsa_next_free_vgpr 68
		.amdhsa_next_free_sgpr 48
		.amdhsa_accum_offset 68
		.amdhsa_reserve_vcc 1
		.amdhsa_float_round_mode_32 0
		.amdhsa_float_round_mode_16_64 0
		.amdhsa_float_denorm_mode_32 3
		.amdhsa_float_denorm_mode_16_64 3
		.amdhsa_dx10_clamp 1
		.amdhsa_ieee_mode 1
		.amdhsa_fp16_overflow 0
		.amdhsa_tg_split 0
		.amdhsa_exception_fp_ieee_invalid_op 0
		.amdhsa_exception_fp_denorm_src 0
		.amdhsa_exception_fp_ieee_div_zero 0
		.amdhsa_exception_fp_ieee_overflow 0
		.amdhsa_exception_fp_ieee_underflow 0
		.amdhsa_exception_fp_ieee_inexact 0
		.amdhsa_exception_int_div_zero 0
	.end_amdhsa_kernel
	.section	.text._ZN2at6native27unrolled_elementwise_kernelIZZZNS0_12_GLOBAL__N_119airy_ai_kernel_cudaERNS_18TensorIteratorBaseEENKUlvE_clEvENKUlvE_clEvEUldE_St5arrayIPcLm2EELi4E23TrivialOffsetCalculatorILi1EjESC_NS0_6memory15LoadWithoutCastENSD_16StoreWithoutCastEEEviT_T0_T2_T3_T4_T5_,"axG",@progbits,_ZN2at6native27unrolled_elementwise_kernelIZZZNS0_12_GLOBAL__N_119airy_ai_kernel_cudaERNS_18TensorIteratorBaseEENKUlvE_clEvENKUlvE_clEvEUldE_St5arrayIPcLm2EELi4E23TrivialOffsetCalculatorILi1EjESC_NS0_6memory15LoadWithoutCastENSD_16StoreWithoutCastEEEviT_T0_T2_T3_T4_T5_,comdat
.Lfunc_end6:
	.size	_ZN2at6native27unrolled_elementwise_kernelIZZZNS0_12_GLOBAL__N_119airy_ai_kernel_cudaERNS_18TensorIteratorBaseEENKUlvE_clEvENKUlvE_clEvEUldE_St5arrayIPcLm2EELi4E23TrivialOffsetCalculatorILi1EjESC_NS0_6memory15LoadWithoutCastENSD_16StoreWithoutCastEEEviT_T0_T2_T3_T4_T5_, .Lfunc_end6-_ZN2at6native27unrolled_elementwise_kernelIZZZNS0_12_GLOBAL__N_119airy_ai_kernel_cudaERNS_18TensorIteratorBaseEENKUlvE_clEvENKUlvE_clEvEUldE_St5arrayIPcLm2EELi4E23TrivialOffsetCalculatorILi1EjESC_NS0_6memory15LoadWithoutCastENSD_16StoreWithoutCastEEEviT_T0_T2_T3_T4_T5_
                                        ; -- End function
	.set _ZN2at6native27unrolled_elementwise_kernelIZZZNS0_12_GLOBAL__N_119airy_ai_kernel_cudaERNS_18TensorIteratorBaseEENKUlvE_clEvENKUlvE_clEvEUldE_St5arrayIPcLm2EELi4E23TrivialOffsetCalculatorILi1EjESC_NS0_6memory15LoadWithoutCastENSD_16StoreWithoutCastEEEviT_T0_T2_T3_T4_T5_.num_vgpr, max(32, .L_ZN2at6native25elementwise_kernel_helperILb0EZZZNS0_12_GLOBAL__N_119airy_ai_kernel_cudaERNS_18TensorIteratorBaseEENKUlvE_clEvENKUlvE_clEvEUldE_NS0_6memory8policies11unroll_baseILi256ESt5arrayIPcLm2EE23TrivialOffsetCalculatorILi1EjESF_NS8_15LoadWithoutCastENS8_16StoreWithoutCastELi4ELi1EEEEEvT0_T1_.num_vgpr)
	.set _ZN2at6native27unrolled_elementwise_kernelIZZZNS0_12_GLOBAL__N_119airy_ai_kernel_cudaERNS_18TensorIteratorBaseEENKUlvE_clEvENKUlvE_clEvEUldE_St5arrayIPcLm2EELi4E23TrivialOffsetCalculatorILi1EjESC_NS0_6memory15LoadWithoutCastENSD_16StoreWithoutCastEEEviT_T0_T2_T3_T4_T5_.num_agpr, max(0, .L_ZN2at6native25elementwise_kernel_helperILb0EZZZNS0_12_GLOBAL__N_119airy_ai_kernel_cudaERNS_18TensorIteratorBaseEENKUlvE_clEvENKUlvE_clEvEUldE_NS0_6memory8policies11unroll_baseILi256ESt5arrayIPcLm2EE23TrivialOffsetCalculatorILi1EjESF_NS8_15LoadWithoutCastENS8_16StoreWithoutCastELi4ELi1EEEEEvT0_T1_.num_agpr)
	.set _ZN2at6native27unrolled_elementwise_kernelIZZZNS0_12_GLOBAL__N_119airy_ai_kernel_cudaERNS_18TensorIteratorBaseEENKUlvE_clEvENKUlvE_clEvEUldE_St5arrayIPcLm2EELi4E23TrivialOffsetCalculatorILi1EjESC_NS0_6memory15LoadWithoutCastENSD_16StoreWithoutCastEEEviT_T0_T2_T3_T4_T5_.numbered_sgpr, max(33, .L_ZN2at6native25elementwise_kernel_helperILb0EZZZNS0_12_GLOBAL__N_119airy_ai_kernel_cudaERNS_18TensorIteratorBaseEENKUlvE_clEvENKUlvE_clEvEUldE_NS0_6memory8policies11unroll_baseILi256ESt5arrayIPcLm2EE23TrivialOffsetCalculatorILi1EjESF_NS8_15LoadWithoutCastENS8_16StoreWithoutCastELi4ELi1EEEEEvT0_T1_.numbered_sgpr)
	.set _ZN2at6native27unrolled_elementwise_kernelIZZZNS0_12_GLOBAL__N_119airy_ai_kernel_cudaERNS_18TensorIteratorBaseEENKUlvE_clEvENKUlvE_clEvEUldE_St5arrayIPcLm2EELi4E23TrivialOffsetCalculatorILi1EjESC_NS0_6memory15LoadWithoutCastENSD_16StoreWithoutCastEEEviT_T0_T2_T3_T4_T5_.num_named_barrier, max(0, .L_ZN2at6native25elementwise_kernel_helperILb0EZZZNS0_12_GLOBAL__N_119airy_ai_kernel_cudaERNS_18TensorIteratorBaseEENKUlvE_clEvENKUlvE_clEvEUldE_NS0_6memory8policies11unroll_baseILi256ESt5arrayIPcLm2EE23TrivialOffsetCalculatorILi1EjESF_NS8_15LoadWithoutCastENS8_16StoreWithoutCastELi4ELi1EEEEEvT0_T1_.num_named_barrier)
	.set _ZN2at6native27unrolled_elementwise_kernelIZZZNS0_12_GLOBAL__N_119airy_ai_kernel_cudaERNS_18TensorIteratorBaseEENKUlvE_clEvENKUlvE_clEvEUldE_St5arrayIPcLm2EELi4E23TrivialOffsetCalculatorILi1EjESC_NS0_6memory15LoadWithoutCastENSD_16StoreWithoutCastEEEviT_T0_T2_T3_T4_T5_.private_seg_size, 0+max(.L_ZN2at6native25elementwise_kernel_helperILb0EZZZNS0_12_GLOBAL__N_119airy_ai_kernel_cudaERNS_18TensorIteratorBaseEENKUlvE_clEvENKUlvE_clEvEUldE_NS0_6memory8policies11unroll_baseILi256ESt5arrayIPcLm2EE23TrivialOffsetCalculatorILi1EjESF_NS8_15LoadWithoutCastENS8_16StoreWithoutCastELi4ELi1EEEEEvT0_T1_.private_seg_size)
	.set _ZN2at6native27unrolled_elementwise_kernelIZZZNS0_12_GLOBAL__N_119airy_ai_kernel_cudaERNS_18TensorIteratorBaseEENKUlvE_clEvENKUlvE_clEvEUldE_St5arrayIPcLm2EELi4E23TrivialOffsetCalculatorILi1EjESC_NS0_6memory15LoadWithoutCastENSD_16StoreWithoutCastEEEviT_T0_T2_T3_T4_T5_.uses_vcc, or(1, .L_ZN2at6native25elementwise_kernel_helperILb0EZZZNS0_12_GLOBAL__N_119airy_ai_kernel_cudaERNS_18TensorIteratorBaseEENKUlvE_clEvENKUlvE_clEvEUldE_NS0_6memory8policies11unroll_baseILi256ESt5arrayIPcLm2EE23TrivialOffsetCalculatorILi1EjESF_NS8_15LoadWithoutCastENS8_16StoreWithoutCastELi4ELi1EEEEEvT0_T1_.uses_vcc)
	.set _ZN2at6native27unrolled_elementwise_kernelIZZZNS0_12_GLOBAL__N_119airy_ai_kernel_cudaERNS_18TensorIteratorBaseEENKUlvE_clEvENKUlvE_clEvEUldE_St5arrayIPcLm2EELi4E23TrivialOffsetCalculatorILi1EjESC_NS0_6memory15LoadWithoutCastENSD_16StoreWithoutCastEEEviT_T0_T2_T3_T4_T5_.uses_flat_scratch, or(0, .L_ZN2at6native25elementwise_kernel_helperILb0EZZZNS0_12_GLOBAL__N_119airy_ai_kernel_cudaERNS_18TensorIteratorBaseEENKUlvE_clEvENKUlvE_clEvEUldE_NS0_6memory8policies11unroll_baseILi256ESt5arrayIPcLm2EE23TrivialOffsetCalculatorILi1EjESF_NS8_15LoadWithoutCastENS8_16StoreWithoutCastELi4ELi1EEEEEvT0_T1_.uses_flat_scratch)
	.set _ZN2at6native27unrolled_elementwise_kernelIZZZNS0_12_GLOBAL__N_119airy_ai_kernel_cudaERNS_18TensorIteratorBaseEENKUlvE_clEvENKUlvE_clEvEUldE_St5arrayIPcLm2EELi4E23TrivialOffsetCalculatorILi1EjESC_NS0_6memory15LoadWithoutCastENSD_16StoreWithoutCastEEEviT_T0_T2_T3_T4_T5_.has_dyn_sized_stack, or(0, .L_ZN2at6native25elementwise_kernel_helperILb0EZZZNS0_12_GLOBAL__N_119airy_ai_kernel_cudaERNS_18TensorIteratorBaseEENKUlvE_clEvENKUlvE_clEvEUldE_NS0_6memory8policies11unroll_baseILi256ESt5arrayIPcLm2EE23TrivialOffsetCalculatorILi1EjESF_NS8_15LoadWithoutCastENS8_16StoreWithoutCastELi4ELi1EEEEEvT0_T1_.has_dyn_sized_stack)
	.set _ZN2at6native27unrolled_elementwise_kernelIZZZNS0_12_GLOBAL__N_119airy_ai_kernel_cudaERNS_18TensorIteratorBaseEENKUlvE_clEvENKUlvE_clEvEUldE_St5arrayIPcLm2EELi4E23TrivialOffsetCalculatorILi1EjESC_NS0_6memory15LoadWithoutCastENSD_16StoreWithoutCastEEEviT_T0_T2_T3_T4_T5_.has_recursion, or(0, .L_ZN2at6native25elementwise_kernel_helperILb0EZZZNS0_12_GLOBAL__N_119airy_ai_kernel_cudaERNS_18TensorIteratorBaseEENKUlvE_clEvENKUlvE_clEvEUldE_NS0_6memory8policies11unroll_baseILi256ESt5arrayIPcLm2EE23TrivialOffsetCalculatorILi1EjESF_NS8_15LoadWithoutCastENS8_16StoreWithoutCastELi4ELi1EEEEEvT0_T1_.has_recursion)
	.set _ZN2at6native27unrolled_elementwise_kernelIZZZNS0_12_GLOBAL__N_119airy_ai_kernel_cudaERNS_18TensorIteratorBaseEENKUlvE_clEvENKUlvE_clEvEUldE_St5arrayIPcLm2EELi4E23TrivialOffsetCalculatorILi1EjESC_NS0_6memory15LoadWithoutCastENSD_16StoreWithoutCastEEEviT_T0_T2_T3_T4_T5_.has_indirect_call, or(0, .L_ZN2at6native25elementwise_kernel_helperILb0EZZZNS0_12_GLOBAL__N_119airy_ai_kernel_cudaERNS_18TensorIteratorBaseEENKUlvE_clEvENKUlvE_clEvEUldE_NS0_6memory8policies11unroll_baseILi256ESt5arrayIPcLm2EE23TrivialOffsetCalculatorILi1EjESF_NS8_15LoadWithoutCastENS8_16StoreWithoutCastELi4ELi1EEEEEvT0_T1_.has_indirect_call)
	.section	.AMDGPU.csdata,"",@progbits
; Kernel info:
; codeLenInByte = 88
; TotalNumSgprs: 54
; NumVgprs: 68
; NumAgprs: 0
; TotalNumVgprs: 68
; ScratchSize: 0
; MemoryBound: 0
; FloatMode: 240
; IeeeMode: 1
; LDSByteSize: 0 bytes/workgroup (compile time only)
; SGPRBlocks: 6
; VGPRBlocks: 8
; NumSGPRsForWavesPerEU: 54
; NumVGPRsForWavesPerEU: 68
; AccumOffset: 68
; Occupancy: 7
; WaveLimiterHint : 0
; COMPUTE_PGM_RSRC2:SCRATCH_EN: 0
; COMPUTE_PGM_RSRC2:USER_SGPR: 2
; COMPUTE_PGM_RSRC2:TRAP_HANDLER: 0
; COMPUTE_PGM_RSRC2:TGID_X_EN: 1
; COMPUTE_PGM_RSRC2:TGID_Y_EN: 0
; COMPUTE_PGM_RSRC2:TGID_Z_EN: 0
; COMPUTE_PGM_RSRC2:TIDIG_COMP_CNT: 0
; COMPUTE_PGM_RSRC3_GFX90A:ACCUM_OFFSET: 16
; COMPUTE_PGM_RSRC3_GFX90A:TG_SPLIT: 0
	.section	.text._ZN2at6native32elementwise_kernel_manual_unrollILi128ELi4EZNS0_22gpu_kernel_impl_nocastIZZZNS0_12_GLOBAL__N_119airy_ai_kernel_cudaERNS_18TensorIteratorBaseEENKUlvE_clEvENKUlvE_clEvEUldE_EEvS5_RKT_EUlibE_EEviT1_,"axG",@progbits,_ZN2at6native32elementwise_kernel_manual_unrollILi128ELi4EZNS0_22gpu_kernel_impl_nocastIZZZNS0_12_GLOBAL__N_119airy_ai_kernel_cudaERNS_18TensorIteratorBaseEENKUlvE_clEvENKUlvE_clEvEUldE_EEvS5_RKT_EUlibE_EEviT1_,comdat
	.globl	_ZN2at6native32elementwise_kernel_manual_unrollILi128ELi4EZNS0_22gpu_kernel_impl_nocastIZZZNS0_12_GLOBAL__N_119airy_ai_kernel_cudaERNS_18TensorIteratorBaseEENKUlvE_clEvENKUlvE_clEvEUldE_EEvS5_RKT_EUlibE_EEviT1_ ; -- Begin function _ZN2at6native32elementwise_kernel_manual_unrollILi128ELi4EZNS0_22gpu_kernel_impl_nocastIZZZNS0_12_GLOBAL__N_119airy_ai_kernel_cudaERNS_18TensorIteratorBaseEENKUlvE_clEvENKUlvE_clEvEUldE_EEvS5_RKT_EUlibE_EEviT1_
	.p2align	8
	.type	_ZN2at6native32elementwise_kernel_manual_unrollILi128ELi4EZNS0_22gpu_kernel_impl_nocastIZZZNS0_12_GLOBAL__N_119airy_ai_kernel_cudaERNS_18TensorIteratorBaseEENKUlvE_clEvENKUlvE_clEvEUldE_EEvS5_RKT_EUlibE_EEviT1_,@function
_ZN2at6native32elementwise_kernel_manual_unrollILi128ELi4EZNS0_22gpu_kernel_impl_nocastIZZZNS0_12_GLOBAL__N_119airy_ai_kernel_cudaERNS_18TensorIteratorBaseEENKUlvE_clEvENKUlvE_clEvEUldE_EEvS5_RKT_EUlibE_EEviT1_: ; @_ZN2at6native32elementwise_kernel_manual_unrollILi128ELi4EZNS0_22gpu_kernel_impl_nocastIZZZNS0_12_GLOBAL__N_119airy_ai_kernel_cudaERNS_18TensorIteratorBaseEENKUlvE_clEvENKUlvE_clEvEUldE_EEvS5_RKT_EUlibE_EEviT1_
; %bb.0:
	s_load_dword s59, s[0:1], 0x0
	s_load_dword s33, s[0:1], 0x8
	s_add_u32 s34, s0, 8
	s_addc_u32 s35, s1, 0
	v_lshl_or_b32 v24, s2, 9, v0
	v_or_b32_e32 v10, 0x180, v24
	s_waitcnt lgkmcnt(0)
	s_add_i32 s58, s33, -1
	s_cmp_gt_u32 s58, 1
	v_cmp_le_i32_e32 vcc, s59, v10
	s_cselect_b64 s[36:37], -1, 0
	s_and_saveexec_b64 s[0:1], vcc
	s_xor_b64 s[38:39], exec, s[0:1]
	s_cbranch_execz .LBB7_8
; %bb.1:
	s_load_dwordx4 s[24:27], s[34:35], 0x4
	s_load_dwordx2 s[40:41], s[34:35], 0x14
	s_load_dwordx4 s[20:23], s[34:35], 0xc4
	s_load_dwordx4 s[16:19], s[34:35], 0x148
	s_cmp_lg_u32 s33, 0
	s_cselect_b64 s[46:47], -1, 0
	s_add_u32 s44, s34, 0xc4
	s_addc_u32 s45, s35, 0
	s_min_u32 s60, s58, 15
	s_cmp_gt_u32 s33, 1
	s_cselect_b64 s[42:43], -1, 0
	v_cmp_gt_i32_e32 vcc, s59, v24
	s_and_saveexec_b64 s[48:49], vcc
	s_cbranch_execz .LBB7_15
; %bb.2:
	s_andn2_b64 vcc, exec, s[36:37]
	s_cbranch_vccnz .LBB7_23
; %bb.3:
	s_andn2_b64 vcc, exec, s[46:47]
	s_cbranch_vccnz .LBB7_163
; %bb.4:
	s_add_i32 s55, s60, 1
	s_cmp_eq_u32 s58, 2
	s_cbranch_scc1 .LBB7_165
; %bb.5:
	s_and_b32 s54, s55, 28
	s_mov_b32 s56, 0
	v_mov_b32_e32 v0, 0
	v_mov_b32_e32 v2, 0
	s_mov_b64 s[50:51], s[34:35]
	s_mov_b64 s[52:53], s[44:45]
	v_mov_b32_e32 v4, v24
.LBB7_6:                                ; =>This Inner Loop Header: Depth=1
	s_load_dwordx8 s[8:15], s[50:51], 0x4
	s_load_dwordx4 s[28:31], s[50:51], 0x24
	s_load_dwordx8 s[0:7], s[52:53], 0x0
	s_add_u32 s50, s50, 48
	s_addc_u32 s51, s51, 0
	s_waitcnt lgkmcnt(0)
	v_mul_hi_u32 v1, s9, v4
	v_add_u32_e32 v1, v4, v1
	v_lshrrev_b32_e32 v1, s10, v1
	v_mul_lo_u32 v3, v1, s8
	v_mul_hi_u32 v5, s12, v1
	v_sub_u32_e32 v3, v4, v3
	v_add_u32_e32 v4, v1, v5
	v_lshrrev_b32_e32 v4, s13, v4
	v_mul_lo_u32 v6, v4, s11
	v_mul_hi_u32 v7, s15, v4
	v_sub_u32_e32 v1, v1, v6
	v_add_u32_e32 v6, v4, v7
	v_mul_lo_u32 v5, v3, s1
	v_mul_lo_u32 v3, v3, s0
	;; [unrolled: 1-line block ×4, first 2 shown]
	v_lshrrev_b32_e32 v6, s28, v6
	v_add3_u32 v0, v3, v0, v1
	v_mul_hi_u32 v3, s30, v6
	v_add3_u32 v1, v5, v2, v7
	v_mul_lo_u32 v2, v6, s14
	v_add_u32_e32 v3, v6, v3
	v_sub_u32_e32 v2, v4, v2
	v_lshrrev_b32_e32 v4, s31, v3
	s_add_i32 s56, s56, 4
	v_mul_lo_u32 v3, v4, s29
	s_add_u32 s52, s52, 32
	v_sub_u32_e32 v3, v6, v3
	s_addc_u32 s53, s53, 0
	v_mul_lo_u32 v5, v2, s4
	v_mul_lo_u32 v2, v2, s5
	v_mul_lo_u32 v6, v3, s6
	v_mul_lo_u32 v3, v3, s7
	s_cmp_lg_u32 s54, s56
	v_add3_u32 v2, v2, v1, v3
	v_add3_u32 v0, v5, v0, v6
	s_cbranch_scc1 .LBB7_6
; %bb.7:
	v_mov_b32_e32 v1, v2
	s_branch .LBB7_166
.LBB7_8:
	s_andn2_saveexec_b64 s[0:1], s[38:39]
	s_cbranch_execz .LBB7_256
.LBB7_9:
	v_cndmask_b32_e64 v0, 0, 1, s[36:37]
	v_cmp_ne_u32_e64 s[0:1], 1, v0
	s_andn2_b64 vcc, exec, s[36:37]
	s_cbranch_vccnz .LBB7_22
; %bb.10:
	s_cmp_lg_u32 s33, 0
	s_waitcnt lgkmcnt(0)
	s_mov_b32 s26, 0
	s_cbranch_scc0 .LBB7_25
; %bb.11:
	s_min_u32 s27, s58, 15
	s_add_i32 s27, s27, 1
	s_cmp_eq_u32 s58, 2
	s_cbranch_scc1 .LBB7_26
; %bb.12:
	s_and_b32 s26, s27, 28
	s_add_u32 s2, s34, 0xc4
	s_addc_u32 s3, s35, 0
	s_mov_b32 s28, 0
	v_mov_b32_e32 v0, 0
	v_mov_b32_e32 v8, 0
	s_mov_b64 s[24:25], s[34:35]
	v_mov_b32_e32 v2, v24
.LBB7_13:                               ; =>This Inner Loop Header: Depth=1
	s_load_dwordx8 s[12:19], s[24:25], 0x4
	s_load_dwordx4 s[20:23], s[24:25], 0x24
	s_load_dwordx8 s[4:11], s[2:3], 0x0
	s_add_u32 s24, s24, 48
	s_addc_u32 s25, s25, 0
	s_waitcnt lgkmcnt(0)
	v_mul_hi_u32 v1, s13, v2
	v_add_u32_e32 v1, v2, v1
	v_lshrrev_b32_e32 v1, s14, v1
	v_mul_lo_u32 v3, v1, s12
	v_mul_hi_u32 v4, s16, v1
	v_sub_u32_e32 v2, v2, v3
	v_add_u32_e32 v3, v1, v4
	v_lshrrev_b32_e32 v3, s17, v3
	v_mul_lo_u32 v5, v3, s15
	v_mul_hi_u32 v6, s19, v3
	v_sub_u32_e32 v1, v1, v5
	v_add_u32_e32 v5, v3, v6
	v_mul_lo_u32 v4, v2, s5
	v_mul_lo_u32 v2, v2, s4
	;; [unrolled: 1-line block ×4, first 2 shown]
	v_lshrrev_b32_e32 v5, s20, v5
	v_add3_u32 v0, v2, v0, v1
	v_add3_u32 v1, v4, v8, v6
	v_mul_lo_u32 v2, v5, s18
	v_mul_hi_u32 v4, s22, v5
	v_sub_u32_e32 v2, v3, v2
	v_add_u32_e32 v3, v5, v4
	v_mul_lo_u32 v4, v2, s8
	v_mul_lo_u32 v6, v2, s9
	v_lshrrev_b32_e32 v2, s23, v3
	s_add_i32 s28, s28, 4
	v_mul_lo_u32 v3, v2, s21
	s_add_u32 s2, s2, 32
	v_sub_u32_e32 v3, v5, v3
	s_addc_u32 s3, s3, 0
	v_mul_lo_u32 v5, v3, s10
	v_mul_lo_u32 v3, v3, s11
	s_cmp_lg_u32 s26, s28
	v_add3_u32 v8, v6, v1, v3
	v_add3_u32 v0, v4, v0, v5
	s_cbranch_scc1 .LBB7_13
; %bb.14:
	v_mov_b32_e32 v1, v8
	s_and_b32 s6, s27, 3
	s_cmp_eq_u32 s6, 0
	s_cbranch_scc0 .LBB7_27
	s_branch .LBB7_29
.LBB7_15:
	s_or_b64 exec, exec, s[48:49]
	v_cmp_gt_i32_e32 vcc, s59, v24
	s_and_saveexec_b64 s[48:49], vcc
	s_cbranch_execz .LBB7_219
.LBB7_16:
	s_andn2_b64 vcc, exec, s[36:37]
	s_cbranch_vccnz .LBB7_24
; %bb.17:
	s_andn2_b64 vcc, exec, s[46:47]
	s_cbranch_vccnz .LBB7_164
; %bb.18:
	s_add_i32 s55, s60, 1
	s_cmp_eq_u32 s58, 2
	s_cbranch_scc1 .LBB7_185
; %bb.19:
	s_and_b32 s54, s55, 28
	s_mov_b32 s56, 0
	v_mov_b32_e32 v0, 0
	v_mov_b32_e32 v2, 0
	s_mov_b64 s[50:51], s[34:35]
	s_mov_b64 s[52:53], s[44:45]
	v_mov_b32_e32 v4, v24
.LBB7_20:                               ; =>This Inner Loop Header: Depth=1
	s_load_dwordx8 s[8:15], s[50:51], 0x4
	s_load_dwordx4 s[28:31], s[50:51], 0x24
	s_load_dwordx8 s[0:7], s[52:53], 0x0
	s_add_u32 s50, s50, 48
	s_addc_u32 s51, s51, 0
	s_waitcnt lgkmcnt(0)
	v_mul_hi_u32 v1, s9, v4
	v_add_u32_e32 v1, v4, v1
	v_lshrrev_b32_e32 v1, s10, v1
	v_mul_lo_u32 v3, v1, s8
	v_mul_hi_u32 v5, s12, v1
	v_sub_u32_e32 v3, v4, v3
	v_add_u32_e32 v4, v1, v5
	v_lshrrev_b32_e32 v4, s13, v4
	v_mul_lo_u32 v6, v4, s11
	v_mul_hi_u32 v7, s15, v4
	v_sub_u32_e32 v1, v1, v6
	v_add_u32_e32 v6, v4, v7
	v_mul_lo_u32 v5, v3, s1
	v_mul_lo_u32 v3, v3, s0
	;; [unrolled: 1-line block ×4, first 2 shown]
	v_lshrrev_b32_e32 v6, s28, v6
	v_add3_u32 v0, v3, v0, v1
	v_mul_hi_u32 v3, s30, v6
	v_add3_u32 v1, v5, v2, v7
	v_mul_lo_u32 v2, v6, s14
	v_add_u32_e32 v3, v6, v3
	v_sub_u32_e32 v2, v4, v2
	v_lshrrev_b32_e32 v4, s31, v3
	s_add_i32 s56, s56, 4
	v_mul_lo_u32 v3, v4, s29
	s_add_u32 s52, s52, 32
	v_sub_u32_e32 v3, v6, v3
	s_addc_u32 s53, s53, 0
	v_mul_lo_u32 v5, v2, s4
	v_mul_lo_u32 v2, v2, s5
	;; [unrolled: 1-line block ×4, first 2 shown]
	s_cmp_eq_u32 s54, s56
	v_add3_u32 v2, v2, v1, v3
	v_add3_u32 v0, v5, v0, v6
	s_cbranch_scc0 .LBB7_20
; %bb.21:
	v_mov_b32_e32 v1, v2
	s_branch .LBB7_186
.LBB7_22:
                                        ; implicit-def: $vgpr8
                                        ; implicit-def: $vgpr0
	s_branch .LBB7_30
.LBB7_23:
                                        ; implicit-def: $vgpr2
                                        ; implicit-def: $vgpr0
	s_branch .LBB7_170
.LBB7_24:
                                        ; implicit-def: $vgpr2
                                        ; implicit-def: $vgpr0
	s_branch .LBB7_190
.LBB7_25:
	v_mov_b32_e32 v8, 0
	v_mov_b32_e32 v0, 0
	s_branch .LBB7_29
.LBB7_26:
	v_mov_b32_e32 v0, 0
                                        ; implicit-def: $vgpr8
	v_mov_b32_e32 v1, v0
	v_mov_b32_e32 v2, v24
	s_and_b32 s6, s27, 3
	s_cmp_eq_u32 s6, 0
	s_cbranch_scc1 .LBB7_29
.LBB7_27:
	s_lshl_b32 s2, s26, 3
	s_add_u32 s2, s34, s2
	s_addc_u32 s3, s35, 0
	s_add_u32 s2, s2, 0xc4
	s_addc_u32 s3, s3, 0
	s_mul_i32 s4, s26, 12
	s_add_u32 s4, s34, s4
	s_addc_u32 s5, s35, 0
.LBB7_28:                               ; =>This Inner Loop Header: Depth=1
	s_load_dwordx2 s[8:9], s[4:5], 0x4
	s_load_dword s7, s[4:5], 0xc
	s_load_dwordx2 s[10:11], s[2:3], 0x0
	v_mov_b32_e32 v4, v1
	s_add_u32 s4, s4, 12
	s_waitcnt lgkmcnt(0)
	v_mul_hi_u32 v1, s9, v2
	v_add_u32_e32 v1, v2, v1
	v_lshrrev_b32_e32 v1, s7, v1
	s_addc_u32 s5, s5, 0
	v_mul_lo_u32 v3, v1, s8
	s_add_u32 s2, s2, 8
	v_sub_u32_e32 v3, v2, v3
	s_addc_u32 s3, s3, 0
	s_add_i32 s6, s6, -1
	v_mov_b32_e32 v2, v1
	v_mad_u64_u32 v[8:9], s[8:9], v3, s11, v[4:5]
	v_mad_u64_u32 v[0:1], s[8:9], v3, s10, v[0:1]
	s_cmp_lg_u32 s6, 0
	v_mov_b32_e32 v1, v8
	s_cbranch_scc1 .LBB7_28
.LBB7_29:
	s_cbranch_execnz .LBB7_32
.LBB7_30:
	s_load_dwordx4 s[4:7], s[34:35], 0x4
	s_load_dwordx2 s[2:3], s[34:35], 0xc4
	s_cmp_lt_u32 s33, 2
	s_waitcnt lgkmcnt(0)
	v_mul_hi_u32 v0, s5, v24
	v_add_u32_e32 v0, v24, v0
	v_lshrrev_b32_e32 v1, s6, v0
	v_mul_lo_u32 v0, v1, s4
	v_sub_u32_e32 v0, v24, v0
	v_mul_lo_u32 v8, v0, s3
	v_mul_lo_u32 v0, v0, s2
	s_cbranch_scc1 .LBB7_32
; %bb.31:
	s_load_dwordx4 s[4:7], s[34:35], 0x10
	s_load_dwordx2 s[2:3], s[34:35], 0xcc
	s_waitcnt lgkmcnt(0)
	v_mul_hi_u32 v2, s5, v1
	v_add_u32_e32 v2, v1, v2
	v_lshrrev_b32_e32 v2, s6, v2
	v_mul_lo_u32 v2, v2, s4
	v_sub_u32_e32 v2, v1, v2
	v_mad_u64_u32 v[0:1], s[4:5], v2, s2, v[0:1]
	v_mad_u64_u32 v[8:9], s[2:3], v2, s3, v[8:9]
.LBB7_32:
	s_and_b64 vcc, exec, s[0:1]
	v_add_u32_e32 v4, 0x80, v24
	s_cbranch_vccnz .LBB7_38
; %bb.33:
	s_cmp_lg_u32 s33, 0
	s_waitcnt lgkmcnt(0)
	s_mov_b32 s26, 0
	s_cbranch_scc0 .LBB7_39
; %bb.34:
	s_min_u32 s27, s58, 15
	s_add_i32 s27, s27, 1
	s_cmp_eq_u32 s58, 2
	s_cbranch_scc1 .LBB7_40
; %bb.35:
	s_and_b32 s26, s27, 28
	s_add_u32 s2, s34, 0xc4
	s_addc_u32 s3, s35, 0
	s_mov_b32 s28, 0
	v_mov_b32_e32 v2, 0
	v_mov_b32_e32 v16, 0
	s_mov_b64 s[24:25], s[34:35]
	v_mov_b32_e32 v5, v4
.LBB7_36:                               ; =>This Inner Loop Header: Depth=1
	s_load_dwordx8 s[12:19], s[24:25], 0x4
	s_load_dwordx4 s[20:23], s[24:25], 0x24
	s_load_dwordx8 s[4:11], s[2:3], 0x0
	s_add_u32 s24, s24, 48
	s_addc_u32 s25, s25, 0
	s_waitcnt lgkmcnt(0)
	v_mul_hi_u32 v1, s13, v5
	v_add_u32_e32 v1, v5, v1
	v_lshrrev_b32_e32 v1, s14, v1
	v_mul_lo_u32 v3, v1, s12
	v_mul_hi_u32 v6, s16, v1
	v_sub_u32_e32 v3, v5, v3
	v_add_u32_e32 v5, v1, v6
	v_lshrrev_b32_e32 v5, s17, v5
	v_mul_lo_u32 v7, v5, s15
	v_mul_hi_u32 v9, s19, v5
	v_sub_u32_e32 v1, v1, v7
	v_add_u32_e32 v7, v5, v9
	v_mul_lo_u32 v6, v3, s5
	v_mul_lo_u32 v3, v3, s4
	;; [unrolled: 1-line block ×4, first 2 shown]
	v_lshrrev_b32_e32 v7, s20, v7
	v_add3_u32 v1, v3, v2, v1
	v_add3_u32 v2, v6, v16, v9
	v_mul_lo_u32 v3, v7, s18
	v_mul_hi_u32 v6, s22, v7
	v_sub_u32_e32 v3, v5, v3
	v_add_u32_e32 v5, v7, v6
	v_lshrrev_b32_e32 v5, s23, v5
	s_add_i32 s28, s28, 4
	v_mul_lo_u32 v9, v5, s21
	s_add_u32 s2, s2, 32
	v_sub_u32_e32 v7, v7, v9
	s_addc_u32 s3, s3, 0
	v_mul_lo_u32 v6, v3, s8
	v_mul_lo_u32 v3, v3, s9
	;; [unrolled: 1-line block ×4, first 2 shown]
	s_cmp_lg_u32 s26, s28
	v_add3_u32 v16, v3, v2, v7
	v_add3_u32 v2, v6, v1, v9
	s_cbranch_scc1 .LBB7_36
; %bb.37:
	v_mov_b32_e32 v1, v16
	s_and_b32 s6, s27, 3
	s_cmp_eq_u32 s6, 0
	s_cbranch_scc0 .LBB7_41
	s_branch .LBB7_43
.LBB7_38:
                                        ; implicit-def: $vgpr16
                                        ; implicit-def: $vgpr2
	s_branch .LBB7_44
.LBB7_39:
	v_mov_b32_e32 v16, 0
	v_mov_b32_e32 v2, 0
	s_branch .LBB7_43
.LBB7_40:
	v_mov_b32_e32 v2, 0
                                        ; implicit-def: $vgpr16
	v_mov_b32_e32 v1, v2
	v_mov_b32_e32 v5, v4
	s_and_b32 s6, s27, 3
	s_cmp_eq_u32 s6, 0
	s_cbranch_scc1 .LBB7_43
.LBB7_41:
	s_lshl_b32 s2, s26, 3
	s_add_u32 s2, s34, s2
	s_addc_u32 s3, s35, 0
	s_add_u32 s2, s2, 0xc4
	s_addc_u32 s3, s3, 0
	s_mul_i32 s4, s26, 12
	s_add_u32 s4, s34, s4
	s_addc_u32 s5, s35, 0
.LBB7_42:                               ; =>This Inner Loop Header: Depth=1
	s_load_dwordx2 s[8:9], s[4:5], 0x4
	s_load_dword s7, s[4:5], 0xc
	s_load_dwordx2 s[10:11], s[2:3], 0x0
	v_mov_b32_e32 v6, v1
	s_add_u32 s4, s4, 12
	s_waitcnt lgkmcnt(0)
	v_mul_hi_u32 v1, s9, v5
	v_add_u32_e32 v1, v5, v1
	v_lshrrev_b32_e32 v1, s7, v1
	s_addc_u32 s5, s5, 0
	v_mul_lo_u32 v3, v1, s8
	s_add_u32 s2, s2, 8
	v_sub_u32_e32 v3, v5, v3
	s_addc_u32 s3, s3, 0
	s_add_i32 s6, s6, -1
	v_mad_u64_u32 v[16:17], s[8:9], v3, s11, v[6:7]
	s_cmp_lg_u32 s6, 0
	v_mov_b32_e32 v5, v1
	v_mad_u64_u32 v[2:3], s[8:9], v3, s10, v[2:3]
	v_mov_b32_e32 v1, v16
	s_cbranch_scc1 .LBB7_42
.LBB7_43:
	s_cbranch_execnz .LBB7_46
.LBB7_44:
	s_load_dwordx4 s[4:7], s[34:35], 0x4
	s_load_dwordx2 s[2:3], s[34:35], 0xc4
	s_cmp_lt_u32 s33, 2
	s_waitcnt lgkmcnt(0)
	v_mul_hi_u32 v1, s5, v4
	v_add_u32_e32 v1, v4, v1
	v_lshrrev_b32_e32 v1, s6, v1
	v_mul_lo_u32 v2, v1, s4
	v_sub_u32_e32 v2, v4, v2
	v_mul_lo_u32 v16, v2, s3
	v_mul_lo_u32 v2, v2, s2
	s_cbranch_scc1 .LBB7_46
; %bb.45:
	s_load_dwordx4 s[4:7], s[34:35], 0x10
	s_load_dwordx2 s[2:3], s[34:35], 0xcc
	s_waitcnt lgkmcnt(0)
	v_mul_hi_u32 v3, s5, v1
	v_add_u32_e32 v3, v1, v3
	v_lshrrev_b32_e32 v3, s6, v3
	v_mul_lo_u32 v3, v3, s4
	v_sub_u32_e32 v1, v1, v3
	v_mad_u64_u32 v[2:3], s[4:5], v1, s2, v[2:3]
	v_mad_u64_u32 v[16:17], s[2:3], v1, s3, v[16:17]
.LBB7_46:
	s_and_b64 vcc, exec, s[0:1]
	v_add_u32_e32 v3, 0x100, v24
	s_cbranch_vccnz .LBB7_52
; %bb.47:
	s_cmp_lg_u32 s33, 0
	s_waitcnt lgkmcnt(0)
	s_mov_b32 s26, 0
	s_cbranch_scc0 .LBB7_53
; %bb.48:
	s_min_u32 s27, s58, 15
	s_add_i32 s27, s27, 1
	s_cmp_eq_u32 s58, 2
	s_cbranch_scc1 .LBB7_54
; %bb.49:
	s_and_b32 s26, s27, 28
	s_add_u32 s2, s34, 0xc4
	s_addc_u32 s3, s35, 0
	s_mov_b32 s28, 0
	v_mov_b32_e32 v4, 0
	v_mov_b32_e32 v14, 0
	s_mov_b64 s[24:25], s[34:35]
	v_mov_b32_e32 v6, v3
.LBB7_50:                               ; =>This Inner Loop Header: Depth=1
	s_load_dwordx8 s[12:19], s[24:25], 0x4
	s_load_dwordx4 s[20:23], s[24:25], 0x24
	s_load_dwordx8 s[4:11], s[2:3], 0x0
	s_add_u32 s24, s24, 48
	s_addc_u32 s25, s25, 0
	s_waitcnt lgkmcnt(0)
	v_mul_hi_u32 v1, s13, v6
	v_add_u32_e32 v1, v6, v1
	v_lshrrev_b32_e32 v1, s14, v1
	v_mul_lo_u32 v5, v1, s12
	v_mul_hi_u32 v7, s16, v1
	v_sub_u32_e32 v5, v6, v5
	v_add_u32_e32 v6, v1, v7
	v_lshrrev_b32_e32 v6, s17, v6
	v_mul_lo_u32 v9, v6, s15
	v_mul_hi_u32 v11, s19, v6
	v_sub_u32_e32 v1, v1, v9
	v_add_u32_e32 v9, v6, v11
	v_mul_lo_u32 v7, v5, s5
	v_mul_lo_u32 v5, v5, s4
	;; [unrolled: 1-line block ×4, first 2 shown]
	v_lshrrev_b32_e32 v9, s20, v9
	v_add3_u32 v1, v5, v4, v1
	v_add3_u32 v4, v7, v14, v11
	v_mul_lo_u32 v5, v9, s18
	v_mul_hi_u32 v7, s22, v9
	v_sub_u32_e32 v5, v6, v5
	v_add_u32_e32 v6, v9, v7
	v_lshrrev_b32_e32 v6, s23, v6
	s_add_i32 s28, s28, 4
	v_mul_lo_u32 v11, v6, s21
	s_add_u32 s2, s2, 32
	v_sub_u32_e32 v9, v9, v11
	s_addc_u32 s3, s3, 0
	v_mul_lo_u32 v7, v5, s8
	v_mul_lo_u32 v5, v5, s9
	;; [unrolled: 1-line block ×4, first 2 shown]
	s_cmp_lg_u32 s26, s28
	v_add3_u32 v14, v5, v4, v9
	v_add3_u32 v4, v7, v1, v11
	s_cbranch_scc1 .LBB7_50
; %bb.51:
	v_mov_b32_e32 v1, v14
	s_and_b32 s6, s27, 3
	s_cmp_eq_u32 s6, 0
	s_cbranch_scc0 .LBB7_55
	s_branch .LBB7_57
.LBB7_52:
                                        ; implicit-def: $vgpr14
                                        ; implicit-def: $vgpr4
	s_branch .LBB7_58
.LBB7_53:
	v_mov_b32_e32 v14, 0
	v_mov_b32_e32 v4, 0
	s_branch .LBB7_57
.LBB7_54:
	v_mov_b32_e32 v4, 0
                                        ; implicit-def: $vgpr14
	v_mov_b32_e32 v1, v4
	v_mov_b32_e32 v6, v3
	s_and_b32 s6, s27, 3
	s_cmp_eq_u32 s6, 0
	s_cbranch_scc1 .LBB7_57
.LBB7_55:
	s_lshl_b32 s2, s26, 3
	s_add_u32 s2, s34, s2
	s_addc_u32 s3, s35, 0
	s_add_u32 s2, s2, 0xc4
	s_addc_u32 s3, s3, 0
	s_mul_i32 s4, s26, 12
	s_add_u32 s4, s34, s4
	s_addc_u32 s5, s35, 0
.LBB7_56:                               ; =>This Inner Loop Header: Depth=1
	s_load_dwordx2 s[8:9], s[4:5], 0x4
	s_load_dword s7, s[4:5], 0xc
	s_load_dwordx2 s[10:11], s[2:3], 0x0
	v_mov_b32_e32 v12, v1
	s_add_u32 s4, s4, 12
	s_waitcnt lgkmcnt(0)
	v_mul_hi_u32 v1, s9, v6
	v_add_u32_e32 v1, v6, v1
	v_lshrrev_b32_e32 v1, s7, v1
	s_addc_u32 s5, s5, 0
	v_mul_lo_u32 v5, v1, s8
	s_add_u32 s2, s2, 8
	v_sub_u32_e32 v5, v6, v5
	s_addc_u32 s3, s3, 0
	s_add_i32 s6, s6, -1
	v_mad_u64_u32 v[14:15], s[8:9], v5, s11, v[12:13]
	s_cmp_lg_u32 s6, 0
	v_mov_b32_e32 v6, v1
	v_mad_u64_u32 v[4:5], s[8:9], v5, s10, v[4:5]
	v_mov_b32_e32 v1, v14
	s_cbranch_scc1 .LBB7_56
.LBB7_57:
	s_cbranch_execnz .LBB7_60
.LBB7_58:
	s_load_dwordx4 s[4:7], s[34:35], 0x4
	s_load_dwordx2 s[2:3], s[34:35], 0xc4
	s_cmp_lt_u32 s33, 2
	s_waitcnt lgkmcnt(0)
	v_mul_hi_u32 v1, s5, v3
	v_add_u32_e32 v1, v3, v1
	v_lshrrev_b32_e32 v1, s6, v1
	v_mul_lo_u32 v4, v1, s4
	v_sub_u32_e32 v3, v3, v4
	v_mul_lo_u32 v14, v3, s3
	v_mul_lo_u32 v4, v3, s2
	s_cbranch_scc1 .LBB7_60
; %bb.59:
	s_load_dwordx4 s[4:7], s[34:35], 0x10
	s_load_dwordx2 s[2:3], s[34:35], 0xcc
	s_waitcnt lgkmcnt(0)
	v_mul_hi_u32 v3, s5, v1
	v_add_u32_e32 v3, v1, v3
	v_lshrrev_b32_e32 v3, s6, v3
	v_mul_lo_u32 v3, v3, s4
	v_sub_u32_e32 v1, v1, v3
	v_mad_u64_u32 v[4:5], s[4:5], v1, s2, v[4:5]
	v_mad_u64_u32 v[14:15], s[2:3], v1, s3, v[14:15]
.LBB7_60:
	s_and_b64 vcc, exec, s[0:1]
	s_cbranch_vccnz .LBB7_66
; %bb.61:
	s_cmp_lg_u32 s33, 0
	s_waitcnt lgkmcnt(0)
	s_mov_b32 s24, 0
	s_cbranch_scc0 .LBB7_67
; %bb.62:
	s_min_u32 s25, s58, 15
	s_add_i32 s25, s25, 1
	s_cmp_eq_u32 s58, 2
	s_cbranch_scc1 .LBB7_68
; %bb.63:
	s_and_b32 s24, s25, 28
	s_add_u32 s20, s34, 0xc4
	s_addc_u32 s21, s35, 0
	s_mov_b32 s26, 0
	v_mov_b32_e32 v6, 0
	v_mov_b32_e32 v12, 0
	s_mov_b64 s[22:23], s[34:35]
	v_mov_b32_e32 v3, v10
.LBB7_64:                               ; =>This Inner Loop Header: Depth=1
	s_load_dwordx8 s[8:15], s[22:23], 0x4
	s_load_dwordx4 s[16:19], s[22:23], 0x24
	s_load_dwordx8 s[0:7], s[20:21], 0x0
	s_add_u32 s22, s22, 48
	s_addc_u32 s23, s23, 0
	s_waitcnt lgkmcnt(0)
	v_mul_hi_u32 v1, s9, v3
	v_add_u32_e32 v1, v3, v1
	v_lshrrev_b32_e32 v1, s10, v1
	v_mul_lo_u32 v5, v1, s8
	v_mul_hi_u32 v7, s12, v1
	v_sub_u32_e32 v3, v3, v5
	v_add_u32_e32 v5, v1, v7
	v_lshrrev_b32_e32 v5, s13, v5
	v_mul_lo_u32 v9, v5, s11
	v_mul_hi_u32 v11, s15, v5
	v_sub_u32_e32 v1, v1, v9
	v_add_u32_e32 v9, v5, v11
	v_mul_lo_u32 v7, v3, s1
	v_mul_lo_u32 v3, v3, s0
	;; [unrolled: 1-line block ×4, first 2 shown]
	v_lshrrev_b32_e32 v9, s16, v9
	v_add3_u32 v1, v3, v6, v1
	v_add3_u32 v6, v7, v12, v11
	v_mul_lo_u32 v3, v9, s14
	v_mul_hi_u32 v7, s18, v9
	v_sub_u32_e32 v3, v5, v3
	v_add_u32_e32 v5, v9, v7
	v_mul_lo_u32 v7, v3, s4
	v_mul_lo_u32 v11, v3, s5
	v_lshrrev_b32_e32 v3, s19, v5
	s_add_i32 s26, s26, 4
	v_mul_lo_u32 v5, v3, s17
	s_add_u32 s20, s20, 32
	v_sub_u32_e32 v5, v9, v5
	s_addc_u32 s21, s21, 0
	v_mul_lo_u32 v9, v5, s6
	v_mul_lo_u32 v5, v5, s7
	s_cmp_lg_u32 s24, s26
	v_add3_u32 v12, v11, v6, v5
	v_add3_u32 v6, v7, v1, v9
	s_cbranch_scc1 .LBB7_64
; %bb.65:
	v_mov_b32_e32 v1, v12
	s_and_b32 s4, s25, 3
	s_cmp_eq_u32 s4, 0
	s_cbranch_scc0 .LBB7_69
	s_branch .LBB7_71
.LBB7_66:
                                        ; implicit-def: $vgpr12
                                        ; implicit-def: $vgpr6
	s_branch .LBB7_72
.LBB7_67:
	v_mov_b32_e32 v12, 0
	v_mov_b32_e32 v6, 0
	s_branch .LBB7_71
.LBB7_68:
	v_mov_b32_e32 v6, 0
                                        ; implicit-def: $vgpr12
	v_mov_b32_e32 v1, v6
	v_mov_b32_e32 v3, v10
	s_and_b32 s4, s25, 3
	s_cmp_eq_u32 s4, 0
	s_cbranch_scc1 .LBB7_71
.LBB7_69:
	s_lshl_b32 s0, s24, 3
	s_add_u32 s0, s34, s0
	s_addc_u32 s1, s35, 0
	s_add_u32 s0, s0, 0xc4
	s_addc_u32 s1, s1, 0
	s_mul_i32 s2, s24, 12
	s_add_u32 s2, s34, s2
	s_addc_u32 s3, s35, 0
.LBB7_70:                               ; =>This Inner Loop Header: Depth=1
	s_load_dwordx2 s[6:7], s[2:3], 0x4
	s_load_dword s5, s[2:3], 0xc
	s_load_dwordx2 s[8:9], s[0:1], 0x0
	v_mov_b32_e32 v12, v1
	s_add_u32 s2, s2, 12
	s_waitcnt lgkmcnt(0)
	v_mul_hi_u32 v1, s7, v3
	v_add_u32_e32 v1, v3, v1
	v_lshrrev_b32_e32 v1, s5, v1
	s_addc_u32 s3, s3, 0
	v_mul_lo_u32 v5, v1, s6
	s_add_u32 s0, s0, 8
	v_sub_u32_e32 v5, v3, v5
	s_addc_u32 s1, s1, 0
	s_add_i32 s4, s4, -1
	v_mad_u64_u32 v[12:13], s[6:7], v5, s9, v[12:13]
	s_cmp_lg_u32 s4, 0
	v_mov_b32_e32 v3, v1
	v_mad_u64_u32 v[6:7], s[6:7], v5, s8, v[6:7]
	v_mov_b32_e32 v1, v12
	s_cbranch_scc1 .LBB7_70
.LBB7_71:
	s_cbranch_execnz .LBB7_74
.LBB7_72:
	s_load_dwordx4 s[0:3], s[34:35], 0x4
	s_load_dwordx2 s[4:5], s[34:35], 0xc4
	s_cmp_lt_u32 s33, 2
	s_waitcnt lgkmcnt(0)
	v_mul_hi_u32 v1, s1, v10
	v_add_u32_e32 v1, v10, v1
	v_lshrrev_b32_e32 v1, s2, v1
	v_mul_lo_u32 v3, v1, s0
	v_sub_u32_e32 v3, v10, v3
	v_mul_lo_u32 v12, v3, s5
	v_mul_lo_u32 v6, v3, s4
	s_cbranch_scc1 .LBB7_74
; %bb.73:
	s_load_dwordx4 s[0:3], s[34:35], 0x10
	s_load_dwordx2 s[4:5], s[34:35], 0xcc
	s_waitcnt lgkmcnt(0)
	v_mul_hi_u32 v3, s1, v1
	v_add_u32_e32 v3, v1, v3
	v_lshrrev_b32_e32 v3, s2, v3
	v_mul_lo_u32 v3, v3, s0
	v_sub_u32_e32 v1, v1, v3
	v_mad_u64_u32 v[6:7], s[0:1], v1, s4, v[6:7]
	v_mad_u64_u32 v[12:13], s[0:1], v1, s5, v[12:13]
.LBB7_74:
	s_load_dwordx4 s[4:7], s[34:35], 0x148
	s_mov_b32 s2, 0
	s_mov_b32 s3, 0x7ff00000
	v_mov_b32_e32 v10, 0
	v_mov_b32_e32 v11, 0x7ff80000
	s_waitcnt lgkmcnt(0)
	global_load_dwordx2 v[18:19], v8, s[6:7]
	v_mov_b32_e32 v8, 0
	v_mov_b32_e32 v9, 0x7ff80000
	s_waitcnt vmcnt(0)
	v_cmp_neq_f64_e64 s[0:1], |v[18:19]|, s[2:3]
	s_and_saveexec_b64 s[8:9], s[0:1]
	s_cbranch_execz .LBB7_96
; %bb.75:
	s_mov_b32 s0, 0x872b020c
	s_mov_b32 s1, 0x4059f916
	v_cmp_nlt_f64_e32 vcc, s[0:1], v[18:19]
	v_mov_b64_e32 v[10:11], 0
	s_and_saveexec_b64 s[10:11], vcc
	s_cbranch_execz .LBB7_95
; %bb.76:
	s_mov_b32 s1, 0xc000b851
	s_mov_b32 s0, 0xeb851eb8
	v_cmp_ngt_f64_e32 vcc, s[0:1], v[18:19]
                                        ; implicit-def: $vgpr10_vgpr11
	s_and_saveexec_b64 s[12:13], vcc
	s_xor_b64 s[12:13], exec, s[12:13]
	s_cbranch_execz .LBB7_84
; %bb.77:
	s_mov_b32 s1, 0x4000b851
	v_cmp_nle_f64_e64 s[14:15], s[0:1], v[18:19]
	v_cmp_le_f64_e32 vcc, s[0:1], v[18:19]
	v_mov_b64_e32 v[10:11], 0
	s_mov_b64 s[0:1], s[14:15]
	s_and_saveexec_b64 s[16:17], vcc
	s_cbranch_execz .LBB7_79
; %bb.78:
	s_mov_b32 s0, 0
	s_brev_b32 s1, 8
	v_mov_b32_e32 v1, 0x100
	v_cmp_gt_f64_e32 vcc, s[0:1], v[18:19]
	v_add_f64 v[22:23], v[18:19], v[18:19]
	s_mov_b32 s18, 0
	v_cndmask_b32_e32 v3, 0, v1, vcc
	v_ldexp_f64 v[10:11], v[18:19], v3
	v_rsq_f64_e32 v[20:21], v[10:11]
	v_mov_b32_e32 v3, 0xffffff80
	v_cndmask_b32_e32 v5, 0, v3, vcc
	s_mov_b32 s19, 0x40080000
	v_mul_f64 v[24:25], v[10:11], v[20:21]
	v_mul_f64 v[20:21], v[20:21], 0.5
	v_fma_f64 v[26:27], -v[20:21], v[24:25], 0.5
	v_fmac_f64_e32 v[24:25], v[24:25], v[26:27]
	v_fma_f64 v[28:29], -v[24:25], v[24:25], v[10:11]
	v_fmac_f64_e32 v[20:21], v[20:21], v[26:27]
	v_fmac_f64_e32 v[24:25], v[28:29], v[20:21]
	v_fma_f64 v[26:27], -v[24:25], v[24:25], v[10:11]
	v_fmac_f64_e32 v[24:25], v[26:27], v[20:21]
	v_ldexp_f64 v[20:21], v[24:25], v5
	v_mov_b32_e32 v5, 0x260
	v_cmp_class_f64_e32 vcc, v[10:11], v5
	s_nop 1
	v_cndmask_b32_e32 v21, v21, v11, vcc
	v_cndmask_b32_e32 v20, v20, v10, vcc
	v_mul_f64 v[10:11], v[22:23], v[20:21]
	v_div_scale_f64 v[22:23], s[20:21], s[18:19], s[18:19], v[10:11]
	v_rcp_f64_e32 v[24:25], v[22:23]
	s_nop 0
	v_fma_f64 v[26:27], -v[22:23], v[24:25], 1.0
	v_fmac_f64_e32 v[24:25], v[24:25], v[26:27]
	v_fma_f64 v[26:27], -v[22:23], v[24:25], 1.0
	v_fmac_f64_e32 v[24:25], v[24:25], v[26:27]
	v_div_scale_f64 v[26:27], vcc, v[10:11], s[18:19], v[10:11]
	v_mul_f64 v[28:29], v[26:27], v[24:25]
	v_fma_f64 v[22:23], -v[22:23], v[28:29], v[26:27]
	s_nop 1
	v_div_fmas_f64 v[22:23], v[22:23], v[24:25], v[28:29]
	v_div_fixup_f64 v[10:11], v[22:23], s[18:19], v[10:11]
	v_div_scale_f64 v[22:23], s[18:19], v[10:11], v[10:11], 1.0
	v_rcp_f64_e32 v[24:25], v[22:23]
	s_nop 0
	v_fma_f64 v[26:27], -v[22:23], v[24:25], 1.0
	v_fmac_f64_e32 v[24:25], v[24:25], v[26:27]
	v_fma_f64 v[26:27], -v[22:23], v[24:25], 1.0
	v_fmac_f64_e32 v[24:25], v[24:25], v[26:27]
	v_div_scale_f64 v[26:27], vcc, 1.0, v[10:11], 1.0
	v_mul_f64 v[28:29], v[26:27], v[24:25]
	v_fma_f64 v[22:23], -v[22:23], v[28:29], v[26:27]
	v_mov_b32_e32 v26, 0x871a9067
	s_nop 0
	v_div_fmas_f64 v[22:23], v[22:23], v[24:25], v[28:29]
	v_div_fixup_f64 v[22:23], v[22:23], v[10:11], 1.0
	v_mov_b32_e32 v24, 0x2537b658
	v_mov_b32_e32 v25, 0x3fd62dae
	v_fmac_f64_e32 v[24:25], 0, v[22:23]
	v_mov_b32_e32 v27, 0x402803e3
	v_fmac_f64_e32 v[26:27], v[22:23], v[24:25]
	v_mov_b32_e32 v24, 0xde2e1e3
	v_mov_b32_e32 v25, 0x405311e5
	v_fmac_f64_e32 v[24:25], v[22:23], v[26:27]
	v_mov_b32_e32 v26, 0xee40073c
	v_mov_b32_e32 v27, 0x406502da
	v_fmac_f64_e32 v[26:27], v[22:23], v[24:25]
	v_mov_b32_e32 v24, 0x5ba1fddf
	v_mov_b32_e32 v25, 0x4063f834
	v_fmac_f64_e32 v[24:25], v[22:23], v[26:27]
	v_mov_b32_e32 v26, 0x4f4cea4f
	v_mov_b32_e32 v27, 0x4051a24f
	v_fmac_f64_e32 v[26:27], v[22:23], v[24:25]
	v_mov_b32_e32 v24, 0x5c2a0f4d
	v_mov_b32_e32 v25, 0x402c0d8d
	v_fmac_f64_e32 v[24:25], v[22:23], v[26:27]
	v_mov_b32_e32 v26, 0x2624d31
	v_mov_b32_e32 v27, 0x3fe229bc
	v_fmac_f64_e32 v[26:27], 0, v[22:23]
	v_mov_b32_e32 v28, 0x5332ca5
	v_mov_b32_e32 v29, 0x402d8334
	v_fmac_f64_e32 v[28:29], v[22:23], v[26:27]
	v_mov_b32_e32 v26, 0xb04d51a0
	v_mov_b32_e32 v27, 0x405520e3
	v_fmac_f64_e32 v[26:27], v[22:23], v[28:29]
	v_mov_b32_e32 v28, 0xc730b7b0
	v_mov_b32_e32 v29, 0x40662a2d
	v_fmac_f64_e32 v[28:29], v[22:23], v[26:27]
	v_mov_b32_e32 v26, 0x9a9ffa61
	v_mov_b32_e32 v27, 0x40648782
	v_fmac_f64_e32 v[26:27], v[22:23], v[28:29]
	v_mov_b32_e32 v28, 0xee91d35f
	v_mov_b32_e32 v29, 0x4051de94
	v_fmac_f64_e32 v[28:29], v[22:23], v[26:27]
	v_mov_b32_e32 v26, 0x950d9d81
	v_mov_b32_e32 v27, 0x402c311b
	v_fmac_f64_e32 v[26:27], v[22:23], v[28:29]
	v_fma_f64 v[26:27], v[22:23], v[26:27], 1.0
	v_fma_f64 v[22:23], v[22:23], v[24:25], 1.0
	v_div_scale_f64 v[24:25], s[18:19], v[26:27], v[26:27], v[22:23]
	v_rcp_f64_e32 v[28:29], v[24:25]
	s_nop 0
	v_fma_f64 v[30:31], -v[24:25], v[28:29], 1.0
	v_fmac_f64_e32 v[28:29], v[28:29], v[30:31]
	v_fma_f64 v[30:31], -v[24:25], v[28:29], 1.0
	v_fmac_f64_e32 v[28:29], v[28:29], v[30:31]
	v_div_scale_f64 v[30:31], vcc, v[22:23], v[26:27], v[22:23]
	v_mul_f64 v[32:33], v[30:31], v[28:29]
	v_fma_f64 v[24:25], -v[24:25], v[32:33], v[30:31]
	s_nop 1
	v_div_fmas_f64 v[24:25], v[24:25], v[28:29], v[32:33]
	v_cmp_gt_f64_e32 vcc, s[0:1], v[20:21]
	v_div_fixup_f64 v[22:23], v[24:25], v[26:27], v[22:23]
	s_mov_b32 s0, 0x50429b6d
	v_cndmask_b32_e32 v1, 0, v1, vcc
	v_ldexp_f64 v[24:25], v[20:21], v1
	v_rsq_f64_e32 v[26:27], v[24:25]
	s_mov_b32 s1, 0x3fe20dd7
	v_mul_f64 v[20:21], v[22:23], s[0:1]
	v_cndmask_b32_e32 v1, 0, v3, vcc
	v_mul_f64 v[22:23], v[24:25], v[26:27]
	v_mul_f64 v[26:27], v[26:27], 0.5
	v_fma_f64 v[28:29], -v[26:27], v[22:23], 0.5
	v_fmac_f64_e32 v[22:23], v[22:23], v[28:29]
	v_fma_f64 v[30:31], -v[22:23], v[22:23], v[24:25]
	v_fmac_f64_e32 v[26:27], v[26:27], v[28:29]
	v_fmac_f64_e32 v[22:23], v[30:31], v[26:27]
	v_fma_f64 v[28:29], -v[22:23], v[22:23], v[24:25]
	v_fmac_f64_e32 v[22:23], v[28:29], v[26:27]
	s_mov_b32 s0, 0x652b82fe
	v_ldexp_f64 v[22:23], v[22:23], v1
	v_cmp_class_f64_e32 vcc, v[24:25], v5
	s_mov_b32 s1, 0x3ff71547
	v_mov_b32_e32 v28, 0xfca7ab0c
	v_cndmask_b32_e32 v23, v23, v25, vcc
	v_cndmask_b32_e32 v22, v22, v24, vcc
	v_mul_f64 v[24:25], v[10:11], s[0:1]
	s_mov_b32 s0, 0xfefa39ef
	v_rndne_f64_e32 v[24:25], v[24:25]
	s_mov_b32 s1, 0xbfe62e42
	v_fma_f64 v[26:27], s[0:1], v[24:25], v[10:11]
	s_mov_b32 s0, 0x3b39803f
	s_mov_b32 s1, 0xbc7abc9e
	v_fmac_f64_e32 v[26:27], s[0:1], v[24:25]
	s_mov_b32 s0, 0x6a5dcb37
	v_mov_b32_e32 v29, 0x3e928af3
	s_mov_b32 s1, 0x3e5ade15
	v_fmac_f64_e32 v[28:29], s[0:1], v[26:27]
	v_mov_b32_e32 v30, 0x623fde64
	v_mov_b32_e32 v31, 0x3ec71dee
	v_fmac_f64_e32 v[30:31], v[26:27], v[28:29]
	v_mov_b32_e32 v28, 0x7c89e6b0
	v_mov_b32_e32 v29, 0x3efa0199
	;; [unrolled: 3-line block ×8, first 2 shown]
	s_mov_b32 s0, 0
	v_fmac_f64_e32 v[28:29], v[26:27], v[30:31]
	s_mov_b32 s1, 0x40900000
	v_fma_f64 v[28:29], v[26:27], v[28:29], 1.0
	v_cmp_nlt_f64_e32 vcc, s[0:1], v[10:11]
	s_mov_b32 s0, 0
	v_fma_f64 v[26:27], v[26:27], v[28:29], 1.0
	v_cvt_i32_f64_e32 v1, v[24:25]
	s_mov_b32 s1, 0xc090cc00
	v_ldexp_f64 v[24:25], v[26:27], v1
	v_mov_b32_e32 v1, 0x7ff00000
	v_cmp_ngt_f64_e64 s[0:1], s[0:1], v[10:11]
	v_cndmask_b32_e32 v1, v1, v25, vcc
	s_and_b64 vcc, s[0:1], vcc
	v_add_f64 v[22:23], v[22:23], v[22:23]
	v_cndmask_b32_e64 v11, 0, v1, s[0:1]
	v_cndmask_b32_e32 v10, 0, v24, vcc
	v_mul_f64 v[10:11], v[22:23], v[10:11]
	v_div_scale_f64 v[22:23], s[0:1], v[10:11], v[10:11], v[20:21]
	v_rcp_f64_e32 v[24:25], v[22:23]
	s_mov_b32 s0, 0xfd0a823a
	s_mov_b32 s1, 0x4020a402
	v_fma_f64 v[26:27], -v[22:23], v[24:25], 1.0
	v_fmac_f64_e32 v[24:25], v[24:25], v[26:27]
	v_fma_f64 v[26:27], -v[22:23], v[24:25], 1.0
	v_fmac_f64_e32 v[24:25], v[24:25], v[26:27]
	v_div_scale_f64 v[26:27], vcc, v[20:21], v[10:11], v[20:21]
	v_mul_f64 v[28:29], v[26:27], v[24:25]
	v_fma_f64 v[22:23], -v[22:23], v[28:29], v[26:27]
	s_nop 1
	v_div_fmas_f64 v[22:23], v[22:23], v[24:25], v[28:29]
	v_cmp_nlt_f64_e32 vcc, s[0:1], v[18:19]
	s_andn2_b64 s[0:1], s[14:15], exec
	s_and_b64 s[18:19], vcc, exec
	v_div_fixup_f64 v[10:11], v[22:23], v[10:11], v[20:21]
	s_or_b64 s[0:1], s[0:1], s[18:19]
.LBB7_79:
	s_or_b64 exec, exec, s[16:17]
	s_and_saveexec_b64 s[16:17], s[0:1]
	s_cbranch_execz .LBB7_83
; %bb.80:
	v_mul_f64 v[20:21], v[18:19], v[18:19]
	s_mov_b32 s20, 0
	v_mul_f64 v[22:23], v[18:19], v[20:21]
	v_mov_b64_e32 v[28:29], 1.0
	s_mov_b64 s[18:19], 0
	v_mov_b64_e32 v[26:27], 1.0
	s_mov_b32 s21, 0x3cb00000
	v_mov_b64_e32 v[24:25], v[18:19]
	v_mov_b64_e32 v[20:21], 1.0
.LBB7_81:                               ; =>This Inner Loop Header: Depth=1
	v_mul_f64 v[28:29], v[22:23], v[28:29]
	v_add_f64 v[30:31], v[26:27], 1.0
	v_mul_f64 v[18:19], v[22:23], v[18:19]
	v_div_scale_f64 v[32:33], s[0:1], v[30:31], v[30:31], v[28:29]
	v_add_f64 v[36:37], v[30:31], 1.0
	v_rcp_f64_e32 v[38:39], v[32:33]
	v_div_scale_f64 v[40:41], s[0:1], v[36:37], v[36:37], v[18:19]
	v_rcp_f64_e32 v[44:45], v[40:41]
	v_fma_f64 v[46:47], -v[32:33], v[38:39], 1.0
	v_fmac_f64_e32 v[38:39], v[38:39], v[46:47]
	v_fma_f64 v[48:49], -v[32:33], v[38:39], 1.0
	v_fma_f64 v[46:47], -v[40:41], v[44:45], 1.0
	v_fmac_f64_e32 v[44:45], v[44:45], v[46:47]
	v_div_scale_f64 v[34:35], vcc, v[28:29], v[30:31], v[28:29]
	v_fmac_f64_e32 v[38:39], v[38:39], v[48:49]
	v_fma_f64 v[46:47], -v[40:41], v[44:45], 1.0
	v_div_scale_f64 v[42:43], s[0:1], v[18:19], v[36:37], v[18:19]
	v_mul_f64 v[48:49], v[34:35], v[38:39]
	v_fmac_f64_e32 v[44:45], v[44:45], v[46:47]
	v_fma_f64 v[32:33], -v[32:33], v[48:49], v[34:35]
	v_mul_f64 v[34:35], v[42:43], v[44:45]
	v_div_fmas_f64 v[32:33], v[32:33], v[38:39], v[48:49]
	v_fma_f64 v[38:39], -v[40:41], v[34:35], v[42:43]
	s_mov_b64 vcc, s[0:1]
	v_div_fixup_f64 v[28:29], v[32:33], v[30:31], v[28:29]
	v_div_fmas_f64 v[30:31], v[38:39], v[44:45], v[34:35]
	v_div_fixup_f64 v[18:19], v[30:31], v[36:37], v[18:19]
	v_div_scale_f64 v[30:31], s[0:1], v[36:37], v[36:37], v[28:29]
	v_add_f64 v[26:27], v[36:37], 1.0
	v_rcp_f64_e32 v[34:35], v[30:31]
	v_div_scale_f64 v[38:39], s[0:1], v[26:27], v[26:27], v[18:19]
	v_rcp_f64_e32 v[42:43], v[38:39]
	v_fma_f64 v[44:45], -v[30:31], v[34:35], 1.0
	v_fmac_f64_e32 v[34:35], v[34:35], v[44:45]
	v_fma_f64 v[46:47], -v[30:31], v[34:35], 1.0
	v_fma_f64 v[44:45], -v[38:39], v[42:43], 1.0
	v_div_scale_f64 v[32:33], vcc, v[28:29], v[36:37], v[28:29]
	v_fmac_f64_e32 v[42:43], v[42:43], v[44:45]
	v_fmac_f64_e32 v[34:35], v[34:35], v[46:47]
	v_fma_f64 v[44:45], -v[38:39], v[42:43], 1.0
	v_mul_f64 v[46:47], v[32:33], v[34:35]
	v_div_scale_f64 v[40:41], s[0:1], v[18:19], v[26:27], v[18:19]
	v_fmac_f64_e32 v[42:43], v[42:43], v[44:45]
	v_fma_f64 v[30:31], -v[30:31], v[46:47], v[32:33]
	v_mul_f64 v[32:33], v[40:41], v[42:43]
	v_div_fmas_f64 v[30:31], v[30:31], v[34:35], v[46:47]
	v_fma_f64 v[34:35], -v[38:39], v[32:33], v[40:41]
	v_div_fixup_f64 v[28:29], v[30:31], v[36:37], v[28:29]
	s_mov_b64 vcc, s[0:1]
	v_div_fmas_f64 v[30:31], v[34:35], v[42:43], v[32:33]
	v_add_f64 v[20:21], v[20:21], v[28:29]
	v_div_fixup_f64 v[18:19], v[30:31], v[26:27], v[18:19]
	v_div_scale_f64 v[30:31], s[0:1], v[20:21], v[20:21], v[28:29]
	v_rcp_f64_e32 v[32:33], v[30:31]
	v_div_scale_f64 v[34:35], vcc, v[28:29], v[20:21], v[28:29]
	v_add_f64 v[24:25], v[24:25], v[18:19]
	v_fma_f64 v[36:37], -v[30:31], v[32:33], 1.0
	v_fmac_f64_e32 v[32:33], v[32:33], v[36:37]
	v_fma_f64 v[36:37], -v[30:31], v[32:33], 1.0
	v_fmac_f64_e32 v[32:33], v[32:33], v[36:37]
	v_mul_f64 v[36:37], v[34:35], v[32:33]
	v_fma_f64 v[30:31], -v[30:31], v[36:37], v[34:35]
	v_div_fmas_f64 v[30:31], v[30:31], v[32:33], v[36:37]
	v_div_fixup_f64 v[30:31], v[30:31], v[20:21], v[28:29]
	v_cmp_ngt_f64_e64 s[0:1], |v[30:31]|, s[20:21]
	s_or_b64 s[18:19], s[0:1], s[18:19]
	s_andn2_b64 exec, exec, s[18:19]
	s_cbranch_execnz .LBB7_81
; %bb.82:
	s_or_b64 exec, exec, s[18:19]
	s_mov_b32 s0, 0x42b70f8b
	s_mov_b32 s1, 0xbfd0907f
	v_mul_f64 v[18:19], v[24:25], s[0:1]
	s_mov_b32 s0, 0x962715b8
	s_mov_b32 s1, 0x3fd6b8c7
	v_fmac_f64_e32 v[18:19], s[0:1], v[20:21]
	v_cndmask_b32_e64 v11, v11, v19, s[14:15]
	v_cndmask_b32_e64 v10, v10, v18, s[14:15]
.LBB7_83:
	s_or_b64 exec, exec, s[16:17]
                                        ; implicit-def: $vgpr18_vgpr19
.LBB7_84:
	s_andn2_saveexec_b64 s[12:13], s[12:13]
	s_cbranch_execz .LBB7_94
; %bb.85:
	s_mov_b32 s0, 0
	s_brev_b32 s1, 9
	v_mov_b32_e32 v1, 0x100
	v_cmp_lt_f64_e32 vcc, s[0:1], v[18:19]
	s_mov_b32 s14, 0
	s_mov_b32 s15, 0x40080000
	v_cndmask_b32_e32 v1, 0, v1, vcc
	v_ldexp_f64 v[10:11], -v[18:19], v1
	v_rsq_f64_e32 v[20:21], v[10:11]
	v_mov_b32_e32 v1, 0xffffff80
	v_cndmask_b32_e32 v1, 0, v1, vcc
	v_mul_f64 v[18:19], v[18:19], -2.0
	v_mul_f64 v[22:23], v[10:11], v[20:21]
	v_mul_f64 v[20:21], v[20:21], 0.5
	v_fma_f64 v[24:25], -v[20:21], v[22:23], 0.5
	v_fmac_f64_e32 v[22:23], v[22:23], v[24:25]
	v_fma_f64 v[26:27], -v[22:23], v[22:23], v[10:11]
	v_fmac_f64_e32 v[20:21], v[20:21], v[24:25]
	v_fmac_f64_e32 v[22:23], v[26:27], v[20:21]
	v_fma_f64 v[24:25], -v[22:23], v[22:23], v[10:11]
	v_fmac_f64_e32 v[22:23], v[24:25], v[20:21]
	v_ldexp_f64 v[20:21], v[22:23], v1
	v_mov_b32_e32 v1, 0x260
	v_cmp_class_f64_e32 vcc, v[10:11], v1
	s_mov_b32 s17, 0x3fe921fb
	s_mov_b32 s16, 0x54442d18
	v_cndmask_b32_e32 v11, v21, v11, vcc
	v_cndmask_b32_e32 v10, v20, v10, vcc
	v_mul_f64 v[18:19], v[18:19], v[10:11]
	v_div_scale_f64 v[20:21], s[0:1], s[14:15], s[14:15], v[18:19]
	v_rcp_f64_e32 v[22:23], v[20:21]
	s_movk_i32 s0, 0xff80
                                        ; implicit-def: $vgpr3
                                        ; implicit-def: $vgpr28_vgpr29
	v_fma_f64 v[24:25], -v[20:21], v[22:23], 1.0
	v_fmac_f64_e32 v[22:23], v[22:23], v[24:25]
	v_fma_f64 v[24:25], -v[20:21], v[22:23], 1.0
	v_fmac_f64_e32 v[22:23], v[22:23], v[24:25]
	v_div_scale_f64 v[24:25], vcc, v[18:19], s[14:15], v[18:19]
	v_mul_f64 v[26:27], v[24:25], v[22:23]
	v_fma_f64 v[20:21], -v[20:21], v[26:27], v[24:25]
	s_nop 1
	v_div_fmas_f64 v[20:21], v[20:21], v[22:23], v[26:27]
	v_div_fixup_f64 v[24:25], v[20:21], s[14:15], v[18:19]
	s_mov_b32 s14, 0
	v_add_f64 v[18:19], v[24:25], s[16:17]
	s_mov_b32 s15, 0x41d00000
	v_cmp_nlt_f64_e64 s[14:15], |v[18:19]|, s[14:15]
                                        ; implicit-def: $vgpr26_vgpr27
	s_and_saveexec_b64 s[18:19], s[14:15]
	s_xor_b64 s[18:19], exec, s[18:19]
	s_cbranch_execz .LBB7_87
; %bb.86:
	s_mov_b32 s20, 0
	s_mov_b32 s21, 0x7b000000
	v_and_b32_e32 v1, 0x7fffffff, v19
	v_ldexp_f64 v[26:27], |v[18:19]|, s0
	v_cmp_ge_f64_e64 vcc, |v[18:19]|, s[20:21]
	v_trig_preop_f64 v[20:21], |v[18:19]|, 0
	v_trig_preop_f64 v[22:23], |v[18:19]|, 1
	v_cndmask_b32_e32 v27, v1, v27, vcc
	v_cndmask_b32_e32 v26, v18, v26, vcc
	v_mul_f64 v[30:31], v[20:21], v[26:27]
	v_mul_f64 v[28:29], v[22:23], v[26:27]
	v_fma_f64 v[20:21], v[20:21], v[26:27], -v[30:31]
	v_add_f64 v[32:33], v[28:29], v[20:21]
	v_add_f64 v[40:41], v[32:33], -v[28:29]
	v_add_f64 v[20:21], v[20:21], -v[40:41]
	v_add_f64 v[40:41], v[32:33], -v[40:41]
	v_add_f64 v[40:41], v[28:29], -v[40:41]
	v_fma_f64 v[22:23], v[22:23], v[26:27], -v[28:29]
	v_trig_preop_f64 v[28:29], |v[18:19]|, 2
	v_add_f64 v[20:21], v[20:21], v[40:41]
	v_mul_f64 v[40:41], v[28:29], v[26:27]
	v_add_f64 v[42:43], v[40:41], v[22:23]
	v_add_f64 v[34:35], v[30:31], v[32:33]
	;; [unrolled: 1-line block ×3, first 2 shown]
	v_ldexp_f64 v[36:37], v[34:35], -2
	v_add_f64 v[30:31], v[34:35], -v[30:31]
	v_add_f64 v[34:35], v[44:45], -v[42:43]
	;; [unrolled: 1-line block ×5, first 2 shown]
	v_add_f64 v[20:21], v[20:21], v[34:35]
	v_add_f64 v[34:35], v[42:43], -v[40:41]
	v_add_f64 v[22:23], v[22:23], -v[34:35]
	;; [unrolled: 1-line block ×4, first 2 shown]
	v_add_f64 v[22:23], v[22:23], v[34:35]
	s_mov_b32 s0, 0
	v_fract_f64_e32 v[38:39], v[36:37]
	v_add_f64 v[20:21], v[22:23], v[20:21]
	v_fma_f64 v[22:23], v[28:29], v[26:27], -v[40:41]
	s_mov_b32 s1, 0x7ff00000
	v_add_f64 v[30:31], v[32:33], -v[30:31]
	v_add_f64 v[20:21], v[22:23], v[20:21]
	v_ldexp_f64 v[22:23], v[38:39], 2
	v_cmp_neq_f64_e64 vcc, |v[36:37]|, s[0:1]
	v_add_f64 v[32:33], v[30:31], v[44:45]
	v_mov_b32_e32 v1, 0x40100000
	v_cndmask_b32_e32 v23, 0, v23, vcc
	v_cndmask_b32_e32 v22, 0, v22, vcc
	v_add_f64 v[26:27], v[32:33], v[22:23]
	v_cmp_gt_f64_e32 vcc, 0, v[26:27]
	v_mov_b32_e32 v26, 0
	v_add_f64 v[30:31], v[32:33], -v[30:31]
	v_cndmask_b32_e32 v27, 0, v1, vcc
	v_add_f64 v[22:23], v[22:23], v[26:27]
	v_add_f64 v[28:29], v[32:33], v[22:23]
	v_cvt_i32_f64_e32 v1, v[28:29]
	v_cvt_f64_i32_e32 v[28:29], v1
	v_add_f64 v[22:23], v[22:23], -v[28:29]
	v_add_f64 v[28:29], v[32:33], v[22:23]
	v_cmp_le_f64_e32 vcc, 0.5, v[28:29]
	v_add_f64 v[30:31], v[44:45], -v[30:31]
	v_add_f64 v[22:23], v[28:29], -v[22:23]
	v_addc_co_u32_e64 v3, s[0:1], 0, v1, vcc
	v_mov_b32_e32 v1, 0x3ff00000
	v_add_f64 v[20:21], v[30:31], v[20:21]
	v_add_f64 v[22:23], v[32:33], -v[22:23]
	v_cndmask_b32_e32 v27, 0, v1, vcc
	v_add_f64 v[20:21], v[20:21], v[22:23]
	v_add_f64 v[22:23], v[28:29], -v[26:27]
	v_add_f64 v[26:27], v[22:23], v[20:21]
	v_add_f64 v[22:23], v[26:27], -v[22:23]
	s_mov_b32 s17, 0x3ff921fb
	v_add_f64 v[20:21], v[20:21], -v[22:23]
	v_mul_f64 v[22:23], v[26:27], s[16:17]
	s_mov_b32 s0, 0x33145c07
	v_fma_f64 v[28:29], v[26:27], s[16:17], -v[22:23]
	s_mov_b32 s1, 0x3c91a626
	v_fmac_f64_e32 v[28:29], s[0:1], v[26:27]
	v_fmac_f64_e32 v[28:29], s[16:17], v[20:21]
	v_add_f64 v[26:27], v[22:23], v[28:29]
	v_add_f64 v[20:21], v[26:27], -v[22:23]
	v_add_f64 v[28:29], v[28:29], -v[20:21]
	s_andn2_saveexec_b64 s[0:1], s[18:19]
	s_cbranch_execz .LBB7_89
	s_branch .LBB7_88
.LBB7_87:
	s_andn2_saveexec_b64 s[0:1], s[18:19]
	s_cbranch_execz .LBB7_89
.LBB7_88:
	s_mov_b32 s16, 0x6dc9c883
	s_mov_b32 s17, 0x3fe45f30
	v_mul_f64 v[20:21], |v[18:19]|, s[16:17]
	s_mov_b32 s16, 0x54442d18
	v_rndne_f64_e32 v[20:21], v[20:21]
	s_mov_b32 s17, 0xbff921fb
	v_fma_f64 v[22:23], v[20:21], s[16:17], |v[18:19]|
	s_mov_b32 s17, 0xbc91a626
	s_mov_b32 s16, 0x33145c00
	v_mul_f64 v[26:27], v[20:21], s[16:17]
	v_add_f64 v[32:33], v[22:23], v[26:27]
	v_fma_f64 v[28:29], s[16:17], v[20:21], v[22:23]
	s_mov_b32 s17, 0x3c91a626
	v_add_f64 v[22:23], v[22:23], -v[32:33]
	v_fma_f64 v[30:31], s[16:17], v[20:21], v[26:27]
	v_add_f64 v[22:23], v[22:23], v[26:27]
	v_add_f64 v[26:27], v[32:33], -v[28:29]
	v_add_f64 v[22:23], v[26:27], v[22:23]
	s_mov_b32 s16, 0x252049c0
	v_add_f64 v[22:23], v[22:23], -v[30:31]
	s_mov_b32 s17, 0xb97b839a
	v_fmac_f64_e32 v[22:23], s[16:17], v[20:21]
	v_add_f64 v[26:27], v[28:29], v[22:23]
	v_add_f64 v[28:29], v[26:27], -v[28:29]
	v_add_f64 v[28:29], v[22:23], -v[28:29]
	v_cvt_i32_f64_e32 v3, v[20:21]
.LBB7_89:
	s_or_b64 exec, exec, s[0:1]
                                        ; implicit-def: $vgpr1
                                        ; implicit-def: $vgpr20_vgpr21
                                        ; implicit-def: $vgpr22_vgpr23
	s_and_saveexec_b64 s[0:1], s[14:15]
	s_xor_b64 s[14:15], exec, s[0:1]
	s_cbranch_execz .LBB7_91
; %bb.90:
	s_mov_b32 s0, 0
	s_mov_b32 s1, 0x7b000000
	s_movk_i32 s16, 0xff80
	v_and_b32_e32 v1, 0x7fffffff, v19
	v_ldexp_f64 v[30:31], |v[18:19]|, s16
	v_cmp_ge_f64_e64 vcc, |v[18:19]|, s[0:1]
	v_trig_preop_f64 v[20:21], |v[18:19]|, 0
	v_trig_preop_f64 v[22:23], |v[18:19]|, 1
	v_cndmask_b32_e32 v31, v1, v31, vcc
	v_cndmask_b32_e32 v30, v18, v30, vcc
	v_mul_f64 v[34:35], v[20:21], v[30:31]
	v_mul_f64 v[32:33], v[22:23], v[30:31]
	v_fma_f64 v[20:21], v[20:21], v[30:31], -v[34:35]
	v_add_f64 v[36:37], v[32:33], v[20:21]
	v_add_f64 v[44:45], v[36:37], -v[32:33]
	v_add_f64 v[20:21], v[20:21], -v[44:45]
	;; [unrolled: 1-line block ×4, first 2 shown]
	v_fma_f64 v[22:23], v[22:23], v[30:31], -v[32:33]
	v_trig_preop_f64 v[32:33], |v[18:19]|, 2
	v_add_f64 v[20:21], v[20:21], v[44:45]
	v_mul_f64 v[44:45], v[32:33], v[30:31]
	v_add_f64 v[46:47], v[44:45], v[22:23]
	v_add_f64 v[38:39], v[34:35], v[36:37]
	;; [unrolled: 1-line block ×3, first 2 shown]
	v_ldexp_f64 v[40:41], v[38:39], -2
	v_add_f64 v[34:35], v[38:39], -v[34:35]
	v_add_f64 v[38:39], v[48:49], -v[46:47]
	;; [unrolled: 1-line block ×5, first 2 shown]
	v_add_f64 v[20:21], v[20:21], v[38:39]
	v_add_f64 v[38:39], v[46:47], -v[44:45]
	v_add_f64 v[22:23], v[22:23], -v[38:39]
	;; [unrolled: 1-line block ×4, first 2 shown]
	v_add_f64 v[22:23], v[22:23], v[38:39]
	s_mov_b32 s0, 0
	v_fract_f64_e32 v[42:43], v[40:41]
	v_add_f64 v[20:21], v[22:23], v[20:21]
	v_fma_f64 v[22:23], v[32:33], v[30:31], -v[44:45]
	s_mov_b32 s1, 0x7ff00000
	v_add_f64 v[34:35], v[36:37], -v[34:35]
	v_add_f64 v[20:21], v[22:23], v[20:21]
	v_ldexp_f64 v[22:23], v[42:43], 2
	v_cmp_neq_f64_e64 vcc, |v[40:41]|, s[0:1]
	v_add_f64 v[36:37], v[34:35], v[48:49]
	v_mov_b32_e32 v1, 0x40100000
	v_cndmask_b32_e32 v23, 0, v23, vcc
	v_cndmask_b32_e32 v22, 0, v22, vcc
	v_add_f64 v[30:31], v[36:37], v[22:23]
	v_cmp_gt_f64_e32 vcc, 0, v[30:31]
	v_mov_b32_e32 v30, 0
	v_add_f64 v[34:35], v[36:37], -v[34:35]
	v_cndmask_b32_e32 v31, 0, v1, vcc
	v_add_f64 v[22:23], v[22:23], v[30:31]
	v_add_f64 v[32:33], v[36:37], v[22:23]
	v_cvt_i32_f64_e32 v1, v[32:33]
	v_cvt_f64_i32_e32 v[32:33], v1
	v_add_f64 v[22:23], v[22:23], -v[32:33]
	v_add_f64 v[32:33], v[36:37], v[22:23]
	v_add_f64 v[34:35], v[48:49], -v[34:35]
	v_add_f64 v[22:23], v[32:33], -v[22:23]
	v_cmp_le_f64_e32 vcc, 0.5, v[32:33]
	v_mov_b32_e32 v5, 0x3ff00000
	v_add_f64 v[20:21], v[34:35], v[20:21]
	v_add_f64 v[22:23], v[36:37], -v[22:23]
	v_cndmask_b32_e32 v31, 0, v5, vcc
	v_add_f64 v[20:21], v[20:21], v[22:23]
	v_addc_co_u32_e64 v1, s[0:1], 0, v1, vcc
	v_add_f64 v[22:23], v[32:33], -v[30:31]
	v_add_f64 v[30:31], v[22:23], v[20:21]
	s_mov_b32 s0, 0x54442d18
	v_add_f64 v[22:23], v[30:31], -v[22:23]
	s_mov_b32 s1, 0x3ff921fb
	v_add_f64 v[20:21], v[20:21], -v[22:23]
	v_mul_f64 v[22:23], v[30:31], s[0:1]
	s_mov_b32 s16, 0x33145c07
	v_fma_f64 v[32:33], v[30:31], s[0:1], -v[22:23]
	s_mov_b32 s17, 0x3c91a626
	v_fmac_f64_e32 v[32:33], s[16:17], v[30:31]
	v_fmac_f64_e32 v[32:33], s[0:1], v[20:21]
	v_add_f64 v[20:21], v[22:23], v[32:33]
	v_add_f64 v[22:23], v[20:21], -v[22:23]
	v_add_f64 v[22:23], v[32:33], -v[22:23]
	s_andn2_saveexec_b64 s[0:1], s[14:15]
	s_cbranch_execnz .LBB7_92
	s_branch .LBB7_93
.LBB7_91:
	s_andn2_saveexec_b64 s[0:1], s[14:15]
	s_cbranch_execz .LBB7_93
.LBB7_92:
	s_mov_b32 s14, 0x6dc9c883
	s_mov_b32 s15, 0x3fe45f30
	v_mul_f64 v[20:21], |v[18:19]|, s[14:15]
	s_mov_b32 s14, 0x54442d18
	v_rndne_f64_e32 v[30:31], v[20:21]
	s_mov_b32 s15, 0xbff921fb
	v_fma_f64 v[20:21], v[30:31], s[14:15], |v[18:19]|
	s_mov_b32 s15, 0xbc91a626
	s_mov_b32 s14, 0x33145c00
	v_mul_f64 v[32:33], v[30:31], s[14:15]
	v_add_f64 v[36:37], v[20:21], v[32:33]
	v_fma_f64 v[22:23], s[14:15], v[30:31], v[20:21]
	s_mov_b32 s15, 0x3c91a626
	v_add_f64 v[20:21], v[20:21], -v[36:37]
	v_fma_f64 v[34:35], s[14:15], v[30:31], v[32:33]
	v_add_f64 v[20:21], v[20:21], v[32:33]
	v_add_f64 v[32:33], v[36:37], -v[22:23]
	v_add_f64 v[20:21], v[32:33], v[20:21]
	s_mov_b32 s14, 0x252049c0
	v_add_f64 v[32:33], v[20:21], -v[34:35]
	s_mov_b32 s15, 0xb97b839a
	v_fmac_f64_e32 v[32:33], s[14:15], v[30:31]
	v_add_f64 v[20:21], v[22:23], v[32:33]
	v_add_f64 v[22:23], v[20:21], -v[22:23]
	v_add_f64 v[22:23], v[32:33], -v[22:23]
	v_cvt_i32_f64_e32 v1, v[30:31]
.LBB7_93:
	s_or_b64 exec, exec, s[0:1]
	v_div_scale_f64 v[30:31], s[0:1], v[24:25], v[24:25], 1.0
	v_rcp_f64_e32 v[32:33], v[30:31]
	v_div_scale_f64 v[34:35], vcc, 1.0, v[24:25], 1.0
	v_mov_b32_e32 v38, 0xaf76e73b
	v_fma_f64 v[36:37], -v[30:31], v[32:33], 1.0
	v_fmac_f64_e32 v[32:33], v[32:33], v[36:37]
	v_fma_f64 v[36:37], -v[30:31], v[32:33], 1.0
	v_fmac_f64_e32 v[32:33], v[32:33], v[36:37]
	v_mul_f64 v[36:37], v[34:35], v[32:33]
	v_fma_f64 v[30:31], -v[30:31], v[36:37], v[34:35]
	v_div_fmas_f64 v[30:31], v[30:31], v[32:33], v[36:37]
	v_div_fixup_f64 v[24:25], v[30:31], v[24:25], 1.0
	v_mul_f64 v[30:31], v[24:25], v[24:25]
	v_mov_b32_e32 v32, 0xd50ae6fb
	v_mov_b32_e32 v33, 0xbfc0db6c
	v_fmac_f64_e32 v[32:33], 0, v[30:31]
	v_mov_b32_e32 v34, 0x98566852
	v_mov_b32_e32 v35, 0xbfe40bee
	v_fmac_f64_e32 v[34:35], v[30:31], v[32:33]
	;; [unrolled: 3-line block ×15, first 2 shown]
	v_mov_b32_e32 v39, 0x3f13c8d7
	v_fmac_f64_e32 v[38:39], v[30:31], v[32:33]
	v_mov_b32_e32 v36, 0xb99518a7
	v_mov_b32_e32 v37, 0x3e9e52b9
	v_mul_f64 v[40:41], v[26:27], v[26:27]
	v_fmac_f64_e32 v[36:37], v[30:31], v[38:39]
	v_mov_b32_e32 v38, 0xf68ea2d2
	v_mov_b32_e32 v39, 0xbe52041c
	v_mul_f64 v[32:33], v[40:41], 0.5
	v_fmac_f64_e32 v[38:39], v[30:31], v[34:35]
	v_add_f64 v[34:35], -v[32:33], 1.0
	s_mov_b32 s0, 0x9037ab78
	v_add_f64 v[42:43], -v[34:35], 1.0
	s_mov_b32 s1, 0x3e21eeb6
	s_mov_b32 s14, 0x46cc5e42
	v_add_f64 v[42:43], v[42:43], -v[32:33]
	s_mov_b32 s15, 0xbda907db
	v_mov_b64_e32 v[32:33], s[0:1]
	s_mov_b32 s16, 0xa17f65f6
	v_fma_f64 v[46:47], s[14:15], v[40:41], v[32:33]
	s_mov_b32 s17, 0xbe927e4f
	s_mov_b32 s18, 0x19f4ec90
	v_fma_f64 v[46:47], v[40:41], v[46:47], s[16:17]
	s_mov_b32 s19, 0x3efa01a0
	;; [unrolled: 3-line block ×4, first 2 shown]
	v_mul_f64 v[44:45], v[40:41], v[40:41]
	v_fma_f64 v[46:47], v[40:41], v[46:47], s[22:23]
	v_fma_f64 v[42:43], v[26:27], -v[28:29], v[42:43]
	s_mov_b32 s0, 0xb42fdfa7
	v_fmac_f64_e32 v[42:43], v[44:45], v[46:47]
	s_mov_b32 s1, 0xbe5ae600
	s_mov_b32 s24, 0xf9a43bb8
	v_add_f64 v[42:43], v[34:35], v[42:43]
	s_mov_b32 s25, 0x3de5e0b2
	v_mov_b64_e32 v[34:35], s[0:1]
	s_mov_b32 s26, 0x796cde01
	v_fma_f64 v[44:45], s[24:25], v[40:41], v[34:35]
	s_mov_b32 s27, 0x3ec71de3
	s_mov_b32 s28, 0x19e83e5c
	v_fma_f64 v[44:45], v[40:41], v[44:45], s[26:27]
	s_mov_b32 s29, 0xbf2a01a0
	s_mov_b32 s30, 0x11110bb3
	v_fma_f64 v[44:45], v[40:41], v[44:45], s[28:29]
	s_mov_b32 s31, 0x3f811111
	v_fma_f64 v[44:45], v[40:41], v[44:45], s[30:31]
	v_mul_f64 v[46:47], v[26:27], -v[40:41]
	v_mul_f64 v[48:49], v[28:29], 0.5
	v_fmac_f64_e32 v[48:49], v[46:47], v[44:45]
	v_fma_f64 v[28:29], v[40:41], v[48:49], -v[28:29]
	s_mov_b32 s35, 0xbfc55555
	s_mov_b32 s34, s22
	v_fmac_f64_e32 v[28:29], s[34:35], v[46:47]
	v_and_b32_e32 v5, 1, v3
	v_add_f64 v[26:27], v[26:27], -v[28:29]
	v_cmp_eq_u32_e32 vcc, 0, v5
	v_lshlrev_b32_e32 v3, 30, v3
	s_movk_i32 s36, 0x1f8
	v_cndmask_b32_e32 v5, v42, v26, vcc
	v_cndmask_b32_e32 v7, v43, v27, vcc
	v_mul_f64 v[26:27], v[30:31], v[38:39]
	v_div_scale_f64 v[28:29], s[0:1], v[36:37], v[36:37], v[26:27]
	v_rcp_f64_e32 v[38:39], v[28:29]
	v_xor_b32_e32 v3, v3, v19
	s_brev_b32 s33, 1
	v_cmp_class_f64_e64 s[0:1], v[18:19], s36
	v_fma_f64 v[40:41], -v[28:29], v[38:39], 1.0
	v_fmac_f64_e32 v[38:39], v[38:39], v[40:41]
	v_fma_f64 v[40:41], -v[28:29], v[38:39], 1.0
	v_fmac_f64_e32 v[38:39], v[38:39], v[40:41]
	v_div_scale_f64 v[40:41], vcc, v[26:27], v[36:37], v[26:27]
	v_mul_f64 v[42:43], v[40:41], v[38:39]
	v_fma_f64 v[28:29], -v[28:29], v[42:43], v[40:41]
	s_mov_b32 s36, 0
	s_nop 0
	v_div_fmas_f64 v[28:29], v[28:29], v[38:39], v[42:43]
	v_div_fixup_f64 v[26:27], v[28:29], v[36:37], v[26:27]
	v_mov_b32_e32 v28, 0xddcfbbde
	v_mov_b32_e32 v29, 0x3f943525
	v_fmac_f64_e32 v[28:29], 0, v[30:31]
	v_mov_b32_e32 v36, 0x6437b7
	v_mov_b32_e32 v37, 0x3fd907d5
	v_fmac_f64_e32 v[36:37], v[30:31], v[28:29]
	;; [unrolled: 3-line block ×14, first 2 shown]
	v_mov_b32_e32 v38, 0x2b79dbce
	v_mov_b32_e32 v39, 0x4015e84e
	v_bitop3_b32 v3, v7, v3, s33 bitop3:0x78
	v_cndmask_b32_e64 v18, 0, v5, s[0:1]
	v_mov_b32_e32 v5, 0x7ff80000
	v_fmac_f64_e32 v[38:39], v[30:31], v[36:37]
	v_mov_b32_e32 v36, 0xc195ece3
	v_mov_b32_e32 v37, 0x3fee8992
	s_brev_b32 s37, 8
	v_cndmask_b32_e64 v19, v5, v3, s[0:1]
	v_fmac_f64_e32 v[36:37], v[30:31], v[38:39]
	v_mov_b32_e32 v38, 0xed64a9ee
	v_mov_b32_e32 v39, 0x3fb6221d
	;; [unrolled: 1-line block ×3, first 2 shown]
	v_cmp_gt_f64_e32 vcc, s[36:37], v[10:11]
	v_fmac_f64_e32 v[38:39], v[30:31], v[36:37]
	v_mov_b32_e32 v36, 0x6be393bb
	v_mov_b32_e32 v37, 0x3f70e704
	v_cndmask_b32_e32 v3, 0, v3, vcc
	v_fmac_f64_e32 v[36:37], v[30:31], v[38:39]
	v_mov_b32_e32 v38, 0xd603a5a0
	v_mov_b32_e32 v39, 0x3f1a8b61
	v_ldexp_f64 v[10:11], v[10:11], v3
	v_fmac_f64_e32 v[38:39], v[30:31], v[36:37]
	v_rsq_f64_e32 v[36:37], v[10:11]
	v_mov_b32_e32 v40, 0xdb0724e8
	v_mov_b32_e32 v41, 0x3eb3a845
	v_fmac_f64_e32 v[40:41], v[30:31], v[38:39]
	v_mul_f64 v[38:39], v[10:11], v[36:37]
	v_mul_f64 v[36:37], v[36:37], 0.5
	v_fma_f64 v[42:43], -v[36:37], v[38:39], 0.5
	v_fmac_f64_e32 v[38:39], v[38:39], v[42:43]
	v_fma_f64 v[44:45], -v[38:39], v[38:39], v[10:11]
	v_fmac_f64_e32 v[36:37], v[36:37], v[42:43]
	v_fmac_f64_e32 v[38:39], v[44:45], v[36:37]
	v_fma_f64 v[42:43], -v[38:39], v[38:39], v[10:11]
	v_mov_b32_e32 v3, 0xffffff80
	v_fmac_f64_e32 v[38:39], v[42:43], v[36:37]
	v_cndmask_b32_e32 v3, 0, v3, vcc
	v_ldexp_f64 v[36:37], v[38:39], v3
	v_mov_b32_e32 v3, 0x260
	v_cmp_class_f64_e32 vcc, v[10:11], v3
	s_mov_b32 s36, 0x50429b6d
	s_mov_b32 s37, 0x3fe20dd7
	v_cndmask_b32_e32 v11, v37, v11, vcc
	v_cndmask_b32_e32 v10, v36, v10, vcc
	v_div_scale_f64 v[36:37], s[38:39], v[10:11], v[10:11], s[36:37]
	v_rcp_f64_e32 v[38:39], v[36:37]
	v_mov_b32_e32 v42, 0x3dd589d4
	v_mov_b32_e32 v43, 0x3e351fc7
	v_fmac_f64_e32 v[42:43], v[30:31], v[40:41]
	v_fma_f64 v[30:31], -v[36:37], v[38:39], 1.0
	v_fmac_f64_e32 v[38:39], v[38:39], v[30:31]
	v_fma_f64 v[30:31], -v[36:37], v[38:39], 1.0
	v_fmac_f64_e32 v[38:39], v[38:39], v[30:31]
	v_div_scale_f64 v[30:31], vcc, s[36:37], v[10:11], s[36:37]
	v_mul_f64 v[40:41], v[30:31], v[38:39]
	v_fma_f64 v[30:31], -v[36:37], v[40:41], v[30:31]
	v_and_b32_e32 v7, 1, v1
	s_nop 0
	v_div_fmas_f64 v[30:31], v[30:31], v[38:39], v[40:41]
	v_div_fixup_f64 v[10:11], v[30:31], v[10:11], s[36:37]
	v_mul_f64 v[30:31], v[20:21], v[20:21]
	v_mul_f64 v[36:37], v[30:31], 0.5
	v_fmac_f64_e32 v[32:33], s[14:15], v[30:31]
	v_add_f64 v[38:39], -v[36:37], 1.0
	v_fma_f64 v[32:33], v[30:31], v[32:33], s[16:17]
	v_add_f64 v[40:41], -v[38:39], 1.0
	v_fma_f64 v[32:33], v[30:31], v[32:33], s[18:19]
	v_add_f64 v[36:37], v[40:41], -v[36:37]
	v_fma_f64 v[32:33], v[30:31], v[32:33], s[20:21]
	v_fmac_f64_e32 v[34:35], s[24:25], v[30:31]
	v_mul_f64 v[40:41], v[30:31], v[30:31]
	v_fma_f64 v[32:33], v[30:31], v[32:33], s[22:23]
	v_fma_f64 v[36:37], v[20:21], -v[22:23], v[36:37]
	v_fma_f64 v[34:35], v[30:31], v[34:35], s[26:27]
	v_fmac_f64_e32 v[36:37], v[40:41], v[32:33]
	v_fma_f64 v[34:35], v[30:31], v[34:35], s[28:29]
	v_add_f64 v[32:33], v[38:39], v[36:37]
	v_fma_f64 v[34:35], v[30:31], v[34:35], s[30:31]
	v_mul_f64 v[36:37], v[20:21], -v[30:31]
	v_mul_f64 v[38:39], v[22:23], 0.5
	v_fmac_f64_e32 v[38:39], v[36:37], v[34:35]
	v_fma_f64 v[22:23], v[30:31], v[38:39], -v[22:23]
	v_fmac_f64_e32 v[22:23], s[34:35], v[36:37]
	v_add_f64 v[20:21], v[20:21], -v[22:23]
	v_cmp_eq_u32_e32 vcc, 0, v7
	v_xor_b32_e32 v3, 0x80000000, v21
	v_lshlrev_b32_e32 v1, 30, v1
	v_cndmask_b32_e32 v7, v20, v32, vcc
	v_mul_f64 v[20:21], v[24:25], v[28:29]
	v_div_scale_f64 v[22:23], s[14:15], v[42:43], v[42:43], v[20:21]
	v_rcp_f64_e32 v[24:25], v[22:23]
	v_cndmask_b32_e32 v3, v3, v33, vcc
	v_bitop3_b32 v1, v3, v1, s33 bitop3:0x78
	v_cndmask_b32_e64 v28, 0, v7, s[0:1]
	v_fma_f64 v[30:31], -v[22:23], v[24:25], 1.0
	v_fmac_f64_e32 v[24:25], v[24:25], v[30:31]
	v_fma_f64 v[30:31], -v[22:23], v[24:25], 1.0
	v_fmac_f64_e32 v[24:25], v[24:25], v[30:31]
	v_div_scale_f64 v[30:31], vcc, v[20:21], v[42:43], v[20:21]
	v_mul_f64 v[32:33], v[30:31], v[24:25]
	v_fma_f64 v[22:23], -v[22:23], v[32:33], v[30:31]
	v_cndmask_b32_e64 v29, v5, v1, s[0:1]
	s_nop 0
	v_div_fmas_f64 v[22:23], v[22:23], v[24:25], v[32:33]
	v_div_fixup_f64 v[20:21], v[22:23], v[42:43], v[20:21]
	v_add_f64 v[26:27], v[26:27], 1.0
	v_mul_f64 v[20:21], v[20:21], v[28:29]
	v_fma_f64 v[18:19], v[26:27], v[18:19], -v[20:21]
	v_mul_f64 v[10:11], v[10:11], v[18:19]
.LBB7_94:
	s_or_b64 exec, exec, s[12:13]
.LBB7_95:
	s_or_b64 exec, exec, s[10:11]
.LBB7_96:
	s_or_b64 exec, exec, s[8:9]
	global_load_dwordx2 v[16:17], v16, s[6:7]
	s_waitcnt vmcnt(0)
	v_cmp_neq_f64_e64 s[0:1], |v[16:17]|, s[2:3]
	s_and_saveexec_b64 s[2:3], s[0:1]
	s_cbranch_execz .LBB7_118
; %bb.97:
	s_mov_b32 s0, 0x872b020c
	s_mov_b32 s1, 0x4059f916
	v_cmp_nlt_f64_e32 vcc, s[0:1], v[16:17]
	v_mov_b64_e32 v[8:9], 0
	s_and_saveexec_b64 s[8:9], vcc
	s_cbranch_execz .LBB7_117
; %bb.98:
	s_mov_b32 s1, 0xc000b851
	s_mov_b32 s0, 0xeb851eb8
	v_cmp_ngt_f64_e32 vcc, s[0:1], v[16:17]
                                        ; implicit-def: $vgpr8_vgpr9
	s_and_saveexec_b64 s[10:11], vcc
	s_xor_b64 s[10:11], exec, s[10:11]
	s_cbranch_execz .LBB7_106
; %bb.99:
	s_mov_b32 s1, 0x4000b851
	v_cmp_nle_f64_e64 s[12:13], s[0:1], v[16:17]
	v_cmp_le_f64_e32 vcc, s[0:1], v[16:17]
	v_mov_b64_e32 v[8:9], 0
	s_mov_b64 s[0:1], s[12:13]
	s_and_saveexec_b64 s[14:15], vcc
	s_cbranch_execz .LBB7_101
; %bb.100:
	s_mov_b32 s0, 0
	s_brev_b32 s1, 8
	v_mov_b32_e32 v1, 0x100
	v_cmp_gt_f64_e32 vcc, s[0:1], v[16:17]
	v_add_f64 v[20:21], v[16:17], v[16:17]
	s_mov_b32 s16, 0
	v_cndmask_b32_e32 v3, 0, v1, vcc
	v_ldexp_f64 v[8:9], v[16:17], v3
	v_rsq_f64_e32 v[18:19], v[8:9]
	v_mov_b32_e32 v3, 0xffffff80
	v_cndmask_b32_e32 v5, 0, v3, vcc
	s_mov_b32 s17, 0x40080000
	v_mul_f64 v[22:23], v[8:9], v[18:19]
	v_mul_f64 v[18:19], v[18:19], 0.5
	v_fma_f64 v[24:25], -v[18:19], v[22:23], 0.5
	v_fmac_f64_e32 v[22:23], v[22:23], v[24:25]
	v_fma_f64 v[26:27], -v[22:23], v[22:23], v[8:9]
	v_fmac_f64_e32 v[18:19], v[18:19], v[24:25]
	v_fmac_f64_e32 v[22:23], v[26:27], v[18:19]
	v_fma_f64 v[24:25], -v[22:23], v[22:23], v[8:9]
	v_fmac_f64_e32 v[22:23], v[24:25], v[18:19]
	v_ldexp_f64 v[18:19], v[22:23], v5
	v_mov_b32_e32 v5, 0x260
	v_cmp_class_f64_e32 vcc, v[8:9], v5
	s_nop 1
	v_cndmask_b32_e32 v19, v19, v9, vcc
	v_cndmask_b32_e32 v18, v18, v8, vcc
	v_mul_f64 v[8:9], v[20:21], v[18:19]
	v_div_scale_f64 v[20:21], s[18:19], s[16:17], s[16:17], v[8:9]
	v_rcp_f64_e32 v[22:23], v[20:21]
	s_nop 0
	v_fma_f64 v[24:25], -v[20:21], v[22:23], 1.0
	v_fmac_f64_e32 v[22:23], v[22:23], v[24:25]
	v_fma_f64 v[24:25], -v[20:21], v[22:23], 1.0
	v_fmac_f64_e32 v[22:23], v[22:23], v[24:25]
	v_div_scale_f64 v[24:25], vcc, v[8:9], s[16:17], v[8:9]
	v_mul_f64 v[26:27], v[24:25], v[22:23]
	v_fma_f64 v[20:21], -v[20:21], v[26:27], v[24:25]
	s_nop 1
	v_div_fmas_f64 v[20:21], v[20:21], v[22:23], v[26:27]
	v_div_fixup_f64 v[8:9], v[20:21], s[16:17], v[8:9]
	v_div_scale_f64 v[20:21], s[16:17], v[8:9], v[8:9], 1.0
	v_rcp_f64_e32 v[22:23], v[20:21]
	s_nop 0
	v_fma_f64 v[24:25], -v[20:21], v[22:23], 1.0
	v_fmac_f64_e32 v[22:23], v[22:23], v[24:25]
	v_fma_f64 v[24:25], -v[20:21], v[22:23], 1.0
	v_fmac_f64_e32 v[22:23], v[22:23], v[24:25]
	v_div_scale_f64 v[24:25], vcc, 1.0, v[8:9], 1.0
	v_mul_f64 v[26:27], v[24:25], v[22:23]
	v_fma_f64 v[20:21], -v[20:21], v[26:27], v[24:25]
	v_mov_b32_e32 v24, 0x871a9067
	s_nop 0
	v_div_fmas_f64 v[20:21], v[20:21], v[22:23], v[26:27]
	v_div_fixup_f64 v[20:21], v[20:21], v[8:9], 1.0
	v_mov_b32_e32 v22, 0x2537b658
	v_mov_b32_e32 v23, 0x3fd62dae
	v_fmac_f64_e32 v[22:23], 0, v[20:21]
	v_mov_b32_e32 v25, 0x402803e3
	v_fmac_f64_e32 v[24:25], v[20:21], v[22:23]
	v_mov_b32_e32 v22, 0xde2e1e3
	v_mov_b32_e32 v23, 0x405311e5
	v_fmac_f64_e32 v[22:23], v[20:21], v[24:25]
	v_mov_b32_e32 v24, 0xee40073c
	;; [unrolled: 3-line block ×12, first 2 shown]
	v_mov_b32_e32 v25, 0x402c311b
	v_fmac_f64_e32 v[24:25], v[20:21], v[26:27]
	v_fma_f64 v[24:25], v[20:21], v[24:25], 1.0
	v_fma_f64 v[20:21], v[20:21], v[22:23], 1.0
	v_div_scale_f64 v[22:23], s[16:17], v[24:25], v[24:25], v[20:21]
	v_rcp_f64_e32 v[26:27], v[22:23]
	s_nop 0
	v_fma_f64 v[28:29], -v[22:23], v[26:27], 1.0
	v_fmac_f64_e32 v[26:27], v[26:27], v[28:29]
	v_fma_f64 v[28:29], -v[22:23], v[26:27], 1.0
	v_fmac_f64_e32 v[26:27], v[26:27], v[28:29]
	v_div_scale_f64 v[28:29], vcc, v[20:21], v[24:25], v[20:21]
	v_mul_f64 v[30:31], v[28:29], v[26:27]
	v_fma_f64 v[22:23], -v[22:23], v[30:31], v[28:29]
	s_nop 1
	v_div_fmas_f64 v[22:23], v[22:23], v[26:27], v[30:31]
	v_cmp_gt_f64_e32 vcc, s[0:1], v[18:19]
	v_div_fixup_f64 v[20:21], v[22:23], v[24:25], v[20:21]
	s_mov_b32 s0, 0x50429b6d
	v_cndmask_b32_e32 v1, 0, v1, vcc
	v_ldexp_f64 v[22:23], v[18:19], v1
	v_rsq_f64_e32 v[24:25], v[22:23]
	s_mov_b32 s1, 0x3fe20dd7
	v_mul_f64 v[18:19], v[20:21], s[0:1]
	v_cndmask_b32_e32 v1, 0, v3, vcc
	v_mul_f64 v[20:21], v[22:23], v[24:25]
	v_mul_f64 v[24:25], v[24:25], 0.5
	v_fma_f64 v[26:27], -v[24:25], v[20:21], 0.5
	v_fmac_f64_e32 v[20:21], v[20:21], v[26:27]
	v_fma_f64 v[28:29], -v[20:21], v[20:21], v[22:23]
	v_fmac_f64_e32 v[24:25], v[24:25], v[26:27]
	v_fmac_f64_e32 v[20:21], v[28:29], v[24:25]
	v_fma_f64 v[26:27], -v[20:21], v[20:21], v[22:23]
	v_fmac_f64_e32 v[20:21], v[26:27], v[24:25]
	s_mov_b32 s0, 0x652b82fe
	v_ldexp_f64 v[20:21], v[20:21], v1
	v_cmp_class_f64_e32 vcc, v[22:23], v5
	s_mov_b32 s1, 0x3ff71547
	v_mov_b32_e32 v26, 0xfca7ab0c
	v_cndmask_b32_e32 v21, v21, v23, vcc
	v_cndmask_b32_e32 v20, v20, v22, vcc
	v_mul_f64 v[22:23], v[8:9], s[0:1]
	s_mov_b32 s0, 0xfefa39ef
	v_rndne_f64_e32 v[22:23], v[22:23]
	s_mov_b32 s1, 0xbfe62e42
	v_fma_f64 v[24:25], s[0:1], v[22:23], v[8:9]
	s_mov_b32 s0, 0x3b39803f
	s_mov_b32 s1, 0xbc7abc9e
	v_fmac_f64_e32 v[24:25], s[0:1], v[22:23]
	s_mov_b32 s0, 0x6a5dcb37
	v_mov_b32_e32 v27, 0x3e928af3
	s_mov_b32 s1, 0x3e5ade15
	v_fmac_f64_e32 v[26:27], s[0:1], v[24:25]
	v_mov_b32_e32 v28, 0x623fde64
	v_mov_b32_e32 v29, 0x3ec71dee
	v_fmac_f64_e32 v[28:29], v[24:25], v[26:27]
	v_mov_b32_e32 v26, 0x7c89e6b0
	v_mov_b32_e32 v27, 0x3efa0199
	;; [unrolled: 3-line block ×8, first 2 shown]
	s_mov_b32 s0, 0
	v_fmac_f64_e32 v[26:27], v[24:25], v[28:29]
	s_mov_b32 s1, 0x40900000
	v_fma_f64 v[26:27], v[24:25], v[26:27], 1.0
	v_cmp_nlt_f64_e32 vcc, s[0:1], v[8:9]
	s_mov_b32 s0, 0
	v_fma_f64 v[24:25], v[24:25], v[26:27], 1.0
	v_cvt_i32_f64_e32 v1, v[22:23]
	s_mov_b32 s1, 0xc090cc00
	v_ldexp_f64 v[22:23], v[24:25], v1
	v_mov_b32_e32 v1, 0x7ff00000
	v_cmp_ngt_f64_e64 s[0:1], s[0:1], v[8:9]
	v_cndmask_b32_e32 v1, v1, v23, vcc
	s_and_b64 vcc, s[0:1], vcc
	v_add_f64 v[20:21], v[20:21], v[20:21]
	v_cndmask_b32_e64 v9, 0, v1, s[0:1]
	v_cndmask_b32_e32 v8, 0, v22, vcc
	v_mul_f64 v[8:9], v[20:21], v[8:9]
	v_div_scale_f64 v[20:21], s[0:1], v[8:9], v[8:9], v[18:19]
	v_rcp_f64_e32 v[22:23], v[20:21]
	s_mov_b32 s0, 0xfd0a823a
	s_mov_b32 s1, 0x4020a402
	v_fma_f64 v[24:25], -v[20:21], v[22:23], 1.0
	v_fmac_f64_e32 v[22:23], v[22:23], v[24:25]
	v_fma_f64 v[24:25], -v[20:21], v[22:23], 1.0
	v_fmac_f64_e32 v[22:23], v[22:23], v[24:25]
	v_div_scale_f64 v[24:25], vcc, v[18:19], v[8:9], v[18:19]
	v_mul_f64 v[26:27], v[24:25], v[22:23]
	v_fma_f64 v[20:21], -v[20:21], v[26:27], v[24:25]
	s_nop 1
	v_div_fmas_f64 v[20:21], v[20:21], v[22:23], v[26:27]
	v_cmp_nlt_f64_e32 vcc, s[0:1], v[16:17]
	s_andn2_b64 s[0:1], s[12:13], exec
	s_and_b64 s[16:17], vcc, exec
	v_div_fixup_f64 v[8:9], v[20:21], v[8:9], v[18:19]
	s_or_b64 s[0:1], s[0:1], s[16:17]
.LBB7_101:
	s_or_b64 exec, exec, s[14:15]
	s_and_saveexec_b64 s[14:15], s[0:1]
	s_cbranch_execz .LBB7_105
; %bb.102:
	v_mul_f64 v[18:19], v[16:17], v[16:17]
	s_mov_b32 s18, 0
	v_mul_f64 v[20:21], v[16:17], v[18:19]
	v_mov_b64_e32 v[26:27], 1.0
	s_mov_b64 s[16:17], 0
	v_mov_b64_e32 v[24:25], 1.0
	s_mov_b32 s19, 0x3cb00000
	v_mov_b64_e32 v[22:23], v[16:17]
	v_mov_b64_e32 v[18:19], 1.0
.LBB7_103:                              ; =>This Inner Loop Header: Depth=1
	v_mul_f64 v[26:27], v[20:21], v[26:27]
	v_add_f64 v[28:29], v[24:25], 1.0
	v_mul_f64 v[16:17], v[20:21], v[16:17]
	v_div_scale_f64 v[30:31], s[0:1], v[28:29], v[28:29], v[26:27]
	v_add_f64 v[34:35], v[28:29], 1.0
	v_rcp_f64_e32 v[36:37], v[30:31]
	v_div_scale_f64 v[38:39], s[0:1], v[34:35], v[34:35], v[16:17]
	v_rcp_f64_e32 v[42:43], v[38:39]
	v_fma_f64 v[44:45], -v[30:31], v[36:37], 1.0
	v_fmac_f64_e32 v[36:37], v[36:37], v[44:45]
	v_fma_f64 v[46:47], -v[30:31], v[36:37], 1.0
	v_fma_f64 v[44:45], -v[38:39], v[42:43], 1.0
	v_fmac_f64_e32 v[42:43], v[42:43], v[44:45]
	v_div_scale_f64 v[32:33], vcc, v[26:27], v[28:29], v[26:27]
	v_fmac_f64_e32 v[36:37], v[36:37], v[46:47]
	v_fma_f64 v[44:45], -v[38:39], v[42:43], 1.0
	v_div_scale_f64 v[40:41], s[0:1], v[16:17], v[34:35], v[16:17]
	v_mul_f64 v[46:47], v[32:33], v[36:37]
	v_fmac_f64_e32 v[42:43], v[42:43], v[44:45]
	v_fma_f64 v[30:31], -v[30:31], v[46:47], v[32:33]
	v_mul_f64 v[32:33], v[40:41], v[42:43]
	v_div_fmas_f64 v[30:31], v[30:31], v[36:37], v[46:47]
	v_fma_f64 v[36:37], -v[38:39], v[32:33], v[40:41]
	s_mov_b64 vcc, s[0:1]
	v_div_fixup_f64 v[26:27], v[30:31], v[28:29], v[26:27]
	v_div_fmas_f64 v[28:29], v[36:37], v[42:43], v[32:33]
	v_div_fixup_f64 v[16:17], v[28:29], v[34:35], v[16:17]
	v_div_scale_f64 v[28:29], s[0:1], v[34:35], v[34:35], v[26:27]
	v_add_f64 v[24:25], v[34:35], 1.0
	v_rcp_f64_e32 v[32:33], v[28:29]
	v_div_scale_f64 v[36:37], s[0:1], v[24:25], v[24:25], v[16:17]
	v_rcp_f64_e32 v[40:41], v[36:37]
	v_fma_f64 v[42:43], -v[28:29], v[32:33], 1.0
	v_fmac_f64_e32 v[32:33], v[32:33], v[42:43]
	v_fma_f64 v[44:45], -v[28:29], v[32:33], 1.0
	v_fma_f64 v[42:43], -v[36:37], v[40:41], 1.0
	v_div_scale_f64 v[30:31], vcc, v[26:27], v[34:35], v[26:27]
	v_fmac_f64_e32 v[40:41], v[40:41], v[42:43]
	v_fmac_f64_e32 v[32:33], v[32:33], v[44:45]
	v_fma_f64 v[42:43], -v[36:37], v[40:41], 1.0
	v_mul_f64 v[44:45], v[30:31], v[32:33]
	v_div_scale_f64 v[38:39], s[0:1], v[16:17], v[24:25], v[16:17]
	v_fmac_f64_e32 v[40:41], v[40:41], v[42:43]
	v_fma_f64 v[28:29], -v[28:29], v[44:45], v[30:31]
	v_mul_f64 v[30:31], v[38:39], v[40:41]
	v_div_fmas_f64 v[28:29], v[28:29], v[32:33], v[44:45]
	v_fma_f64 v[32:33], -v[36:37], v[30:31], v[38:39]
	v_div_fixup_f64 v[26:27], v[28:29], v[34:35], v[26:27]
	s_mov_b64 vcc, s[0:1]
	v_div_fmas_f64 v[28:29], v[32:33], v[40:41], v[30:31]
	v_add_f64 v[18:19], v[18:19], v[26:27]
	v_div_fixup_f64 v[16:17], v[28:29], v[24:25], v[16:17]
	v_div_scale_f64 v[28:29], s[0:1], v[18:19], v[18:19], v[26:27]
	v_rcp_f64_e32 v[30:31], v[28:29]
	v_div_scale_f64 v[32:33], vcc, v[26:27], v[18:19], v[26:27]
	v_add_f64 v[22:23], v[22:23], v[16:17]
	v_fma_f64 v[34:35], -v[28:29], v[30:31], 1.0
	v_fmac_f64_e32 v[30:31], v[30:31], v[34:35]
	v_fma_f64 v[34:35], -v[28:29], v[30:31], 1.0
	v_fmac_f64_e32 v[30:31], v[30:31], v[34:35]
	v_mul_f64 v[34:35], v[32:33], v[30:31]
	v_fma_f64 v[28:29], -v[28:29], v[34:35], v[32:33]
	v_div_fmas_f64 v[28:29], v[28:29], v[30:31], v[34:35]
	v_div_fixup_f64 v[28:29], v[28:29], v[18:19], v[26:27]
	v_cmp_ngt_f64_e64 s[0:1], |v[28:29]|, s[18:19]
	s_or_b64 s[16:17], s[0:1], s[16:17]
	s_andn2_b64 exec, exec, s[16:17]
	s_cbranch_execnz .LBB7_103
; %bb.104:
	s_or_b64 exec, exec, s[16:17]
	s_mov_b32 s0, 0x42b70f8b
	s_mov_b32 s1, 0xbfd0907f
	v_mul_f64 v[16:17], v[22:23], s[0:1]
	s_mov_b32 s0, 0x962715b8
	s_mov_b32 s1, 0x3fd6b8c7
	v_fmac_f64_e32 v[16:17], s[0:1], v[18:19]
	v_cndmask_b32_e64 v9, v9, v17, s[12:13]
	v_cndmask_b32_e64 v8, v8, v16, s[12:13]
.LBB7_105:
	s_or_b64 exec, exec, s[14:15]
                                        ; implicit-def: $vgpr16_vgpr17
.LBB7_106:
	s_andn2_saveexec_b64 s[10:11], s[10:11]
	s_cbranch_execz .LBB7_116
; %bb.107:
	s_mov_b32 s0, 0
	s_brev_b32 s1, 9
	v_mov_b32_e32 v1, 0x100
	v_cmp_lt_f64_e32 vcc, s[0:1], v[16:17]
	s_mov_b32 s12, 0
	s_mov_b32 s13, 0x40080000
	v_cndmask_b32_e32 v1, 0, v1, vcc
	v_ldexp_f64 v[8:9], -v[16:17], v1
	v_rsq_f64_e32 v[18:19], v[8:9]
	v_mov_b32_e32 v1, 0xffffff80
	v_cndmask_b32_e32 v1, 0, v1, vcc
	v_mul_f64 v[16:17], v[16:17], -2.0
	v_mul_f64 v[20:21], v[8:9], v[18:19]
	v_mul_f64 v[18:19], v[18:19], 0.5
	v_fma_f64 v[22:23], -v[18:19], v[20:21], 0.5
	v_fmac_f64_e32 v[20:21], v[20:21], v[22:23]
	v_fma_f64 v[24:25], -v[20:21], v[20:21], v[8:9]
	v_fmac_f64_e32 v[18:19], v[18:19], v[22:23]
	v_fmac_f64_e32 v[20:21], v[24:25], v[18:19]
	v_fma_f64 v[22:23], -v[20:21], v[20:21], v[8:9]
	v_fmac_f64_e32 v[20:21], v[22:23], v[18:19]
	v_ldexp_f64 v[18:19], v[20:21], v1
	v_mov_b32_e32 v1, 0x260
	v_cmp_class_f64_e32 vcc, v[8:9], v1
	s_mov_b32 s15, 0x3fe921fb
	s_mov_b32 s14, 0x54442d18
	v_cndmask_b32_e32 v9, v19, v9, vcc
	v_cndmask_b32_e32 v8, v18, v8, vcc
	v_mul_f64 v[16:17], v[16:17], v[8:9]
	v_div_scale_f64 v[18:19], s[0:1], s[12:13], s[12:13], v[16:17]
	v_rcp_f64_e32 v[20:21], v[18:19]
	s_movk_i32 s0, 0xff80
                                        ; implicit-def: $vgpr3
                                        ; implicit-def: $vgpr26_vgpr27
	v_fma_f64 v[22:23], -v[18:19], v[20:21], 1.0
	v_fmac_f64_e32 v[20:21], v[20:21], v[22:23]
	v_fma_f64 v[22:23], -v[18:19], v[20:21], 1.0
	v_fmac_f64_e32 v[20:21], v[20:21], v[22:23]
	v_div_scale_f64 v[22:23], vcc, v[16:17], s[12:13], v[16:17]
	v_mul_f64 v[24:25], v[22:23], v[20:21]
	v_fma_f64 v[18:19], -v[18:19], v[24:25], v[22:23]
	s_nop 1
	v_div_fmas_f64 v[18:19], v[18:19], v[20:21], v[24:25]
	v_div_fixup_f64 v[22:23], v[18:19], s[12:13], v[16:17]
	s_mov_b32 s12, 0
	v_add_f64 v[16:17], v[22:23], s[14:15]
	s_mov_b32 s13, 0x41d00000
	v_cmp_nlt_f64_e64 s[12:13], |v[16:17]|, s[12:13]
                                        ; implicit-def: $vgpr24_vgpr25
	s_and_saveexec_b64 s[16:17], s[12:13]
	s_xor_b64 s[16:17], exec, s[16:17]
	s_cbranch_execz .LBB7_109
; %bb.108:
	s_mov_b32 s18, 0
	s_mov_b32 s19, 0x7b000000
	v_and_b32_e32 v1, 0x7fffffff, v17
	v_ldexp_f64 v[24:25], |v[16:17]|, s0
	v_cmp_ge_f64_e64 vcc, |v[16:17]|, s[18:19]
	v_trig_preop_f64 v[18:19], |v[16:17]|, 0
	v_trig_preop_f64 v[20:21], |v[16:17]|, 1
	v_cndmask_b32_e32 v25, v1, v25, vcc
	v_cndmask_b32_e32 v24, v16, v24, vcc
	v_mul_f64 v[28:29], v[18:19], v[24:25]
	v_mul_f64 v[26:27], v[20:21], v[24:25]
	v_fma_f64 v[18:19], v[18:19], v[24:25], -v[28:29]
	v_add_f64 v[30:31], v[26:27], v[18:19]
	v_add_f64 v[38:39], v[30:31], -v[26:27]
	v_add_f64 v[18:19], v[18:19], -v[38:39]
	;; [unrolled: 1-line block ×4, first 2 shown]
	v_fma_f64 v[20:21], v[20:21], v[24:25], -v[26:27]
	v_trig_preop_f64 v[26:27], |v[16:17]|, 2
	v_add_f64 v[18:19], v[18:19], v[38:39]
	v_mul_f64 v[38:39], v[26:27], v[24:25]
	v_add_f64 v[40:41], v[38:39], v[20:21]
	v_add_f64 v[32:33], v[28:29], v[30:31]
	;; [unrolled: 1-line block ×3, first 2 shown]
	v_ldexp_f64 v[34:35], v[32:33], -2
	v_add_f64 v[28:29], v[32:33], -v[28:29]
	v_add_f64 v[32:33], v[42:43], -v[40:41]
	v_add_f64 v[18:19], v[18:19], -v[32:33]
	v_add_f64 v[32:33], v[42:43], -v[32:33]
	v_add_f64 v[32:33], v[40:41], -v[32:33]
	v_add_f64 v[18:19], v[18:19], v[32:33]
	v_add_f64 v[32:33], v[40:41], -v[38:39]
	v_add_f64 v[20:21], v[20:21], -v[32:33]
	;; [unrolled: 1-line block ×4, first 2 shown]
	v_add_f64 v[20:21], v[20:21], v[32:33]
	s_mov_b32 s0, 0
	v_fract_f64_e32 v[36:37], v[34:35]
	v_add_f64 v[18:19], v[20:21], v[18:19]
	v_fma_f64 v[20:21], v[26:27], v[24:25], -v[38:39]
	s_mov_b32 s1, 0x7ff00000
	v_add_f64 v[28:29], v[30:31], -v[28:29]
	v_add_f64 v[18:19], v[20:21], v[18:19]
	v_ldexp_f64 v[20:21], v[36:37], 2
	v_cmp_neq_f64_e64 vcc, |v[34:35]|, s[0:1]
	v_add_f64 v[30:31], v[28:29], v[42:43]
	v_mov_b32_e32 v1, 0x40100000
	v_cndmask_b32_e32 v21, 0, v21, vcc
	v_cndmask_b32_e32 v20, 0, v20, vcc
	v_add_f64 v[24:25], v[30:31], v[20:21]
	v_cmp_gt_f64_e32 vcc, 0, v[24:25]
	v_mov_b32_e32 v24, 0
	v_add_f64 v[28:29], v[30:31], -v[28:29]
	v_cndmask_b32_e32 v25, 0, v1, vcc
	v_add_f64 v[20:21], v[20:21], v[24:25]
	v_add_f64 v[26:27], v[30:31], v[20:21]
	v_cvt_i32_f64_e32 v1, v[26:27]
	v_cvt_f64_i32_e32 v[26:27], v1
	v_add_f64 v[20:21], v[20:21], -v[26:27]
	v_add_f64 v[26:27], v[30:31], v[20:21]
	v_cmp_le_f64_e32 vcc, 0.5, v[26:27]
	v_add_f64 v[28:29], v[42:43], -v[28:29]
	v_add_f64 v[20:21], v[26:27], -v[20:21]
	v_addc_co_u32_e64 v3, s[0:1], 0, v1, vcc
	v_mov_b32_e32 v1, 0x3ff00000
	v_add_f64 v[18:19], v[28:29], v[18:19]
	v_add_f64 v[20:21], v[30:31], -v[20:21]
	v_cndmask_b32_e32 v25, 0, v1, vcc
	v_add_f64 v[18:19], v[18:19], v[20:21]
	v_add_f64 v[20:21], v[26:27], -v[24:25]
	v_add_f64 v[24:25], v[20:21], v[18:19]
	v_add_f64 v[20:21], v[24:25], -v[20:21]
	s_mov_b32 s15, 0x3ff921fb
	v_add_f64 v[18:19], v[18:19], -v[20:21]
	v_mul_f64 v[20:21], v[24:25], s[14:15]
	s_mov_b32 s0, 0x33145c07
	v_fma_f64 v[26:27], v[24:25], s[14:15], -v[20:21]
	s_mov_b32 s1, 0x3c91a626
	v_fmac_f64_e32 v[26:27], s[0:1], v[24:25]
	v_fmac_f64_e32 v[26:27], s[14:15], v[18:19]
	v_add_f64 v[24:25], v[20:21], v[26:27]
	v_add_f64 v[18:19], v[24:25], -v[20:21]
	v_add_f64 v[26:27], v[26:27], -v[18:19]
	s_andn2_saveexec_b64 s[0:1], s[16:17]
	s_cbranch_execz .LBB7_111
	s_branch .LBB7_110
.LBB7_109:
	s_andn2_saveexec_b64 s[0:1], s[16:17]
	s_cbranch_execz .LBB7_111
.LBB7_110:
	s_mov_b32 s14, 0x6dc9c883
	s_mov_b32 s15, 0x3fe45f30
	v_mul_f64 v[18:19], |v[16:17]|, s[14:15]
	s_mov_b32 s14, 0x54442d18
	v_rndne_f64_e32 v[18:19], v[18:19]
	s_mov_b32 s15, 0xbff921fb
	v_fma_f64 v[20:21], v[18:19], s[14:15], |v[16:17]|
	s_mov_b32 s15, 0xbc91a626
	s_mov_b32 s14, 0x33145c00
	v_mul_f64 v[24:25], v[18:19], s[14:15]
	v_add_f64 v[30:31], v[20:21], v[24:25]
	v_fma_f64 v[26:27], s[14:15], v[18:19], v[20:21]
	s_mov_b32 s15, 0x3c91a626
	v_add_f64 v[20:21], v[20:21], -v[30:31]
	v_fma_f64 v[28:29], s[14:15], v[18:19], v[24:25]
	v_add_f64 v[20:21], v[20:21], v[24:25]
	v_add_f64 v[24:25], v[30:31], -v[26:27]
	v_add_f64 v[20:21], v[24:25], v[20:21]
	s_mov_b32 s14, 0x252049c0
	v_add_f64 v[20:21], v[20:21], -v[28:29]
	s_mov_b32 s15, 0xb97b839a
	v_fmac_f64_e32 v[20:21], s[14:15], v[18:19]
	v_add_f64 v[24:25], v[26:27], v[20:21]
	v_add_f64 v[26:27], v[24:25], -v[26:27]
	v_add_f64 v[26:27], v[20:21], -v[26:27]
	v_cvt_i32_f64_e32 v3, v[18:19]
.LBB7_111:
	s_or_b64 exec, exec, s[0:1]
                                        ; implicit-def: $vgpr1
                                        ; implicit-def: $vgpr18_vgpr19
                                        ; implicit-def: $vgpr20_vgpr21
	s_and_saveexec_b64 s[0:1], s[12:13]
	s_xor_b64 s[12:13], exec, s[0:1]
	s_cbranch_execz .LBB7_113
; %bb.112:
	s_mov_b32 s0, 0
	s_mov_b32 s1, 0x7b000000
	s_movk_i32 s14, 0xff80
	v_and_b32_e32 v1, 0x7fffffff, v17
	v_ldexp_f64 v[28:29], |v[16:17]|, s14
	v_cmp_ge_f64_e64 vcc, |v[16:17]|, s[0:1]
	v_trig_preop_f64 v[18:19], |v[16:17]|, 0
	v_trig_preop_f64 v[20:21], |v[16:17]|, 1
	v_cndmask_b32_e32 v29, v1, v29, vcc
	v_cndmask_b32_e32 v28, v16, v28, vcc
	v_mul_f64 v[32:33], v[18:19], v[28:29]
	v_mul_f64 v[30:31], v[20:21], v[28:29]
	v_fma_f64 v[18:19], v[18:19], v[28:29], -v[32:33]
	v_add_f64 v[34:35], v[30:31], v[18:19]
	v_add_f64 v[42:43], v[34:35], -v[30:31]
	v_add_f64 v[18:19], v[18:19], -v[42:43]
	;; [unrolled: 1-line block ×4, first 2 shown]
	v_fma_f64 v[20:21], v[20:21], v[28:29], -v[30:31]
	v_trig_preop_f64 v[30:31], |v[16:17]|, 2
	v_add_f64 v[18:19], v[18:19], v[42:43]
	v_mul_f64 v[42:43], v[30:31], v[28:29]
	v_add_f64 v[44:45], v[42:43], v[20:21]
	v_add_f64 v[36:37], v[32:33], v[34:35]
	;; [unrolled: 1-line block ×3, first 2 shown]
	v_ldexp_f64 v[38:39], v[36:37], -2
	v_add_f64 v[32:33], v[36:37], -v[32:33]
	v_add_f64 v[36:37], v[46:47], -v[44:45]
	;; [unrolled: 1-line block ×5, first 2 shown]
	v_add_f64 v[18:19], v[18:19], v[36:37]
	v_add_f64 v[36:37], v[44:45], -v[42:43]
	v_add_f64 v[20:21], v[20:21], -v[36:37]
	v_add_f64 v[36:37], v[44:45], -v[36:37]
	v_add_f64 v[36:37], v[42:43], -v[36:37]
	v_add_f64 v[20:21], v[20:21], v[36:37]
	s_mov_b32 s0, 0
	v_fract_f64_e32 v[40:41], v[38:39]
	v_add_f64 v[18:19], v[20:21], v[18:19]
	v_fma_f64 v[20:21], v[30:31], v[28:29], -v[42:43]
	s_mov_b32 s1, 0x7ff00000
	v_add_f64 v[32:33], v[34:35], -v[32:33]
	v_add_f64 v[18:19], v[20:21], v[18:19]
	v_ldexp_f64 v[20:21], v[40:41], 2
	v_cmp_neq_f64_e64 vcc, |v[38:39]|, s[0:1]
	v_add_f64 v[34:35], v[32:33], v[46:47]
	v_mov_b32_e32 v1, 0x40100000
	v_cndmask_b32_e32 v21, 0, v21, vcc
	v_cndmask_b32_e32 v20, 0, v20, vcc
	v_add_f64 v[28:29], v[34:35], v[20:21]
	v_cmp_gt_f64_e32 vcc, 0, v[28:29]
	v_mov_b32_e32 v28, 0
	v_add_f64 v[32:33], v[34:35], -v[32:33]
	v_cndmask_b32_e32 v29, 0, v1, vcc
	v_add_f64 v[20:21], v[20:21], v[28:29]
	v_add_f64 v[30:31], v[34:35], v[20:21]
	v_cvt_i32_f64_e32 v1, v[30:31]
	v_cvt_f64_i32_e32 v[30:31], v1
	v_add_f64 v[20:21], v[20:21], -v[30:31]
	v_add_f64 v[30:31], v[34:35], v[20:21]
	v_add_f64 v[32:33], v[46:47], -v[32:33]
	v_add_f64 v[20:21], v[30:31], -v[20:21]
	v_cmp_le_f64_e32 vcc, 0.5, v[30:31]
	v_mov_b32_e32 v5, 0x3ff00000
	v_add_f64 v[18:19], v[32:33], v[18:19]
	v_add_f64 v[20:21], v[34:35], -v[20:21]
	v_cndmask_b32_e32 v29, 0, v5, vcc
	v_add_f64 v[18:19], v[18:19], v[20:21]
	v_addc_co_u32_e64 v1, s[0:1], 0, v1, vcc
	v_add_f64 v[20:21], v[30:31], -v[28:29]
	v_add_f64 v[28:29], v[20:21], v[18:19]
	s_mov_b32 s0, 0x54442d18
	v_add_f64 v[20:21], v[28:29], -v[20:21]
	s_mov_b32 s1, 0x3ff921fb
	v_add_f64 v[18:19], v[18:19], -v[20:21]
	v_mul_f64 v[20:21], v[28:29], s[0:1]
	s_mov_b32 s14, 0x33145c07
	v_fma_f64 v[30:31], v[28:29], s[0:1], -v[20:21]
	s_mov_b32 s15, 0x3c91a626
	v_fmac_f64_e32 v[30:31], s[14:15], v[28:29]
	v_fmac_f64_e32 v[30:31], s[0:1], v[18:19]
	v_add_f64 v[18:19], v[20:21], v[30:31]
	v_add_f64 v[20:21], v[18:19], -v[20:21]
	v_add_f64 v[20:21], v[30:31], -v[20:21]
	s_andn2_saveexec_b64 s[0:1], s[12:13]
	s_cbranch_execnz .LBB7_114
	s_branch .LBB7_115
.LBB7_113:
	s_andn2_saveexec_b64 s[0:1], s[12:13]
	s_cbranch_execz .LBB7_115
.LBB7_114:
	s_mov_b32 s12, 0x6dc9c883
	s_mov_b32 s13, 0x3fe45f30
	v_mul_f64 v[18:19], |v[16:17]|, s[12:13]
	s_mov_b32 s12, 0x54442d18
	v_rndne_f64_e32 v[28:29], v[18:19]
	s_mov_b32 s13, 0xbff921fb
	v_fma_f64 v[18:19], v[28:29], s[12:13], |v[16:17]|
	s_mov_b32 s13, 0xbc91a626
	s_mov_b32 s12, 0x33145c00
	v_mul_f64 v[30:31], v[28:29], s[12:13]
	v_add_f64 v[34:35], v[18:19], v[30:31]
	v_fma_f64 v[20:21], s[12:13], v[28:29], v[18:19]
	s_mov_b32 s13, 0x3c91a626
	v_add_f64 v[18:19], v[18:19], -v[34:35]
	v_fma_f64 v[32:33], s[12:13], v[28:29], v[30:31]
	v_add_f64 v[18:19], v[18:19], v[30:31]
	v_add_f64 v[30:31], v[34:35], -v[20:21]
	v_add_f64 v[18:19], v[30:31], v[18:19]
	s_mov_b32 s12, 0x252049c0
	v_add_f64 v[30:31], v[18:19], -v[32:33]
	s_mov_b32 s13, 0xb97b839a
	v_fmac_f64_e32 v[30:31], s[12:13], v[28:29]
	v_add_f64 v[18:19], v[20:21], v[30:31]
	v_add_f64 v[20:21], v[18:19], -v[20:21]
	v_add_f64 v[20:21], v[30:31], -v[20:21]
	v_cvt_i32_f64_e32 v1, v[28:29]
.LBB7_115:
	s_or_b64 exec, exec, s[0:1]
	v_div_scale_f64 v[28:29], s[0:1], v[22:23], v[22:23], 1.0
	v_rcp_f64_e32 v[30:31], v[28:29]
	v_div_scale_f64 v[32:33], vcc, 1.0, v[22:23], 1.0
	v_mov_b32_e32 v36, 0xaf76e73b
	v_fma_f64 v[34:35], -v[28:29], v[30:31], 1.0
	v_fmac_f64_e32 v[30:31], v[30:31], v[34:35]
	v_fma_f64 v[34:35], -v[28:29], v[30:31], 1.0
	v_fmac_f64_e32 v[30:31], v[30:31], v[34:35]
	v_mul_f64 v[34:35], v[32:33], v[30:31]
	v_fma_f64 v[28:29], -v[28:29], v[34:35], v[32:33]
	v_div_fmas_f64 v[28:29], v[28:29], v[30:31], v[34:35]
	v_div_fixup_f64 v[22:23], v[28:29], v[22:23], 1.0
	v_mul_f64 v[28:29], v[22:23], v[22:23]
	v_mov_b32_e32 v30, 0xd50ae6fb
	v_mov_b32_e32 v31, 0xbfc0db6c
	v_fmac_f64_e32 v[30:31], 0, v[28:29]
	v_mov_b32_e32 v32, 0x98566852
	v_mov_b32_e32 v33, 0xbfe40bee
	v_fmac_f64_e32 v[32:33], v[28:29], v[30:31]
	;; [unrolled: 3-line block ×15, first 2 shown]
	v_mov_b32_e32 v37, 0x3f13c8d7
	v_fmac_f64_e32 v[36:37], v[28:29], v[30:31]
	v_mov_b32_e32 v34, 0xb99518a7
	v_mov_b32_e32 v35, 0x3e9e52b9
	v_mul_f64 v[38:39], v[24:25], v[24:25]
	v_fmac_f64_e32 v[34:35], v[28:29], v[36:37]
	v_mov_b32_e32 v36, 0xf68ea2d2
	v_mov_b32_e32 v37, 0xbe52041c
	v_mul_f64 v[30:31], v[38:39], 0.5
	v_fmac_f64_e32 v[36:37], v[28:29], v[32:33]
	v_add_f64 v[32:33], -v[30:31], 1.0
	s_mov_b32 s0, 0x9037ab78
	v_add_f64 v[40:41], -v[32:33], 1.0
	s_mov_b32 s1, 0x3e21eeb6
	s_mov_b32 s12, 0x46cc5e42
	v_add_f64 v[40:41], v[40:41], -v[30:31]
	s_mov_b32 s13, 0xbda907db
	v_mov_b64_e32 v[30:31], s[0:1]
	s_mov_b32 s14, 0xa17f65f6
	v_fma_f64 v[44:45], s[12:13], v[38:39], v[30:31]
	s_mov_b32 s15, 0xbe927e4f
	s_mov_b32 s16, 0x19f4ec90
	v_fma_f64 v[44:45], v[38:39], v[44:45], s[14:15]
	s_mov_b32 s17, 0x3efa01a0
	;; [unrolled: 3-line block ×4, first 2 shown]
	v_mul_f64 v[42:43], v[38:39], v[38:39]
	v_fma_f64 v[44:45], v[38:39], v[44:45], s[20:21]
	v_fma_f64 v[40:41], v[24:25], -v[26:27], v[40:41]
	s_mov_b32 s0, 0xb42fdfa7
	v_fmac_f64_e32 v[40:41], v[42:43], v[44:45]
	s_mov_b32 s1, 0xbe5ae600
	s_mov_b32 s22, 0xf9a43bb8
	v_add_f64 v[40:41], v[32:33], v[40:41]
	s_mov_b32 s23, 0x3de5e0b2
	v_mov_b64_e32 v[32:33], s[0:1]
	s_mov_b32 s24, 0x796cde01
	v_fma_f64 v[42:43], s[22:23], v[38:39], v[32:33]
	s_mov_b32 s25, 0x3ec71de3
	s_mov_b32 s26, 0x19e83e5c
	v_fma_f64 v[42:43], v[38:39], v[42:43], s[24:25]
	s_mov_b32 s27, 0xbf2a01a0
	;; [unrolled: 3-line block ×3, first 2 shown]
	v_fma_f64 v[42:43], v[38:39], v[42:43], s[28:29]
	v_mul_f64 v[44:45], v[24:25], -v[38:39]
	v_mul_f64 v[46:47], v[26:27], 0.5
	v_fmac_f64_e32 v[46:47], v[44:45], v[42:43]
	v_fma_f64 v[26:27], v[38:39], v[46:47], -v[26:27]
	s_mov_b32 s31, 0xbfc55555
	s_mov_b32 s30, s20
	v_fmac_f64_e32 v[26:27], s[30:31], v[44:45]
	v_and_b32_e32 v5, 1, v3
	v_add_f64 v[24:25], v[24:25], -v[26:27]
	v_cmp_eq_u32_e32 vcc, 0, v5
	v_lshlrev_b32_e32 v3, 30, v3
	s_movk_i32 s34, 0x1f8
	v_cndmask_b32_e32 v5, v40, v24, vcc
	v_cndmask_b32_e32 v7, v41, v25, vcc
	v_mul_f64 v[24:25], v[28:29], v[36:37]
	v_div_scale_f64 v[26:27], s[0:1], v[34:35], v[34:35], v[24:25]
	v_rcp_f64_e32 v[36:37], v[26:27]
	v_xor_b32_e32 v3, v3, v17
	s_brev_b32 s33, 1
	v_cmp_class_f64_e64 s[0:1], v[16:17], s34
	v_fma_f64 v[38:39], -v[26:27], v[36:37], 1.0
	v_fmac_f64_e32 v[36:37], v[36:37], v[38:39]
	v_fma_f64 v[38:39], -v[26:27], v[36:37], 1.0
	v_fmac_f64_e32 v[36:37], v[36:37], v[38:39]
	v_div_scale_f64 v[38:39], vcc, v[24:25], v[34:35], v[24:25]
	v_mul_f64 v[40:41], v[38:39], v[36:37]
	v_fma_f64 v[26:27], -v[26:27], v[40:41], v[38:39]
	s_mov_b32 s34, 0
	s_nop 0
	v_div_fmas_f64 v[26:27], v[26:27], v[36:37], v[40:41]
	v_div_fixup_f64 v[24:25], v[26:27], v[34:35], v[24:25]
	v_mov_b32_e32 v26, 0xddcfbbde
	v_mov_b32_e32 v27, 0x3f943525
	v_fmac_f64_e32 v[26:27], 0, v[28:29]
	v_mov_b32_e32 v34, 0x6437b7
	v_mov_b32_e32 v35, 0x3fd907d5
	v_fmac_f64_e32 v[34:35], v[28:29], v[26:27]
	;; [unrolled: 3-line block ×14, first 2 shown]
	v_mov_b32_e32 v36, 0x2b79dbce
	v_mov_b32_e32 v37, 0x4015e84e
	v_bitop3_b32 v3, v7, v3, s33 bitop3:0x78
	v_cndmask_b32_e64 v16, 0, v5, s[0:1]
	v_mov_b32_e32 v5, 0x7ff80000
	v_fmac_f64_e32 v[36:37], v[28:29], v[34:35]
	v_mov_b32_e32 v34, 0xc195ece3
	v_mov_b32_e32 v35, 0x3fee8992
	s_brev_b32 s35, 8
	v_cndmask_b32_e64 v17, v5, v3, s[0:1]
	v_fmac_f64_e32 v[34:35], v[28:29], v[36:37]
	v_mov_b32_e32 v36, 0xed64a9ee
	v_mov_b32_e32 v37, 0x3fb6221d
	;; [unrolled: 1-line block ×3, first 2 shown]
	v_cmp_gt_f64_e32 vcc, s[34:35], v[8:9]
	v_fmac_f64_e32 v[36:37], v[28:29], v[34:35]
	v_mov_b32_e32 v34, 0x6be393bb
	v_mov_b32_e32 v35, 0x3f70e704
	v_cndmask_b32_e32 v3, 0, v3, vcc
	v_fmac_f64_e32 v[34:35], v[28:29], v[36:37]
	v_mov_b32_e32 v36, 0xd603a5a0
	v_mov_b32_e32 v37, 0x3f1a8b61
	v_ldexp_f64 v[8:9], v[8:9], v3
	v_fmac_f64_e32 v[36:37], v[28:29], v[34:35]
	v_rsq_f64_e32 v[34:35], v[8:9]
	v_mov_b32_e32 v38, 0xdb0724e8
	v_mov_b32_e32 v39, 0x3eb3a845
	v_fmac_f64_e32 v[38:39], v[28:29], v[36:37]
	v_mul_f64 v[36:37], v[8:9], v[34:35]
	v_mul_f64 v[34:35], v[34:35], 0.5
	v_fma_f64 v[40:41], -v[34:35], v[36:37], 0.5
	v_fmac_f64_e32 v[36:37], v[36:37], v[40:41]
	v_fma_f64 v[42:43], -v[36:37], v[36:37], v[8:9]
	v_fmac_f64_e32 v[34:35], v[34:35], v[40:41]
	v_fmac_f64_e32 v[36:37], v[42:43], v[34:35]
	v_fma_f64 v[40:41], -v[36:37], v[36:37], v[8:9]
	v_mov_b32_e32 v3, 0xffffff80
	v_fmac_f64_e32 v[36:37], v[40:41], v[34:35]
	v_cndmask_b32_e32 v3, 0, v3, vcc
	v_ldexp_f64 v[34:35], v[36:37], v3
	v_mov_b32_e32 v3, 0x260
	v_cmp_class_f64_e32 vcc, v[8:9], v3
	s_mov_b32 s34, 0x50429b6d
	s_mov_b32 s35, 0x3fe20dd7
	v_cndmask_b32_e32 v9, v35, v9, vcc
	v_cndmask_b32_e32 v8, v34, v8, vcc
	v_div_scale_f64 v[34:35], s[36:37], v[8:9], v[8:9], s[34:35]
	v_rcp_f64_e32 v[36:37], v[34:35]
	v_mov_b32_e32 v40, 0x3dd589d4
	v_mov_b32_e32 v41, 0x3e351fc7
	v_fmac_f64_e32 v[40:41], v[28:29], v[38:39]
	v_fma_f64 v[28:29], -v[34:35], v[36:37], 1.0
	v_fmac_f64_e32 v[36:37], v[36:37], v[28:29]
	v_fma_f64 v[28:29], -v[34:35], v[36:37], 1.0
	v_fmac_f64_e32 v[36:37], v[36:37], v[28:29]
	v_div_scale_f64 v[28:29], vcc, s[34:35], v[8:9], s[34:35]
	v_mul_f64 v[38:39], v[28:29], v[36:37]
	v_fma_f64 v[28:29], -v[34:35], v[38:39], v[28:29]
	v_and_b32_e32 v7, 1, v1
	s_nop 0
	v_div_fmas_f64 v[28:29], v[28:29], v[36:37], v[38:39]
	v_div_fixup_f64 v[8:9], v[28:29], v[8:9], s[34:35]
	v_mul_f64 v[28:29], v[18:19], v[18:19]
	v_mul_f64 v[34:35], v[28:29], 0.5
	v_fmac_f64_e32 v[30:31], s[12:13], v[28:29]
	v_add_f64 v[36:37], -v[34:35], 1.0
	v_fma_f64 v[30:31], v[28:29], v[30:31], s[14:15]
	v_add_f64 v[38:39], -v[36:37], 1.0
	v_fma_f64 v[30:31], v[28:29], v[30:31], s[16:17]
	v_add_f64 v[34:35], v[38:39], -v[34:35]
	v_fma_f64 v[30:31], v[28:29], v[30:31], s[18:19]
	v_fmac_f64_e32 v[32:33], s[22:23], v[28:29]
	v_mul_f64 v[38:39], v[28:29], v[28:29]
	v_fma_f64 v[30:31], v[28:29], v[30:31], s[20:21]
	v_fma_f64 v[34:35], v[18:19], -v[20:21], v[34:35]
	v_fma_f64 v[32:33], v[28:29], v[32:33], s[24:25]
	v_fmac_f64_e32 v[34:35], v[38:39], v[30:31]
	v_fma_f64 v[32:33], v[28:29], v[32:33], s[26:27]
	v_add_f64 v[30:31], v[36:37], v[34:35]
	v_fma_f64 v[32:33], v[28:29], v[32:33], s[28:29]
	v_mul_f64 v[34:35], v[18:19], -v[28:29]
	v_mul_f64 v[36:37], v[20:21], 0.5
	v_fmac_f64_e32 v[36:37], v[34:35], v[32:33]
	v_fma_f64 v[20:21], v[28:29], v[36:37], -v[20:21]
	v_fmac_f64_e32 v[20:21], s[30:31], v[34:35]
	v_add_f64 v[18:19], v[18:19], -v[20:21]
	v_cmp_eq_u32_e32 vcc, 0, v7
	v_xor_b32_e32 v3, 0x80000000, v19
	v_lshlrev_b32_e32 v1, 30, v1
	v_cndmask_b32_e32 v7, v18, v30, vcc
	v_mul_f64 v[18:19], v[22:23], v[26:27]
	v_div_scale_f64 v[20:21], s[12:13], v[40:41], v[40:41], v[18:19]
	v_rcp_f64_e32 v[22:23], v[20:21]
	v_cndmask_b32_e32 v3, v3, v31, vcc
	v_bitop3_b32 v1, v3, v1, s33 bitop3:0x78
	v_cndmask_b32_e64 v26, 0, v7, s[0:1]
	v_fma_f64 v[28:29], -v[20:21], v[22:23], 1.0
	v_fmac_f64_e32 v[22:23], v[22:23], v[28:29]
	v_fma_f64 v[28:29], -v[20:21], v[22:23], 1.0
	v_fmac_f64_e32 v[22:23], v[22:23], v[28:29]
	v_div_scale_f64 v[28:29], vcc, v[18:19], v[40:41], v[18:19]
	v_mul_f64 v[30:31], v[28:29], v[22:23]
	v_fma_f64 v[20:21], -v[20:21], v[30:31], v[28:29]
	v_cndmask_b32_e64 v27, v5, v1, s[0:1]
	s_nop 0
	v_div_fmas_f64 v[20:21], v[20:21], v[22:23], v[30:31]
	v_div_fixup_f64 v[18:19], v[20:21], v[40:41], v[18:19]
	v_add_f64 v[24:25], v[24:25], 1.0
	v_mul_f64 v[18:19], v[18:19], v[26:27]
	v_fma_f64 v[16:17], v[24:25], v[16:17], -v[18:19]
	v_mul_f64 v[8:9], v[8:9], v[16:17]
.LBB7_116:
	s_or_b64 exec, exec, s[10:11]
.LBB7_117:
	s_or_b64 exec, exec, s[8:9]
.LBB7_118:
	s_or_b64 exec, exec, s[2:3]
	global_load_dwordx2 v[18:19], v14, s[6:7]
	s_mov_b32 s2, 0
	s_mov_b32 s3, 0x7ff00000
	v_mov_b32_e32 v14, 0
	v_mov_b32_e32 v16, 0
	;; [unrolled: 1-line block ×4, first 2 shown]
	s_waitcnt vmcnt(0)
	v_cmp_neq_f64_e64 s[0:1], |v[18:19]|, s[2:3]
	s_and_saveexec_b64 s[8:9], s[0:1]
	s_cbranch_execz .LBB7_140
; %bb.119:
	s_mov_b32 s0, 0x872b020c
	s_mov_b32 s1, 0x4059f916
	v_cmp_nlt_f64_e32 vcc, s[0:1], v[18:19]
	v_mov_b64_e32 v[16:17], 0
	s_and_saveexec_b64 s[10:11], vcc
	s_cbranch_execz .LBB7_139
; %bb.120:
	s_mov_b32 s1, 0xc000b851
	s_mov_b32 s0, 0xeb851eb8
	v_cmp_ngt_f64_e32 vcc, s[0:1], v[18:19]
                                        ; implicit-def: $vgpr16_vgpr17
	s_and_saveexec_b64 s[12:13], vcc
	s_xor_b64 s[12:13], exec, s[12:13]
	s_cbranch_execz .LBB7_128
; %bb.121:
	s_mov_b32 s1, 0x4000b851
	v_cmp_nle_f64_e64 s[14:15], s[0:1], v[18:19]
	v_cmp_le_f64_e32 vcc, s[0:1], v[18:19]
	v_mov_b64_e32 v[16:17], 0
	s_mov_b64 s[0:1], s[14:15]
	s_and_saveexec_b64 s[16:17], vcc
	s_cbranch_execz .LBB7_123
; %bb.122:
	s_mov_b32 s0, 0
	s_brev_b32 s1, 8
	v_mov_b32_e32 v1, 0x100
	v_cmp_gt_f64_e32 vcc, s[0:1], v[18:19]
	v_add_f64 v[22:23], v[18:19], v[18:19]
	s_mov_b32 s18, 0
	v_cndmask_b32_e32 v3, 0, v1, vcc
	v_ldexp_f64 v[16:17], v[18:19], v3
	v_rsq_f64_e32 v[20:21], v[16:17]
	v_mov_b32_e32 v3, 0xffffff80
	v_cndmask_b32_e32 v5, 0, v3, vcc
	s_mov_b32 s19, 0x40080000
	v_mul_f64 v[24:25], v[16:17], v[20:21]
	v_mul_f64 v[20:21], v[20:21], 0.5
	v_fma_f64 v[26:27], -v[20:21], v[24:25], 0.5
	v_fmac_f64_e32 v[24:25], v[24:25], v[26:27]
	v_fma_f64 v[28:29], -v[24:25], v[24:25], v[16:17]
	v_fmac_f64_e32 v[20:21], v[20:21], v[26:27]
	v_fmac_f64_e32 v[24:25], v[28:29], v[20:21]
	v_fma_f64 v[26:27], -v[24:25], v[24:25], v[16:17]
	v_fmac_f64_e32 v[24:25], v[26:27], v[20:21]
	v_ldexp_f64 v[20:21], v[24:25], v5
	v_mov_b32_e32 v5, 0x260
	v_cmp_class_f64_e32 vcc, v[16:17], v5
	s_nop 1
	v_cndmask_b32_e32 v21, v21, v17, vcc
	v_cndmask_b32_e32 v20, v20, v16, vcc
	v_mul_f64 v[16:17], v[22:23], v[20:21]
	v_div_scale_f64 v[22:23], s[20:21], s[18:19], s[18:19], v[16:17]
	v_rcp_f64_e32 v[24:25], v[22:23]
	s_nop 0
	v_fma_f64 v[26:27], -v[22:23], v[24:25], 1.0
	v_fmac_f64_e32 v[24:25], v[24:25], v[26:27]
	v_fma_f64 v[26:27], -v[22:23], v[24:25], 1.0
	v_fmac_f64_e32 v[24:25], v[24:25], v[26:27]
	v_div_scale_f64 v[26:27], vcc, v[16:17], s[18:19], v[16:17]
	v_mul_f64 v[28:29], v[26:27], v[24:25]
	v_fma_f64 v[22:23], -v[22:23], v[28:29], v[26:27]
	s_nop 1
	v_div_fmas_f64 v[22:23], v[22:23], v[24:25], v[28:29]
	v_div_fixup_f64 v[16:17], v[22:23], s[18:19], v[16:17]
	v_div_scale_f64 v[22:23], s[18:19], v[16:17], v[16:17], 1.0
	v_rcp_f64_e32 v[24:25], v[22:23]
	s_nop 0
	v_fma_f64 v[26:27], -v[22:23], v[24:25], 1.0
	v_fmac_f64_e32 v[24:25], v[24:25], v[26:27]
	v_fma_f64 v[26:27], -v[22:23], v[24:25], 1.0
	v_fmac_f64_e32 v[24:25], v[24:25], v[26:27]
	v_div_scale_f64 v[26:27], vcc, 1.0, v[16:17], 1.0
	v_mul_f64 v[28:29], v[26:27], v[24:25]
	v_fma_f64 v[22:23], -v[22:23], v[28:29], v[26:27]
	v_mov_b32_e32 v26, 0x871a9067
	s_nop 0
	v_div_fmas_f64 v[22:23], v[22:23], v[24:25], v[28:29]
	v_div_fixup_f64 v[22:23], v[22:23], v[16:17], 1.0
	v_mov_b32_e32 v24, 0x2537b658
	v_mov_b32_e32 v25, 0x3fd62dae
	v_fmac_f64_e32 v[24:25], 0, v[22:23]
	v_mov_b32_e32 v27, 0x402803e3
	v_fmac_f64_e32 v[26:27], v[22:23], v[24:25]
	v_mov_b32_e32 v24, 0xde2e1e3
	v_mov_b32_e32 v25, 0x405311e5
	v_fmac_f64_e32 v[24:25], v[22:23], v[26:27]
	v_mov_b32_e32 v26, 0xee40073c
	;; [unrolled: 3-line block ×12, first 2 shown]
	v_mov_b32_e32 v27, 0x402c311b
	v_fmac_f64_e32 v[26:27], v[22:23], v[28:29]
	v_fma_f64 v[26:27], v[22:23], v[26:27], 1.0
	v_fma_f64 v[22:23], v[22:23], v[24:25], 1.0
	v_div_scale_f64 v[24:25], s[18:19], v[26:27], v[26:27], v[22:23]
	v_rcp_f64_e32 v[28:29], v[24:25]
	s_nop 0
	v_fma_f64 v[30:31], -v[24:25], v[28:29], 1.0
	v_fmac_f64_e32 v[28:29], v[28:29], v[30:31]
	v_fma_f64 v[30:31], -v[24:25], v[28:29], 1.0
	v_fmac_f64_e32 v[28:29], v[28:29], v[30:31]
	v_div_scale_f64 v[30:31], vcc, v[22:23], v[26:27], v[22:23]
	v_mul_f64 v[32:33], v[30:31], v[28:29]
	v_fma_f64 v[24:25], -v[24:25], v[32:33], v[30:31]
	s_nop 1
	v_div_fmas_f64 v[24:25], v[24:25], v[28:29], v[32:33]
	v_cmp_gt_f64_e32 vcc, s[0:1], v[20:21]
	v_div_fixup_f64 v[22:23], v[24:25], v[26:27], v[22:23]
	s_mov_b32 s0, 0x50429b6d
	v_cndmask_b32_e32 v1, 0, v1, vcc
	v_ldexp_f64 v[24:25], v[20:21], v1
	v_rsq_f64_e32 v[26:27], v[24:25]
	s_mov_b32 s1, 0x3fe20dd7
	v_mul_f64 v[20:21], v[22:23], s[0:1]
	v_cndmask_b32_e32 v1, 0, v3, vcc
	v_mul_f64 v[22:23], v[24:25], v[26:27]
	v_mul_f64 v[26:27], v[26:27], 0.5
	v_fma_f64 v[28:29], -v[26:27], v[22:23], 0.5
	v_fmac_f64_e32 v[22:23], v[22:23], v[28:29]
	v_fma_f64 v[30:31], -v[22:23], v[22:23], v[24:25]
	v_fmac_f64_e32 v[26:27], v[26:27], v[28:29]
	v_fmac_f64_e32 v[22:23], v[30:31], v[26:27]
	v_fma_f64 v[28:29], -v[22:23], v[22:23], v[24:25]
	v_fmac_f64_e32 v[22:23], v[28:29], v[26:27]
	s_mov_b32 s0, 0x652b82fe
	v_ldexp_f64 v[22:23], v[22:23], v1
	v_cmp_class_f64_e32 vcc, v[24:25], v5
	s_mov_b32 s1, 0x3ff71547
	v_mov_b32_e32 v28, 0xfca7ab0c
	v_cndmask_b32_e32 v23, v23, v25, vcc
	v_cndmask_b32_e32 v22, v22, v24, vcc
	v_mul_f64 v[24:25], v[16:17], s[0:1]
	s_mov_b32 s0, 0xfefa39ef
	v_rndne_f64_e32 v[24:25], v[24:25]
	s_mov_b32 s1, 0xbfe62e42
	v_fma_f64 v[26:27], s[0:1], v[24:25], v[16:17]
	s_mov_b32 s0, 0x3b39803f
	s_mov_b32 s1, 0xbc7abc9e
	v_fmac_f64_e32 v[26:27], s[0:1], v[24:25]
	s_mov_b32 s0, 0x6a5dcb37
	v_mov_b32_e32 v29, 0x3e928af3
	s_mov_b32 s1, 0x3e5ade15
	v_fmac_f64_e32 v[28:29], s[0:1], v[26:27]
	v_mov_b32_e32 v30, 0x623fde64
	v_mov_b32_e32 v31, 0x3ec71dee
	v_fmac_f64_e32 v[30:31], v[26:27], v[28:29]
	v_mov_b32_e32 v28, 0x7c89e6b0
	v_mov_b32_e32 v29, 0x3efa0199
	v_fmac_f64_e32 v[28:29], v[26:27], v[30:31]
	v_mov_b32_e32 v30, 0x14761f6e
	v_mov_b32_e32 v31, 0x3f2a01a0
	v_fmac_f64_e32 v[30:31], v[26:27], v[28:29]
	v_mov_b32_e32 v28, 0x1852b7b0
	v_mov_b32_e32 v29, 0x3f56c16c
	v_fmac_f64_e32 v[28:29], v[26:27], v[30:31]
	v_mov_b32_e32 v30, 0x11122322
	v_mov_b32_e32 v31, 0x3f811111
	v_fmac_f64_e32 v[30:31], v[26:27], v[28:29]
	v_mov_b32_e32 v28, 0x555502a1
	v_mov_b32_e32 v29, 0x3fa55555
	v_fmac_f64_e32 v[28:29], v[26:27], v[30:31]
	v_mov_b32_e32 v30, 0x55555511
	v_mov_b32_e32 v31, 0x3fc55555
	v_fmac_f64_e32 v[30:31], v[26:27], v[28:29]
	v_mov_b32_e32 v28, 11
	v_mov_b32_e32 v29, 0x3fe00000
	s_mov_b32 s0, 0
	v_fmac_f64_e32 v[28:29], v[26:27], v[30:31]
	s_mov_b32 s1, 0x40900000
	v_fma_f64 v[28:29], v[26:27], v[28:29], 1.0
	v_cmp_nlt_f64_e32 vcc, s[0:1], v[16:17]
	s_mov_b32 s0, 0
	v_fma_f64 v[26:27], v[26:27], v[28:29], 1.0
	v_cvt_i32_f64_e32 v1, v[24:25]
	s_mov_b32 s1, 0xc090cc00
	v_ldexp_f64 v[24:25], v[26:27], v1
	v_mov_b32_e32 v1, 0x7ff00000
	v_cmp_ngt_f64_e64 s[0:1], s[0:1], v[16:17]
	v_cndmask_b32_e32 v1, v1, v25, vcc
	s_and_b64 vcc, s[0:1], vcc
	v_add_f64 v[22:23], v[22:23], v[22:23]
	v_cndmask_b32_e64 v17, 0, v1, s[0:1]
	v_cndmask_b32_e32 v16, 0, v24, vcc
	v_mul_f64 v[16:17], v[22:23], v[16:17]
	v_div_scale_f64 v[22:23], s[0:1], v[16:17], v[16:17], v[20:21]
	v_rcp_f64_e32 v[24:25], v[22:23]
	s_mov_b32 s0, 0xfd0a823a
	s_mov_b32 s1, 0x4020a402
	v_fma_f64 v[26:27], -v[22:23], v[24:25], 1.0
	v_fmac_f64_e32 v[24:25], v[24:25], v[26:27]
	v_fma_f64 v[26:27], -v[22:23], v[24:25], 1.0
	v_fmac_f64_e32 v[24:25], v[24:25], v[26:27]
	v_div_scale_f64 v[26:27], vcc, v[20:21], v[16:17], v[20:21]
	v_mul_f64 v[28:29], v[26:27], v[24:25]
	v_fma_f64 v[22:23], -v[22:23], v[28:29], v[26:27]
	s_nop 1
	v_div_fmas_f64 v[22:23], v[22:23], v[24:25], v[28:29]
	v_cmp_nlt_f64_e32 vcc, s[0:1], v[18:19]
	s_andn2_b64 s[0:1], s[14:15], exec
	s_and_b64 s[18:19], vcc, exec
	v_div_fixup_f64 v[16:17], v[22:23], v[16:17], v[20:21]
	s_or_b64 s[0:1], s[0:1], s[18:19]
.LBB7_123:
	s_or_b64 exec, exec, s[16:17]
	s_and_saveexec_b64 s[16:17], s[0:1]
	s_cbranch_execz .LBB7_127
; %bb.124:
	v_mul_f64 v[20:21], v[18:19], v[18:19]
	s_mov_b32 s20, 0
	v_mul_f64 v[22:23], v[18:19], v[20:21]
	v_mov_b64_e32 v[28:29], 1.0
	s_mov_b64 s[18:19], 0
	v_mov_b64_e32 v[26:27], 1.0
	s_mov_b32 s21, 0x3cb00000
	v_mov_b64_e32 v[24:25], v[18:19]
	v_mov_b64_e32 v[20:21], 1.0
.LBB7_125:                              ; =>This Inner Loop Header: Depth=1
	v_mul_f64 v[28:29], v[22:23], v[28:29]
	v_add_f64 v[30:31], v[26:27], 1.0
	v_mul_f64 v[18:19], v[22:23], v[18:19]
	v_div_scale_f64 v[32:33], s[0:1], v[30:31], v[30:31], v[28:29]
	v_add_f64 v[36:37], v[30:31], 1.0
	v_rcp_f64_e32 v[38:39], v[32:33]
	v_div_scale_f64 v[40:41], s[0:1], v[36:37], v[36:37], v[18:19]
	v_rcp_f64_e32 v[44:45], v[40:41]
	v_fma_f64 v[46:47], -v[32:33], v[38:39], 1.0
	v_fmac_f64_e32 v[38:39], v[38:39], v[46:47]
	v_fma_f64 v[48:49], -v[32:33], v[38:39], 1.0
	v_fma_f64 v[46:47], -v[40:41], v[44:45], 1.0
	v_fmac_f64_e32 v[44:45], v[44:45], v[46:47]
	v_div_scale_f64 v[34:35], vcc, v[28:29], v[30:31], v[28:29]
	v_fmac_f64_e32 v[38:39], v[38:39], v[48:49]
	v_fma_f64 v[46:47], -v[40:41], v[44:45], 1.0
	v_div_scale_f64 v[42:43], s[0:1], v[18:19], v[36:37], v[18:19]
	v_mul_f64 v[48:49], v[34:35], v[38:39]
	v_fmac_f64_e32 v[44:45], v[44:45], v[46:47]
	v_fma_f64 v[32:33], -v[32:33], v[48:49], v[34:35]
	v_mul_f64 v[34:35], v[42:43], v[44:45]
	v_div_fmas_f64 v[32:33], v[32:33], v[38:39], v[48:49]
	v_fma_f64 v[38:39], -v[40:41], v[34:35], v[42:43]
	s_mov_b64 vcc, s[0:1]
	v_div_fixup_f64 v[28:29], v[32:33], v[30:31], v[28:29]
	v_div_fmas_f64 v[30:31], v[38:39], v[44:45], v[34:35]
	v_div_fixup_f64 v[18:19], v[30:31], v[36:37], v[18:19]
	v_div_scale_f64 v[30:31], s[0:1], v[36:37], v[36:37], v[28:29]
	v_add_f64 v[26:27], v[36:37], 1.0
	v_rcp_f64_e32 v[34:35], v[30:31]
	v_div_scale_f64 v[38:39], s[0:1], v[26:27], v[26:27], v[18:19]
	v_rcp_f64_e32 v[42:43], v[38:39]
	v_fma_f64 v[44:45], -v[30:31], v[34:35], 1.0
	v_fmac_f64_e32 v[34:35], v[34:35], v[44:45]
	v_fma_f64 v[46:47], -v[30:31], v[34:35], 1.0
	v_fma_f64 v[44:45], -v[38:39], v[42:43], 1.0
	v_div_scale_f64 v[32:33], vcc, v[28:29], v[36:37], v[28:29]
	v_fmac_f64_e32 v[42:43], v[42:43], v[44:45]
	v_fmac_f64_e32 v[34:35], v[34:35], v[46:47]
	v_fma_f64 v[44:45], -v[38:39], v[42:43], 1.0
	v_mul_f64 v[46:47], v[32:33], v[34:35]
	v_div_scale_f64 v[40:41], s[0:1], v[18:19], v[26:27], v[18:19]
	v_fmac_f64_e32 v[42:43], v[42:43], v[44:45]
	v_fma_f64 v[30:31], -v[30:31], v[46:47], v[32:33]
	v_mul_f64 v[32:33], v[40:41], v[42:43]
	v_div_fmas_f64 v[30:31], v[30:31], v[34:35], v[46:47]
	v_fma_f64 v[34:35], -v[38:39], v[32:33], v[40:41]
	v_div_fixup_f64 v[28:29], v[30:31], v[36:37], v[28:29]
	s_mov_b64 vcc, s[0:1]
	v_div_fmas_f64 v[30:31], v[34:35], v[42:43], v[32:33]
	v_add_f64 v[20:21], v[20:21], v[28:29]
	v_div_fixup_f64 v[18:19], v[30:31], v[26:27], v[18:19]
	v_div_scale_f64 v[30:31], s[0:1], v[20:21], v[20:21], v[28:29]
	v_rcp_f64_e32 v[32:33], v[30:31]
	v_div_scale_f64 v[34:35], vcc, v[28:29], v[20:21], v[28:29]
	v_add_f64 v[24:25], v[24:25], v[18:19]
	v_fma_f64 v[36:37], -v[30:31], v[32:33], 1.0
	v_fmac_f64_e32 v[32:33], v[32:33], v[36:37]
	v_fma_f64 v[36:37], -v[30:31], v[32:33], 1.0
	v_fmac_f64_e32 v[32:33], v[32:33], v[36:37]
	v_mul_f64 v[36:37], v[34:35], v[32:33]
	v_fma_f64 v[30:31], -v[30:31], v[36:37], v[34:35]
	v_div_fmas_f64 v[30:31], v[30:31], v[32:33], v[36:37]
	v_div_fixup_f64 v[30:31], v[30:31], v[20:21], v[28:29]
	v_cmp_ngt_f64_e64 s[0:1], |v[30:31]|, s[20:21]
	s_or_b64 s[18:19], s[0:1], s[18:19]
	s_andn2_b64 exec, exec, s[18:19]
	s_cbranch_execnz .LBB7_125
; %bb.126:
	s_or_b64 exec, exec, s[18:19]
	s_mov_b32 s0, 0x42b70f8b
	s_mov_b32 s1, 0xbfd0907f
	v_mul_f64 v[18:19], v[24:25], s[0:1]
	s_mov_b32 s0, 0x962715b8
	s_mov_b32 s1, 0x3fd6b8c7
	v_fmac_f64_e32 v[18:19], s[0:1], v[20:21]
	v_cndmask_b32_e64 v17, v17, v19, s[14:15]
	v_cndmask_b32_e64 v16, v16, v18, s[14:15]
.LBB7_127:
	s_or_b64 exec, exec, s[16:17]
                                        ; implicit-def: $vgpr18_vgpr19
.LBB7_128:
	s_andn2_saveexec_b64 s[12:13], s[12:13]
	s_cbranch_execz .LBB7_138
; %bb.129:
	s_mov_b32 s0, 0
	s_brev_b32 s1, 9
	v_mov_b32_e32 v1, 0x100
	v_cmp_lt_f64_e32 vcc, s[0:1], v[18:19]
	s_mov_b32 s14, 0
	s_mov_b32 s15, 0x40080000
	v_cndmask_b32_e32 v1, 0, v1, vcc
	v_ldexp_f64 v[16:17], -v[18:19], v1
	v_rsq_f64_e32 v[20:21], v[16:17]
	v_mov_b32_e32 v1, 0xffffff80
	v_cndmask_b32_e32 v1, 0, v1, vcc
	v_mul_f64 v[18:19], v[18:19], -2.0
	v_mul_f64 v[22:23], v[16:17], v[20:21]
	v_mul_f64 v[20:21], v[20:21], 0.5
	v_fma_f64 v[24:25], -v[20:21], v[22:23], 0.5
	v_fmac_f64_e32 v[22:23], v[22:23], v[24:25]
	v_fma_f64 v[26:27], -v[22:23], v[22:23], v[16:17]
	v_fmac_f64_e32 v[20:21], v[20:21], v[24:25]
	v_fmac_f64_e32 v[22:23], v[26:27], v[20:21]
	v_fma_f64 v[24:25], -v[22:23], v[22:23], v[16:17]
	v_fmac_f64_e32 v[22:23], v[24:25], v[20:21]
	v_ldexp_f64 v[20:21], v[22:23], v1
	v_mov_b32_e32 v1, 0x260
	v_cmp_class_f64_e32 vcc, v[16:17], v1
	s_mov_b32 s17, 0x3fe921fb
	s_mov_b32 s16, 0x54442d18
	v_cndmask_b32_e32 v17, v21, v17, vcc
	v_cndmask_b32_e32 v16, v20, v16, vcc
	v_mul_f64 v[18:19], v[18:19], v[16:17]
	v_div_scale_f64 v[20:21], s[0:1], s[14:15], s[14:15], v[18:19]
	v_rcp_f64_e32 v[22:23], v[20:21]
	s_movk_i32 s0, 0xff80
                                        ; implicit-def: $vgpr3
                                        ; implicit-def: $vgpr28_vgpr29
	v_fma_f64 v[24:25], -v[20:21], v[22:23], 1.0
	v_fmac_f64_e32 v[22:23], v[22:23], v[24:25]
	v_fma_f64 v[24:25], -v[20:21], v[22:23], 1.0
	v_fmac_f64_e32 v[22:23], v[22:23], v[24:25]
	v_div_scale_f64 v[24:25], vcc, v[18:19], s[14:15], v[18:19]
	v_mul_f64 v[26:27], v[24:25], v[22:23]
	v_fma_f64 v[20:21], -v[20:21], v[26:27], v[24:25]
	s_nop 1
	v_div_fmas_f64 v[20:21], v[20:21], v[22:23], v[26:27]
	v_div_fixup_f64 v[24:25], v[20:21], s[14:15], v[18:19]
	s_mov_b32 s14, 0
	v_add_f64 v[18:19], v[24:25], s[16:17]
	s_mov_b32 s15, 0x41d00000
	v_cmp_nlt_f64_e64 s[14:15], |v[18:19]|, s[14:15]
                                        ; implicit-def: $vgpr26_vgpr27
	s_and_saveexec_b64 s[18:19], s[14:15]
	s_xor_b64 s[18:19], exec, s[18:19]
	s_cbranch_execz .LBB7_131
; %bb.130:
	s_mov_b32 s20, 0
	s_mov_b32 s21, 0x7b000000
	v_and_b32_e32 v1, 0x7fffffff, v19
	v_ldexp_f64 v[26:27], |v[18:19]|, s0
	v_cmp_ge_f64_e64 vcc, |v[18:19]|, s[20:21]
	v_trig_preop_f64 v[20:21], |v[18:19]|, 0
	v_trig_preop_f64 v[22:23], |v[18:19]|, 1
	v_cndmask_b32_e32 v27, v1, v27, vcc
	v_cndmask_b32_e32 v26, v18, v26, vcc
	v_mul_f64 v[30:31], v[20:21], v[26:27]
	v_mul_f64 v[28:29], v[22:23], v[26:27]
	v_fma_f64 v[20:21], v[20:21], v[26:27], -v[30:31]
	v_add_f64 v[32:33], v[28:29], v[20:21]
	v_add_f64 v[40:41], v[32:33], -v[28:29]
	v_add_f64 v[20:21], v[20:21], -v[40:41]
	;; [unrolled: 1-line block ×4, first 2 shown]
	v_fma_f64 v[22:23], v[22:23], v[26:27], -v[28:29]
	v_trig_preop_f64 v[28:29], |v[18:19]|, 2
	v_add_f64 v[20:21], v[20:21], v[40:41]
	v_mul_f64 v[40:41], v[28:29], v[26:27]
	v_add_f64 v[42:43], v[40:41], v[22:23]
	v_add_f64 v[34:35], v[30:31], v[32:33]
	;; [unrolled: 1-line block ×3, first 2 shown]
	v_ldexp_f64 v[36:37], v[34:35], -2
	v_add_f64 v[30:31], v[34:35], -v[30:31]
	v_add_f64 v[34:35], v[44:45], -v[42:43]
	;; [unrolled: 1-line block ×5, first 2 shown]
	v_add_f64 v[20:21], v[20:21], v[34:35]
	v_add_f64 v[34:35], v[42:43], -v[40:41]
	v_add_f64 v[22:23], v[22:23], -v[34:35]
	;; [unrolled: 1-line block ×4, first 2 shown]
	v_add_f64 v[22:23], v[22:23], v[34:35]
	s_mov_b32 s0, 0
	v_fract_f64_e32 v[38:39], v[36:37]
	v_add_f64 v[20:21], v[22:23], v[20:21]
	v_fma_f64 v[22:23], v[28:29], v[26:27], -v[40:41]
	s_mov_b32 s1, 0x7ff00000
	v_add_f64 v[30:31], v[32:33], -v[30:31]
	v_add_f64 v[20:21], v[22:23], v[20:21]
	v_ldexp_f64 v[22:23], v[38:39], 2
	v_cmp_neq_f64_e64 vcc, |v[36:37]|, s[0:1]
	v_add_f64 v[32:33], v[30:31], v[44:45]
	v_mov_b32_e32 v1, 0x40100000
	v_cndmask_b32_e32 v23, 0, v23, vcc
	v_cndmask_b32_e32 v22, 0, v22, vcc
	v_add_f64 v[26:27], v[32:33], v[22:23]
	v_cmp_gt_f64_e32 vcc, 0, v[26:27]
	v_mov_b32_e32 v26, 0
	v_add_f64 v[30:31], v[32:33], -v[30:31]
	v_cndmask_b32_e32 v27, 0, v1, vcc
	v_add_f64 v[22:23], v[22:23], v[26:27]
	v_add_f64 v[28:29], v[32:33], v[22:23]
	v_cvt_i32_f64_e32 v1, v[28:29]
	v_cvt_f64_i32_e32 v[28:29], v1
	v_add_f64 v[22:23], v[22:23], -v[28:29]
	v_add_f64 v[28:29], v[32:33], v[22:23]
	v_cmp_le_f64_e32 vcc, 0.5, v[28:29]
	v_add_f64 v[30:31], v[44:45], -v[30:31]
	v_add_f64 v[22:23], v[28:29], -v[22:23]
	v_addc_co_u32_e64 v3, s[0:1], 0, v1, vcc
	v_mov_b32_e32 v1, 0x3ff00000
	v_add_f64 v[20:21], v[30:31], v[20:21]
	v_add_f64 v[22:23], v[32:33], -v[22:23]
	v_cndmask_b32_e32 v27, 0, v1, vcc
	v_add_f64 v[20:21], v[20:21], v[22:23]
	v_add_f64 v[22:23], v[28:29], -v[26:27]
	v_add_f64 v[26:27], v[22:23], v[20:21]
	v_add_f64 v[22:23], v[26:27], -v[22:23]
	s_mov_b32 s17, 0x3ff921fb
	v_add_f64 v[20:21], v[20:21], -v[22:23]
	v_mul_f64 v[22:23], v[26:27], s[16:17]
	s_mov_b32 s0, 0x33145c07
	v_fma_f64 v[28:29], v[26:27], s[16:17], -v[22:23]
	s_mov_b32 s1, 0x3c91a626
	v_fmac_f64_e32 v[28:29], s[0:1], v[26:27]
	v_fmac_f64_e32 v[28:29], s[16:17], v[20:21]
	v_add_f64 v[26:27], v[22:23], v[28:29]
	v_add_f64 v[20:21], v[26:27], -v[22:23]
	v_add_f64 v[28:29], v[28:29], -v[20:21]
	s_andn2_saveexec_b64 s[0:1], s[18:19]
	s_cbranch_execz .LBB7_133
	s_branch .LBB7_132
.LBB7_131:
	s_andn2_saveexec_b64 s[0:1], s[18:19]
	s_cbranch_execz .LBB7_133
.LBB7_132:
	s_mov_b32 s16, 0x6dc9c883
	s_mov_b32 s17, 0x3fe45f30
	v_mul_f64 v[20:21], |v[18:19]|, s[16:17]
	s_mov_b32 s16, 0x54442d18
	v_rndne_f64_e32 v[20:21], v[20:21]
	s_mov_b32 s17, 0xbff921fb
	v_fma_f64 v[22:23], v[20:21], s[16:17], |v[18:19]|
	s_mov_b32 s17, 0xbc91a626
	s_mov_b32 s16, 0x33145c00
	v_mul_f64 v[26:27], v[20:21], s[16:17]
	v_add_f64 v[32:33], v[22:23], v[26:27]
	v_fma_f64 v[28:29], s[16:17], v[20:21], v[22:23]
	s_mov_b32 s17, 0x3c91a626
	v_add_f64 v[22:23], v[22:23], -v[32:33]
	v_fma_f64 v[30:31], s[16:17], v[20:21], v[26:27]
	v_add_f64 v[22:23], v[22:23], v[26:27]
	v_add_f64 v[26:27], v[32:33], -v[28:29]
	v_add_f64 v[22:23], v[26:27], v[22:23]
	s_mov_b32 s16, 0x252049c0
	v_add_f64 v[22:23], v[22:23], -v[30:31]
	s_mov_b32 s17, 0xb97b839a
	v_fmac_f64_e32 v[22:23], s[16:17], v[20:21]
	v_add_f64 v[26:27], v[28:29], v[22:23]
	v_add_f64 v[28:29], v[26:27], -v[28:29]
	v_add_f64 v[28:29], v[22:23], -v[28:29]
	v_cvt_i32_f64_e32 v3, v[20:21]
.LBB7_133:
	s_or_b64 exec, exec, s[0:1]
                                        ; implicit-def: $vgpr1
                                        ; implicit-def: $vgpr20_vgpr21
                                        ; implicit-def: $vgpr22_vgpr23
	s_and_saveexec_b64 s[0:1], s[14:15]
	s_xor_b64 s[14:15], exec, s[0:1]
	s_cbranch_execz .LBB7_135
; %bb.134:
	s_mov_b32 s0, 0
	s_mov_b32 s1, 0x7b000000
	s_movk_i32 s16, 0xff80
	v_and_b32_e32 v1, 0x7fffffff, v19
	v_ldexp_f64 v[30:31], |v[18:19]|, s16
	v_cmp_ge_f64_e64 vcc, |v[18:19]|, s[0:1]
	v_trig_preop_f64 v[20:21], |v[18:19]|, 0
	v_trig_preop_f64 v[22:23], |v[18:19]|, 1
	v_cndmask_b32_e32 v31, v1, v31, vcc
	v_cndmask_b32_e32 v30, v18, v30, vcc
	v_mul_f64 v[34:35], v[20:21], v[30:31]
	v_mul_f64 v[32:33], v[22:23], v[30:31]
	v_fma_f64 v[20:21], v[20:21], v[30:31], -v[34:35]
	v_add_f64 v[36:37], v[32:33], v[20:21]
	v_add_f64 v[44:45], v[36:37], -v[32:33]
	v_add_f64 v[20:21], v[20:21], -v[44:45]
	v_add_f64 v[44:45], v[36:37], -v[44:45]
	v_add_f64 v[44:45], v[32:33], -v[44:45]
	v_fma_f64 v[22:23], v[22:23], v[30:31], -v[32:33]
	v_trig_preop_f64 v[32:33], |v[18:19]|, 2
	v_add_f64 v[20:21], v[20:21], v[44:45]
	v_mul_f64 v[44:45], v[32:33], v[30:31]
	v_add_f64 v[46:47], v[44:45], v[22:23]
	v_add_f64 v[38:39], v[34:35], v[36:37]
	;; [unrolled: 1-line block ×3, first 2 shown]
	v_ldexp_f64 v[40:41], v[38:39], -2
	v_add_f64 v[34:35], v[38:39], -v[34:35]
	v_add_f64 v[38:39], v[48:49], -v[46:47]
	;; [unrolled: 1-line block ×5, first 2 shown]
	v_add_f64 v[20:21], v[20:21], v[38:39]
	v_add_f64 v[38:39], v[46:47], -v[44:45]
	v_add_f64 v[22:23], v[22:23], -v[38:39]
	;; [unrolled: 1-line block ×4, first 2 shown]
	v_add_f64 v[22:23], v[22:23], v[38:39]
	s_mov_b32 s0, 0
	v_fract_f64_e32 v[42:43], v[40:41]
	v_add_f64 v[20:21], v[22:23], v[20:21]
	v_fma_f64 v[22:23], v[32:33], v[30:31], -v[44:45]
	s_mov_b32 s1, 0x7ff00000
	v_add_f64 v[34:35], v[36:37], -v[34:35]
	v_add_f64 v[20:21], v[22:23], v[20:21]
	v_ldexp_f64 v[22:23], v[42:43], 2
	v_cmp_neq_f64_e64 vcc, |v[40:41]|, s[0:1]
	v_add_f64 v[36:37], v[34:35], v[48:49]
	v_mov_b32_e32 v1, 0x40100000
	v_cndmask_b32_e32 v23, 0, v23, vcc
	v_cndmask_b32_e32 v22, 0, v22, vcc
	v_add_f64 v[30:31], v[36:37], v[22:23]
	v_cmp_gt_f64_e32 vcc, 0, v[30:31]
	v_mov_b32_e32 v30, 0
	v_add_f64 v[34:35], v[36:37], -v[34:35]
	v_cndmask_b32_e32 v31, 0, v1, vcc
	v_add_f64 v[22:23], v[22:23], v[30:31]
	v_add_f64 v[32:33], v[36:37], v[22:23]
	v_cvt_i32_f64_e32 v1, v[32:33]
	v_cvt_f64_i32_e32 v[32:33], v1
	v_add_f64 v[22:23], v[22:23], -v[32:33]
	v_add_f64 v[32:33], v[36:37], v[22:23]
	v_add_f64 v[34:35], v[48:49], -v[34:35]
	v_add_f64 v[22:23], v[32:33], -v[22:23]
	v_cmp_le_f64_e32 vcc, 0.5, v[32:33]
	v_mov_b32_e32 v5, 0x3ff00000
	v_add_f64 v[20:21], v[34:35], v[20:21]
	v_add_f64 v[22:23], v[36:37], -v[22:23]
	v_cndmask_b32_e32 v31, 0, v5, vcc
	v_add_f64 v[20:21], v[20:21], v[22:23]
	v_addc_co_u32_e64 v1, s[0:1], 0, v1, vcc
	v_add_f64 v[22:23], v[32:33], -v[30:31]
	v_add_f64 v[30:31], v[22:23], v[20:21]
	s_mov_b32 s0, 0x54442d18
	v_add_f64 v[22:23], v[30:31], -v[22:23]
	s_mov_b32 s1, 0x3ff921fb
	v_add_f64 v[20:21], v[20:21], -v[22:23]
	v_mul_f64 v[22:23], v[30:31], s[0:1]
	s_mov_b32 s16, 0x33145c07
	v_fma_f64 v[32:33], v[30:31], s[0:1], -v[22:23]
	s_mov_b32 s17, 0x3c91a626
	v_fmac_f64_e32 v[32:33], s[16:17], v[30:31]
	v_fmac_f64_e32 v[32:33], s[0:1], v[20:21]
	v_add_f64 v[20:21], v[22:23], v[32:33]
	v_add_f64 v[22:23], v[20:21], -v[22:23]
	v_add_f64 v[22:23], v[32:33], -v[22:23]
	s_andn2_saveexec_b64 s[0:1], s[14:15]
	s_cbranch_execnz .LBB7_136
	s_branch .LBB7_137
.LBB7_135:
	s_andn2_saveexec_b64 s[0:1], s[14:15]
	s_cbranch_execz .LBB7_137
.LBB7_136:
	s_mov_b32 s14, 0x6dc9c883
	s_mov_b32 s15, 0x3fe45f30
	v_mul_f64 v[20:21], |v[18:19]|, s[14:15]
	s_mov_b32 s14, 0x54442d18
	v_rndne_f64_e32 v[30:31], v[20:21]
	s_mov_b32 s15, 0xbff921fb
	v_fma_f64 v[20:21], v[30:31], s[14:15], |v[18:19]|
	s_mov_b32 s15, 0xbc91a626
	s_mov_b32 s14, 0x33145c00
	v_mul_f64 v[32:33], v[30:31], s[14:15]
	v_add_f64 v[36:37], v[20:21], v[32:33]
	v_fma_f64 v[22:23], s[14:15], v[30:31], v[20:21]
	s_mov_b32 s15, 0x3c91a626
	v_add_f64 v[20:21], v[20:21], -v[36:37]
	v_fma_f64 v[34:35], s[14:15], v[30:31], v[32:33]
	v_add_f64 v[20:21], v[20:21], v[32:33]
	v_add_f64 v[32:33], v[36:37], -v[22:23]
	v_add_f64 v[20:21], v[32:33], v[20:21]
	s_mov_b32 s14, 0x252049c0
	v_add_f64 v[32:33], v[20:21], -v[34:35]
	s_mov_b32 s15, 0xb97b839a
	v_fmac_f64_e32 v[32:33], s[14:15], v[30:31]
	v_add_f64 v[20:21], v[22:23], v[32:33]
	v_add_f64 v[22:23], v[20:21], -v[22:23]
	v_add_f64 v[22:23], v[32:33], -v[22:23]
	v_cvt_i32_f64_e32 v1, v[30:31]
.LBB7_137:
	s_or_b64 exec, exec, s[0:1]
	v_div_scale_f64 v[30:31], s[0:1], v[24:25], v[24:25], 1.0
	v_rcp_f64_e32 v[32:33], v[30:31]
	v_div_scale_f64 v[34:35], vcc, 1.0, v[24:25], 1.0
	v_mov_b32_e32 v38, 0xaf76e73b
	v_fma_f64 v[36:37], -v[30:31], v[32:33], 1.0
	v_fmac_f64_e32 v[32:33], v[32:33], v[36:37]
	v_fma_f64 v[36:37], -v[30:31], v[32:33], 1.0
	v_fmac_f64_e32 v[32:33], v[32:33], v[36:37]
	v_mul_f64 v[36:37], v[34:35], v[32:33]
	v_fma_f64 v[30:31], -v[30:31], v[36:37], v[34:35]
	v_div_fmas_f64 v[30:31], v[30:31], v[32:33], v[36:37]
	v_div_fixup_f64 v[24:25], v[30:31], v[24:25], 1.0
	v_mul_f64 v[30:31], v[24:25], v[24:25]
	v_mov_b32_e32 v32, 0xd50ae6fb
	v_mov_b32_e32 v33, 0xbfc0db6c
	v_fmac_f64_e32 v[32:33], 0, v[30:31]
	v_mov_b32_e32 v34, 0x98566852
	v_mov_b32_e32 v35, 0xbfe40bee
	v_fmac_f64_e32 v[34:35], v[30:31], v[32:33]
	;; [unrolled: 3-line block ×15, first 2 shown]
	v_mov_b32_e32 v39, 0x3f13c8d7
	v_fmac_f64_e32 v[38:39], v[30:31], v[32:33]
	v_mov_b32_e32 v36, 0xb99518a7
	v_mov_b32_e32 v37, 0x3e9e52b9
	v_mul_f64 v[40:41], v[26:27], v[26:27]
	v_fmac_f64_e32 v[36:37], v[30:31], v[38:39]
	v_mov_b32_e32 v38, 0xf68ea2d2
	v_mov_b32_e32 v39, 0xbe52041c
	v_mul_f64 v[32:33], v[40:41], 0.5
	v_fmac_f64_e32 v[38:39], v[30:31], v[34:35]
	v_add_f64 v[34:35], -v[32:33], 1.0
	s_mov_b32 s0, 0x9037ab78
	v_add_f64 v[42:43], -v[34:35], 1.0
	s_mov_b32 s1, 0x3e21eeb6
	s_mov_b32 s14, 0x46cc5e42
	v_add_f64 v[42:43], v[42:43], -v[32:33]
	s_mov_b32 s15, 0xbda907db
	v_mov_b64_e32 v[32:33], s[0:1]
	s_mov_b32 s16, 0xa17f65f6
	v_fma_f64 v[46:47], s[14:15], v[40:41], v[32:33]
	s_mov_b32 s17, 0xbe927e4f
	s_mov_b32 s18, 0x19f4ec90
	v_fma_f64 v[46:47], v[40:41], v[46:47], s[16:17]
	s_mov_b32 s19, 0x3efa01a0
	;; [unrolled: 3-line block ×4, first 2 shown]
	v_mul_f64 v[44:45], v[40:41], v[40:41]
	v_fma_f64 v[46:47], v[40:41], v[46:47], s[22:23]
	v_fma_f64 v[42:43], v[26:27], -v[28:29], v[42:43]
	s_mov_b32 s0, 0xb42fdfa7
	v_fmac_f64_e32 v[42:43], v[44:45], v[46:47]
	s_mov_b32 s1, 0xbe5ae600
	s_mov_b32 s24, 0xf9a43bb8
	v_add_f64 v[42:43], v[34:35], v[42:43]
	s_mov_b32 s25, 0x3de5e0b2
	v_mov_b64_e32 v[34:35], s[0:1]
	s_mov_b32 s26, 0x796cde01
	v_fma_f64 v[44:45], s[24:25], v[40:41], v[34:35]
	s_mov_b32 s27, 0x3ec71de3
	s_mov_b32 s28, 0x19e83e5c
	v_fma_f64 v[44:45], v[40:41], v[44:45], s[26:27]
	s_mov_b32 s29, 0xbf2a01a0
	;; [unrolled: 3-line block ×3, first 2 shown]
	v_fma_f64 v[44:45], v[40:41], v[44:45], s[30:31]
	v_mul_f64 v[46:47], v[26:27], -v[40:41]
	v_mul_f64 v[48:49], v[28:29], 0.5
	v_fmac_f64_e32 v[48:49], v[46:47], v[44:45]
	v_fma_f64 v[28:29], v[40:41], v[48:49], -v[28:29]
	s_mov_b32 s35, 0xbfc55555
	s_mov_b32 s34, s22
	v_fmac_f64_e32 v[28:29], s[34:35], v[46:47]
	v_and_b32_e32 v5, 1, v3
	v_add_f64 v[26:27], v[26:27], -v[28:29]
	v_cmp_eq_u32_e32 vcc, 0, v5
	v_lshlrev_b32_e32 v3, 30, v3
	s_movk_i32 s36, 0x1f8
	v_cndmask_b32_e32 v5, v42, v26, vcc
	v_cndmask_b32_e32 v7, v43, v27, vcc
	v_mul_f64 v[26:27], v[30:31], v[38:39]
	v_div_scale_f64 v[28:29], s[0:1], v[36:37], v[36:37], v[26:27]
	v_rcp_f64_e32 v[38:39], v[28:29]
	v_xor_b32_e32 v3, v3, v19
	s_brev_b32 s33, 1
	v_cmp_class_f64_e64 s[0:1], v[18:19], s36
	v_fma_f64 v[40:41], -v[28:29], v[38:39], 1.0
	v_fmac_f64_e32 v[38:39], v[38:39], v[40:41]
	v_fma_f64 v[40:41], -v[28:29], v[38:39], 1.0
	v_fmac_f64_e32 v[38:39], v[38:39], v[40:41]
	v_div_scale_f64 v[40:41], vcc, v[26:27], v[36:37], v[26:27]
	v_mul_f64 v[42:43], v[40:41], v[38:39]
	v_fma_f64 v[28:29], -v[28:29], v[42:43], v[40:41]
	s_mov_b32 s36, 0
	s_nop 0
	v_div_fmas_f64 v[28:29], v[28:29], v[38:39], v[42:43]
	v_div_fixup_f64 v[26:27], v[28:29], v[36:37], v[26:27]
	v_mov_b32_e32 v28, 0xddcfbbde
	v_mov_b32_e32 v29, 0x3f943525
	v_fmac_f64_e32 v[28:29], 0, v[30:31]
	v_mov_b32_e32 v36, 0x6437b7
	v_mov_b32_e32 v37, 0x3fd907d5
	v_fmac_f64_e32 v[36:37], v[30:31], v[28:29]
	;; [unrolled: 3-line block ×14, first 2 shown]
	v_mov_b32_e32 v38, 0x2b79dbce
	v_mov_b32_e32 v39, 0x4015e84e
	v_bitop3_b32 v3, v7, v3, s33 bitop3:0x78
	v_cndmask_b32_e64 v18, 0, v5, s[0:1]
	v_mov_b32_e32 v5, 0x7ff80000
	v_fmac_f64_e32 v[38:39], v[30:31], v[36:37]
	v_mov_b32_e32 v36, 0xc195ece3
	v_mov_b32_e32 v37, 0x3fee8992
	s_brev_b32 s37, 8
	v_cndmask_b32_e64 v19, v5, v3, s[0:1]
	v_fmac_f64_e32 v[36:37], v[30:31], v[38:39]
	v_mov_b32_e32 v38, 0xed64a9ee
	v_mov_b32_e32 v39, 0x3fb6221d
	;; [unrolled: 1-line block ×3, first 2 shown]
	v_cmp_gt_f64_e32 vcc, s[36:37], v[16:17]
	v_fmac_f64_e32 v[38:39], v[30:31], v[36:37]
	v_mov_b32_e32 v36, 0x6be393bb
	v_mov_b32_e32 v37, 0x3f70e704
	v_cndmask_b32_e32 v3, 0, v3, vcc
	v_fmac_f64_e32 v[36:37], v[30:31], v[38:39]
	v_mov_b32_e32 v38, 0xd603a5a0
	v_mov_b32_e32 v39, 0x3f1a8b61
	v_ldexp_f64 v[16:17], v[16:17], v3
	v_fmac_f64_e32 v[38:39], v[30:31], v[36:37]
	v_rsq_f64_e32 v[36:37], v[16:17]
	v_mov_b32_e32 v40, 0xdb0724e8
	v_mov_b32_e32 v41, 0x3eb3a845
	v_fmac_f64_e32 v[40:41], v[30:31], v[38:39]
	v_mul_f64 v[38:39], v[16:17], v[36:37]
	v_mul_f64 v[36:37], v[36:37], 0.5
	v_fma_f64 v[42:43], -v[36:37], v[38:39], 0.5
	v_fmac_f64_e32 v[38:39], v[38:39], v[42:43]
	v_fma_f64 v[44:45], -v[38:39], v[38:39], v[16:17]
	v_fmac_f64_e32 v[36:37], v[36:37], v[42:43]
	v_fmac_f64_e32 v[38:39], v[44:45], v[36:37]
	v_fma_f64 v[42:43], -v[38:39], v[38:39], v[16:17]
	v_mov_b32_e32 v3, 0xffffff80
	v_fmac_f64_e32 v[38:39], v[42:43], v[36:37]
	v_cndmask_b32_e32 v3, 0, v3, vcc
	v_ldexp_f64 v[36:37], v[38:39], v3
	v_mov_b32_e32 v3, 0x260
	v_cmp_class_f64_e32 vcc, v[16:17], v3
	s_mov_b32 s36, 0x50429b6d
	s_mov_b32 s37, 0x3fe20dd7
	v_cndmask_b32_e32 v17, v37, v17, vcc
	v_cndmask_b32_e32 v16, v36, v16, vcc
	v_div_scale_f64 v[36:37], s[38:39], v[16:17], v[16:17], s[36:37]
	v_rcp_f64_e32 v[38:39], v[36:37]
	v_mov_b32_e32 v42, 0x3dd589d4
	v_mov_b32_e32 v43, 0x3e351fc7
	v_fmac_f64_e32 v[42:43], v[30:31], v[40:41]
	v_fma_f64 v[30:31], -v[36:37], v[38:39], 1.0
	v_fmac_f64_e32 v[38:39], v[38:39], v[30:31]
	v_fma_f64 v[30:31], -v[36:37], v[38:39], 1.0
	v_fmac_f64_e32 v[38:39], v[38:39], v[30:31]
	v_div_scale_f64 v[30:31], vcc, s[36:37], v[16:17], s[36:37]
	v_mul_f64 v[40:41], v[30:31], v[38:39]
	v_fma_f64 v[30:31], -v[36:37], v[40:41], v[30:31]
	v_and_b32_e32 v7, 1, v1
	s_nop 0
	v_div_fmas_f64 v[30:31], v[30:31], v[38:39], v[40:41]
	v_div_fixup_f64 v[16:17], v[30:31], v[16:17], s[36:37]
	v_mul_f64 v[30:31], v[20:21], v[20:21]
	v_mul_f64 v[36:37], v[30:31], 0.5
	v_fmac_f64_e32 v[32:33], s[14:15], v[30:31]
	v_add_f64 v[38:39], -v[36:37], 1.0
	v_fma_f64 v[32:33], v[30:31], v[32:33], s[16:17]
	v_add_f64 v[40:41], -v[38:39], 1.0
	v_fma_f64 v[32:33], v[30:31], v[32:33], s[18:19]
	v_add_f64 v[36:37], v[40:41], -v[36:37]
	v_fma_f64 v[32:33], v[30:31], v[32:33], s[20:21]
	v_fmac_f64_e32 v[34:35], s[24:25], v[30:31]
	v_mul_f64 v[40:41], v[30:31], v[30:31]
	v_fma_f64 v[32:33], v[30:31], v[32:33], s[22:23]
	v_fma_f64 v[36:37], v[20:21], -v[22:23], v[36:37]
	v_fma_f64 v[34:35], v[30:31], v[34:35], s[26:27]
	v_fmac_f64_e32 v[36:37], v[40:41], v[32:33]
	v_fma_f64 v[34:35], v[30:31], v[34:35], s[28:29]
	v_add_f64 v[32:33], v[38:39], v[36:37]
	v_fma_f64 v[34:35], v[30:31], v[34:35], s[30:31]
	v_mul_f64 v[36:37], v[20:21], -v[30:31]
	v_mul_f64 v[38:39], v[22:23], 0.5
	v_fmac_f64_e32 v[38:39], v[36:37], v[34:35]
	v_fma_f64 v[22:23], v[30:31], v[38:39], -v[22:23]
	v_fmac_f64_e32 v[22:23], s[34:35], v[36:37]
	v_add_f64 v[20:21], v[20:21], -v[22:23]
	v_cmp_eq_u32_e32 vcc, 0, v7
	v_xor_b32_e32 v3, 0x80000000, v21
	v_lshlrev_b32_e32 v1, 30, v1
	v_cndmask_b32_e32 v7, v20, v32, vcc
	v_mul_f64 v[20:21], v[24:25], v[28:29]
	v_div_scale_f64 v[22:23], s[14:15], v[42:43], v[42:43], v[20:21]
	v_rcp_f64_e32 v[24:25], v[22:23]
	v_cndmask_b32_e32 v3, v3, v33, vcc
	v_bitop3_b32 v1, v3, v1, s33 bitop3:0x78
	v_cndmask_b32_e64 v28, 0, v7, s[0:1]
	v_fma_f64 v[30:31], -v[22:23], v[24:25], 1.0
	v_fmac_f64_e32 v[24:25], v[24:25], v[30:31]
	v_fma_f64 v[30:31], -v[22:23], v[24:25], 1.0
	v_fmac_f64_e32 v[24:25], v[24:25], v[30:31]
	v_div_scale_f64 v[30:31], vcc, v[20:21], v[42:43], v[20:21]
	v_mul_f64 v[32:33], v[30:31], v[24:25]
	v_fma_f64 v[22:23], -v[22:23], v[32:33], v[30:31]
	v_cndmask_b32_e64 v29, v5, v1, s[0:1]
	s_nop 0
	v_div_fmas_f64 v[22:23], v[22:23], v[24:25], v[32:33]
	v_div_fixup_f64 v[20:21], v[22:23], v[42:43], v[20:21]
	v_add_f64 v[26:27], v[26:27], 1.0
	v_mul_f64 v[20:21], v[20:21], v[28:29]
	v_fma_f64 v[18:19], v[26:27], v[18:19], -v[20:21]
	v_mul_f64 v[16:17], v[16:17], v[18:19]
.LBB7_138:
	s_or_b64 exec, exec, s[12:13]
.LBB7_139:
	s_or_b64 exec, exec, s[10:11]
.LBB7_140:
	s_or_b64 exec, exec, s[8:9]
	global_load_dwordx2 v[12:13], v12, s[6:7]
	s_waitcnt vmcnt(0)
	v_cmp_neq_f64_e64 s[0:1], |v[12:13]|, s[2:3]
	s_and_saveexec_b64 s[2:3], s[0:1]
	s_cbranch_execz .LBB7_162
; %bb.141:
	s_mov_b32 s0, 0x872b020c
	s_mov_b32 s1, 0x4059f916
	v_cmp_nlt_f64_e32 vcc, s[0:1], v[12:13]
	v_mov_b64_e32 v[14:15], 0
	s_and_saveexec_b64 s[6:7], vcc
	s_cbranch_execz .LBB7_161
; %bb.142:
	s_mov_b32 s1, 0xc000b851
	s_mov_b32 s0, 0xeb851eb8
	v_cmp_ngt_f64_e32 vcc, s[0:1], v[12:13]
                                        ; implicit-def: $vgpr14_vgpr15
	s_and_saveexec_b64 s[8:9], vcc
	s_xor_b64 s[8:9], exec, s[8:9]
	s_cbranch_execz .LBB7_150
; %bb.143:
	s_mov_b32 s1, 0x4000b851
	v_cmp_nle_f64_e64 s[10:11], s[0:1], v[12:13]
	v_cmp_le_f64_e32 vcc, s[0:1], v[12:13]
	v_mov_b64_e32 v[14:15], 0
	s_mov_b64 s[0:1], s[10:11]
	s_and_saveexec_b64 s[12:13], vcc
	s_cbranch_execz .LBB7_145
; %bb.144:
	s_mov_b32 s0, 0
	s_brev_b32 s1, 8
	v_mov_b32_e32 v1, 0x100
	v_cmp_gt_f64_e32 vcc, s[0:1], v[12:13]
	v_add_f64 v[20:21], v[12:13], v[12:13]
	s_mov_b32 s14, 0
	v_cndmask_b32_e32 v3, 0, v1, vcc
	v_ldexp_f64 v[14:15], v[12:13], v3
	v_rsq_f64_e32 v[18:19], v[14:15]
	v_mov_b32_e32 v3, 0xffffff80
	v_cndmask_b32_e32 v5, 0, v3, vcc
	s_mov_b32 s15, 0x40080000
	v_mul_f64 v[22:23], v[14:15], v[18:19]
	v_mul_f64 v[18:19], v[18:19], 0.5
	v_fma_f64 v[24:25], -v[18:19], v[22:23], 0.5
	v_fmac_f64_e32 v[22:23], v[22:23], v[24:25]
	v_fma_f64 v[26:27], -v[22:23], v[22:23], v[14:15]
	v_fmac_f64_e32 v[18:19], v[18:19], v[24:25]
	v_fmac_f64_e32 v[22:23], v[26:27], v[18:19]
	v_fma_f64 v[24:25], -v[22:23], v[22:23], v[14:15]
	v_fmac_f64_e32 v[22:23], v[24:25], v[18:19]
	v_ldexp_f64 v[18:19], v[22:23], v5
	v_mov_b32_e32 v5, 0x260
	v_cmp_class_f64_e32 vcc, v[14:15], v5
	s_nop 1
	v_cndmask_b32_e32 v19, v19, v15, vcc
	v_cndmask_b32_e32 v18, v18, v14, vcc
	v_mul_f64 v[14:15], v[20:21], v[18:19]
	v_div_scale_f64 v[20:21], s[16:17], s[14:15], s[14:15], v[14:15]
	v_rcp_f64_e32 v[22:23], v[20:21]
	s_nop 0
	v_fma_f64 v[24:25], -v[20:21], v[22:23], 1.0
	v_fmac_f64_e32 v[22:23], v[22:23], v[24:25]
	v_fma_f64 v[24:25], -v[20:21], v[22:23], 1.0
	v_fmac_f64_e32 v[22:23], v[22:23], v[24:25]
	v_div_scale_f64 v[24:25], vcc, v[14:15], s[14:15], v[14:15]
	v_mul_f64 v[26:27], v[24:25], v[22:23]
	v_fma_f64 v[20:21], -v[20:21], v[26:27], v[24:25]
	s_nop 1
	v_div_fmas_f64 v[20:21], v[20:21], v[22:23], v[26:27]
	v_div_fixup_f64 v[14:15], v[20:21], s[14:15], v[14:15]
	v_div_scale_f64 v[20:21], s[14:15], v[14:15], v[14:15], 1.0
	v_rcp_f64_e32 v[22:23], v[20:21]
	s_nop 0
	v_fma_f64 v[24:25], -v[20:21], v[22:23], 1.0
	v_fmac_f64_e32 v[22:23], v[22:23], v[24:25]
	v_fma_f64 v[24:25], -v[20:21], v[22:23], 1.0
	v_fmac_f64_e32 v[22:23], v[22:23], v[24:25]
	v_div_scale_f64 v[24:25], vcc, 1.0, v[14:15], 1.0
	v_mul_f64 v[26:27], v[24:25], v[22:23]
	v_fma_f64 v[20:21], -v[20:21], v[26:27], v[24:25]
	v_mov_b32_e32 v24, 0x871a9067
	s_nop 0
	v_div_fmas_f64 v[20:21], v[20:21], v[22:23], v[26:27]
	v_div_fixup_f64 v[20:21], v[20:21], v[14:15], 1.0
	v_mov_b32_e32 v22, 0x2537b658
	v_mov_b32_e32 v23, 0x3fd62dae
	v_fmac_f64_e32 v[22:23], 0, v[20:21]
	v_mov_b32_e32 v25, 0x402803e3
	v_fmac_f64_e32 v[24:25], v[20:21], v[22:23]
	v_mov_b32_e32 v22, 0xde2e1e3
	v_mov_b32_e32 v23, 0x405311e5
	v_fmac_f64_e32 v[22:23], v[20:21], v[24:25]
	v_mov_b32_e32 v24, 0xee40073c
	;; [unrolled: 3-line block ×12, first 2 shown]
	v_mov_b32_e32 v25, 0x402c311b
	v_fmac_f64_e32 v[24:25], v[20:21], v[26:27]
	v_fma_f64 v[24:25], v[20:21], v[24:25], 1.0
	v_fma_f64 v[20:21], v[20:21], v[22:23], 1.0
	v_div_scale_f64 v[22:23], s[14:15], v[24:25], v[24:25], v[20:21]
	v_rcp_f64_e32 v[26:27], v[22:23]
	s_nop 0
	v_fma_f64 v[28:29], -v[22:23], v[26:27], 1.0
	v_fmac_f64_e32 v[26:27], v[26:27], v[28:29]
	v_fma_f64 v[28:29], -v[22:23], v[26:27], 1.0
	v_fmac_f64_e32 v[26:27], v[26:27], v[28:29]
	v_div_scale_f64 v[28:29], vcc, v[20:21], v[24:25], v[20:21]
	v_mul_f64 v[30:31], v[28:29], v[26:27]
	v_fma_f64 v[22:23], -v[22:23], v[30:31], v[28:29]
	s_nop 1
	v_div_fmas_f64 v[22:23], v[22:23], v[26:27], v[30:31]
	v_cmp_gt_f64_e32 vcc, s[0:1], v[18:19]
	v_div_fixup_f64 v[20:21], v[22:23], v[24:25], v[20:21]
	s_mov_b32 s0, 0x50429b6d
	v_cndmask_b32_e32 v1, 0, v1, vcc
	v_ldexp_f64 v[22:23], v[18:19], v1
	v_rsq_f64_e32 v[24:25], v[22:23]
	s_mov_b32 s1, 0x3fe20dd7
	v_mul_f64 v[18:19], v[20:21], s[0:1]
	v_cndmask_b32_e32 v1, 0, v3, vcc
	v_mul_f64 v[20:21], v[22:23], v[24:25]
	v_mul_f64 v[24:25], v[24:25], 0.5
	v_fma_f64 v[26:27], -v[24:25], v[20:21], 0.5
	v_fmac_f64_e32 v[20:21], v[20:21], v[26:27]
	v_fma_f64 v[28:29], -v[20:21], v[20:21], v[22:23]
	v_fmac_f64_e32 v[24:25], v[24:25], v[26:27]
	v_fmac_f64_e32 v[20:21], v[28:29], v[24:25]
	v_fma_f64 v[26:27], -v[20:21], v[20:21], v[22:23]
	v_fmac_f64_e32 v[20:21], v[26:27], v[24:25]
	s_mov_b32 s0, 0x652b82fe
	v_ldexp_f64 v[20:21], v[20:21], v1
	v_cmp_class_f64_e32 vcc, v[22:23], v5
	s_mov_b32 s1, 0x3ff71547
	v_mov_b32_e32 v26, 0xfca7ab0c
	v_cndmask_b32_e32 v21, v21, v23, vcc
	v_cndmask_b32_e32 v20, v20, v22, vcc
	v_mul_f64 v[22:23], v[14:15], s[0:1]
	s_mov_b32 s0, 0xfefa39ef
	v_rndne_f64_e32 v[22:23], v[22:23]
	s_mov_b32 s1, 0xbfe62e42
	v_fma_f64 v[24:25], s[0:1], v[22:23], v[14:15]
	s_mov_b32 s0, 0x3b39803f
	s_mov_b32 s1, 0xbc7abc9e
	v_fmac_f64_e32 v[24:25], s[0:1], v[22:23]
	s_mov_b32 s0, 0x6a5dcb37
	v_mov_b32_e32 v27, 0x3e928af3
	s_mov_b32 s1, 0x3e5ade15
	v_fmac_f64_e32 v[26:27], s[0:1], v[24:25]
	v_mov_b32_e32 v28, 0x623fde64
	v_mov_b32_e32 v29, 0x3ec71dee
	v_fmac_f64_e32 v[28:29], v[24:25], v[26:27]
	v_mov_b32_e32 v26, 0x7c89e6b0
	v_mov_b32_e32 v27, 0x3efa0199
	;; [unrolled: 3-line block ×8, first 2 shown]
	s_mov_b32 s0, 0
	v_fmac_f64_e32 v[26:27], v[24:25], v[28:29]
	s_mov_b32 s1, 0x40900000
	v_fma_f64 v[26:27], v[24:25], v[26:27], 1.0
	v_cmp_nlt_f64_e32 vcc, s[0:1], v[14:15]
	s_mov_b32 s0, 0
	v_fma_f64 v[24:25], v[24:25], v[26:27], 1.0
	v_cvt_i32_f64_e32 v1, v[22:23]
	s_mov_b32 s1, 0xc090cc00
	v_ldexp_f64 v[22:23], v[24:25], v1
	v_mov_b32_e32 v1, 0x7ff00000
	v_cmp_ngt_f64_e64 s[0:1], s[0:1], v[14:15]
	v_cndmask_b32_e32 v1, v1, v23, vcc
	s_and_b64 vcc, s[0:1], vcc
	v_add_f64 v[20:21], v[20:21], v[20:21]
	v_cndmask_b32_e64 v15, 0, v1, s[0:1]
	v_cndmask_b32_e32 v14, 0, v22, vcc
	v_mul_f64 v[14:15], v[20:21], v[14:15]
	v_div_scale_f64 v[20:21], s[0:1], v[14:15], v[14:15], v[18:19]
	v_rcp_f64_e32 v[22:23], v[20:21]
	s_mov_b32 s0, 0xfd0a823a
	s_mov_b32 s1, 0x4020a402
	v_fma_f64 v[24:25], -v[20:21], v[22:23], 1.0
	v_fmac_f64_e32 v[22:23], v[22:23], v[24:25]
	v_fma_f64 v[24:25], -v[20:21], v[22:23], 1.0
	v_fmac_f64_e32 v[22:23], v[22:23], v[24:25]
	v_div_scale_f64 v[24:25], vcc, v[18:19], v[14:15], v[18:19]
	v_mul_f64 v[26:27], v[24:25], v[22:23]
	v_fma_f64 v[20:21], -v[20:21], v[26:27], v[24:25]
	s_nop 1
	v_div_fmas_f64 v[20:21], v[20:21], v[22:23], v[26:27]
	v_cmp_nlt_f64_e32 vcc, s[0:1], v[12:13]
	s_andn2_b64 s[0:1], s[10:11], exec
	s_and_b64 s[14:15], vcc, exec
	v_div_fixup_f64 v[14:15], v[20:21], v[14:15], v[18:19]
	s_or_b64 s[0:1], s[0:1], s[14:15]
.LBB7_145:
	s_or_b64 exec, exec, s[12:13]
	s_and_saveexec_b64 s[12:13], s[0:1]
	s_cbranch_execz .LBB7_149
; %bb.146:
	v_mul_f64 v[18:19], v[12:13], v[12:13]
	s_mov_b32 s16, 0
	v_mul_f64 v[20:21], v[12:13], v[18:19]
	v_mov_b64_e32 v[26:27], 1.0
	s_mov_b64 s[14:15], 0
	v_mov_b64_e32 v[24:25], 1.0
	s_mov_b32 s17, 0x3cb00000
	v_mov_b64_e32 v[22:23], v[12:13]
	v_mov_b64_e32 v[18:19], 1.0
.LBB7_147:                              ; =>This Inner Loop Header: Depth=1
	v_mul_f64 v[26:27], v[20:21], v[26:27]
	v_add_f64 v[28:29], v[24:25], 1.0
	v_mul_f64 v[12:13], v[20:21], v[12:13]
	v_div_scale_f64 v[30:31], s[0:1], v[28:29], v[28:29], v[26:27]
	v_add_f64 v[34:35], v[28:29], 1.0
	v_rcp_f64_e32 v[36:37], v[30:31]
	v_div_scale_f64 v[38:39], s[0:1], v[34:35], v[34:35], v[12:13]
	v_rcp_f64_e32 v[42:43], v[38:39]
	v_fma_f64 v[44:45], -v[30:31], v[36:37], 1.0
	v_fmac_f64_e32 v[36:37], v[36:37], v[44:45]
	v_fma_f64 v[46:47], -v[30:31], v[36:37], 1.0
	v_fma_f64 v[44:45], -v[38:39], v[42:43], 1.0
	v_fmac_f64_e32 v[42:43], v[42:43], v[44:45]
	v_div_scale_f64 v[32:33], vcc, v[26:27], v[28:29], v[26:27]
	v_fmac_f64_e32 v[36:37], v[36:37], v[46:47]
	v_fma_f64 v[44:45], -v[38:39], v[42:43], 1.0
	v_div_scale_f64 v[40:41], s[0:1], v[12:13], v[34:35], v[12:13]
	v_mul_f64 v[46:47], v[32:33], v[36:37]
	v_fmac_f64_e32 v[42:43], v[42:43], v[44:45]
	v_fma_f64 v[30:31], -v[30:31], v[46:47], v[32:33]
	v_mul_f64 v[32:33], v[40:41], v[42:43]
	v_div_fmas_f64 v[30:31], v[30:31], v[36:37], v[46:47]
	v_fma_f64 v[36:37], -v[38:39], v[32:33], v[40:41]
	s_mov_b64 vcc, s[0:1]
	v_div_fixup_f64 v[26:27], v[30:31], v[28:29], v[26:27]
	v_div_fmas_f64 v[28:29], v[36:37], v[42:43], v[32:33]
	v_div_fixup_f64 v[12:13], v[28:29], v[34:35], v[12:13]
	v_div_scale_f64 v[28:29], s[0:1], v[34:35], v[34:35], v[26:27]
	v_add_f64 v[24:25], v[34:35], 1.0
	v_rcp_f64_e32 v[32:33], v[28:29]
	v_div_scale_f64 v[36:37], s[0:1], v[24:25], v[24:25], v[12:13]
	v_rcp_f64_e32 v[40:41], v[36:37]
	v_fma_f64 v[42:43], -v[28:29], v[32:33], 1.0
	v_fmac_f64_e32 v[32:33], v[32:33], v[42:43]
	v_fma_f64 v[44:45], -v[28:29], v[32:33], 1.0
	v_fma_f64 v[42:43], -v[36:37], v[40:41], 1.0
	v_div_scale_f64 v[30:31], vcc, v[26:27], v[34:35], v[26:27]
	v_fmac_f64_e32 v[40:41], v[40:41], v[42:43]
	v_fmac_f64_e32 v[32:33], v[32:33], v[44:45]
	v_fma_f64 v[42:43], -v[36:37], v[40:41], 1.0
	v_mul_f64 v[44:45], v[30:31], v[32:33]
	v_div_scale_f64 v[38:39], s[0:1], v[12:13], v[24:25], v[12:13]
	v_fmac_f64_e32 v[40:41], v[40:41], v[42:43]
	v_fma_f64 v[28:29], -v[28:29], v[44:45], v[30:31]
	v_mul_f64 v[30:31], v[38:39], v[40:41]
	v_div_fmas_f64 v[28:29], v[28:29], v[32:33], v[44:45]
	v_fma_f64 v[32:33], -v[36:37], v[30:31], v[38:39]
	v_div_fixup_f64 v[26:27], v[28:29], v[34:35], v[26:27]
	s_mov_b64 vcc, s[0:1]
	v_div_fmas_f64 v[28:29], v[32:33], v[40:41], v[30:31]
	v_add_f64 v[18:19], v[18:19], v[26:27]
	v_div_fixup_f64 v[12:13], v[28:29], v[24:25], v[12:13]
	v_div_scale_f64 v[28:29], s[0:1], v[18:19], v[18:19], v[26:27]
	v_rcp_f64_e32 v[30:31], v[28:29]
	v_div_scale_f64 v[32:33], vcc, v[26:27], v[18:19], v[26:27]
	v_add_f64 v[22:23], v[22:23], v[12:13]
	v_fma_f64 v[34:35], -v[28:29], v[30:31], 1.0
	v_fmac_f64_e32 v[30:31], v[30:31], v[34:35]
	v_fma_f64 v[34:35], -v[28:29], v[30:31], 1.0
	v_fmac_f64_e32 v[30:31], v[30:31], v[34:35]
	v_mul_f64 v[34:35], v[32:33], v[30:31]
	v_fma_f64 v[28:29], -v[28:29], v[34:35], v[32:33]
	v_div_fmas_f64 v[28:29], v[28:29], v[30:31], v[34:35]
	v_div_fixup_f64 v[28:29], v[28:29], v[18:19], v[26:27]
	v_cmp_ngt_f64_e64 s[0:1], |v[28:29]|, s[16:17]
	s_or_b64 s[14:15], s[0:1], s[14:15]
	s_andn2_b64 exec, exec, s[14:15]
	s_cbranch_execnz .LBB7_147
; %bb.148:
	s_or_b64 exec, exec, s[14:15]
	s_mov_b32 s0, 0x42b70f8b
	s_mov_b32 s1, 0xbfd0907f
	v_mul_f64 v[12:13], v[22:23], s[0:1]
	s_mov_b32 s0, 0x962715b8
	s_mov_b32 s1, 0x3fd6b8c7
	v_fmac_f64_e32 v[12:13], s[0:1], v[18:19]
	v_cndmask_b32_e64 v15, v15, v13, s[10:11]
	v_cndmask_b32_e64 v14, v14, v12, s[10:11]
.LBB7_149:
	s_or_b64 exec, exec, s[12:13]
                                        ; implicit-def: $vgpr12_vgpr13
.LBB7_150:
	s_andn2_saveexec_b64 s[8:9], s[8:9]
	s_cbranch_execz .LBB7_160
; %bb.151:
	s_mov_b32 s0, 0
	s_brev_b32 s1, 9
	v_mov_b32_e32 v1, 0x100
	v_cmp_lt_f64_e32 vcc, s[0:1], v[12:13]
	v_mul_f64 v[20:21], v[12:13], -2.0
	s_mov_b32 s10, 0
	v_cndmask_b32_e32 v1, 0, v1, vcc
	v_ldexp_f64 v[14:15], -v[12:13], v1
	v_rsq_f64_e32 v[18:19], v[14:15]
	v_mov_b32_e32 v1, 0xffffff80
	v_cndmask_b32_e32 v1, 0, v1, vcc
	s_mov_b32 s11, 0x40080000
	v_mul_f64 v[12:13], v[14:15], v[18:19]
	v_mul_f64 v[18:19], v[18:19], 0.5
	v_fma_f64 v[22:23], -v[18:19], v[12:13], 0.5
	v_fmac_f64_e32 v[12:13], v[12:13], v[22:23]
	v_fma_f64 v[24:25], -v[12:13], v[12:13], v[14:15]
	v_fmac_f64_e32 v[18:19], v[18:19], v[22:23]
	v_fmac_f64_e32 v[12:13], v[24:25], v[18:19]
	v_fma_f64 v[22:23], -v[12:13], v[12:13], v[14:15]
	v_fmac_f64_e32 v[12:13], v[22:23], v[18:19]
	v_ldexp_f64 v[12:13], v[12:13], v1
	v_mov_b32_e32 v1, 0x260
	v_cmp_class_f64_e32 vcc, v[14:15], v1
	s_mov_b32 s13, 0x3fe921fb
	s_mov_b32 s12, 0x54442d18
	v_cndmask_b32_e32 v13, v13, v15, vcc
	v_cndmask_b32_e32 v12, v12, v14, vcc
	v_mul_f64 v[14:15], v[20:21], v[12:13]
	v_div_scale_f64 v[18:19], s[0:1], s[10:11], s[10:11], v[14:15]
	v_rcp_f64_e32 v[20:21], v[18:19]
	s_movk_i32 s0, 0xff80
                                        ; implicit-def: $vgpr3
                                        ; implicit-def: $vgpr26_vgpr27
	v_fma_f64 v[22:23], -v[18:19], v[20:21], 1.0
	v_fmac_f64_e32 v[20:21], v[20:21], v[22:23]
	v_fma_f64 v[22:23], -v[18:19], v[20:21], 1.0
	v_fmac_f64_e32 v[20:21], v[20:21], v[22:23]
	v_div_scale_f64 v[22:23], vcc, v[14:15], s[10:11], v[14:15]
	v_mul_f64 v[24:25], v[22:23], v[20:21]
	v_fma_f64 v[18:19], -v[18:19], v[24:25], v[22:23]
	s_nop 1
	v_div_fmas_f64 v[18:19], v[18:19], v[20:21], v[24:25]
	v_div_fixup_f64 v[22:23], v[18:19], s[10:11], v[14:15]
	s_mov_b32 s10, 0
	v_add_f64 v[14:15], v[22:23], s[12:13]
	s_mov_b32 s11, 0x41d00000
	v_cmp_nlt_f64_e64 s[10:11], |v[14:15]|, s[10:11]
                                        ; implicit-def: $vgpr24_vgpr25
	s_and_saveexec_b64 s[14:15], s[10:11]
	s_xor_b64 s[14:15], exec, s[14:15]
	s_cbranch_execz .LBB7_153
; %bb.152:
	s_mov_b32 s16, 0
	s_mov_b32 s17, 0x7b000000
	v_and_b32_e32 v1, 0x7fffffff, v15
	v_ldexp_f64 v[24:25], |v[14:15]|, s0
	v_cmp_ge_f64_e64 vcc, |v[14:15]|, s[16:17]
	v_trig_preop_f64 v[18:19], |v[14:15]|, 0
	v_trig_preop_f64 v[20:21], |v[14:15]|, 1
	v_cndmask_b32_e32 v25, v1, v25, vcc
	v_cndmask_b32_e32 v24, v14, v24, vcc
	v_mul_f64 v[28:29], v[18:19], v[24:25]
	v_mul_f64 v[26:27], v[20:21], v[24:25]
	v_fma_f64 v[18:19], v[18:19], v[24:25], -v[28:29]
	v_add_f64 v[30:31], v[26:27], v[18:19]
	v_add_f64 v[38:39], v[30:31], -v[26:27]
	v_add_f64 v[18:19], v[18:19], -v[38:39]
	;; [unrolled: 1-line block ×4, first 2 shown]
	v_fma_f64 v[20:21], v[20:21], v[24:25], -v[26:27]
	v_trig_preop_f64 v[26:27], |v[14:15]|, 2
	v_add_f64 v[18:19], v[18:19], v[38:39]
	v_mul_f64 v[38:39], v[26:27], v[24:25]
	v_add_f64 v[40:41], v[38:39], v[20:21]
	v_add_f64 v[32:33], v[28:29], v[30:31]
	;; [unrolled: 1-line block ×3, first 2 shown]
	v_ldexp_f64 v[34:35], v[32:33], -2
	v_add_f64 v[28:29], v[32:33], -v[28:29]
	v_add_f64 v[32:33], v[42:43], -v[40:41]
	;; [unrolled: 1-line block ×5, first 2 shown]
	v_add_f64 v[18:19], v[18:19], v[32:33]
	v_add_f64 v[32:33], v[40:41], -v[38:39]
	v_add_f64 v[20:21], v[20:21], -v[32:33]
	;; [unrolled: 1-line block ×4, first 2 shown]
	v_add_f64 v[20:21], v[20:21], v[32:33]
	s_mov_b32 s0, 0
	v_fract_f64_e32 v[36:37], v[34:35]
	v_add_f64 v[18:19], v[20:21], v[18:19]
	v_fma_f64 v[20:21], v[26:27], v[24:25], -v[38:39]
	s_mov_b32 s1, 0x7ff00000
	v_add_f64 v[28:29], v[30:31], -v[28:29]
	v_add_f64 v[18:19], v[20:21], v[18:19]
	v_ldexp_f64 v[20:21], v[36:37], 2
	v_cmp_neq_f64_e64 vcc, |v[34:35]|, s[0:1]
	v_add_f64 v[30:31], v[28:29], v[42:43]
	v_mov_b32_e32 v1, 0x40100000
	v_cndmask_b32_e32 v21, 0, v21, vcc
	v_cndmask_b32_e32 v20, 0, v20, vcc
	v_add_f64 v[24:25], v[30:31], v[20:21]
	v_cmp_gt_f64_e32 vcc, 0, v[24:25]
	v_mov_b32_e32 v24, 0
	v_add_f64 v[28:29], v[30:31], -v[28:29]
	v_cndmask_b32_e32 v25, 0, v1, vcc
	v_add_f64 v[20:21], v[20:21], v[24:25]
	v_add_f64 v[26:27], v[30:31], v[20:21]
	v_cvt_i32_f64_e32 v1, v[26:27]
	v_cvt_f64_i32_e32 v[26:27], v1
	v_add_f64 v[20:21], v[20:21], -v[26:27]
	v_add_f64 v[26:27], v[30:31], v[20:21]
	v_cmp_le_f64_e32 vcc, 0.5, v[26:27]
	v_add_f64 v[28:29], v[42:43], -v[28:29]
	v_add_f64 v[20:21], v[26:27], -v[20:21]
	v_addc_co_u32_e64 v3, s[0:1], 0, v1, vcc
	v_mov_b32_e32 v1, 0x3ff00000
	v_add_f64 v[18:19], v[28:29], v[18:19]
	v_add_f64 v[20:21], v[30:31], -v[20:21]
	v_cndmask_b32_e32 v25, 0, v1, vcc
	v_add_f64 v[18:19], v[18:19], v[20:21]
	v_add_f64 v[20:21], v[26:27], -v[24:25]
	v_add_f64 v[24:25], v[20:21], v[18:19]
	v_add_f64 v[20:21], v[24:25], -v[20:21]
	s_mov_b32 s13, 0x3ff921fb
	v_add_f64 v[18:19], v[18:19], -v[20:21]
	v_mul_f64 v[20:21], v[24:25], s[12:13]
	s_mov_b32 s0, 0x33145c07
	v_fma_f64 v[26:27], v[24:25], s[12:13], -v[20:21]
	s_mov_b32 s1, 0x3c91a626
	v_fmac_f64_e32 v[26:27], s[0:1], v[24:25]
	v_fmac_f64_e32 v[26:27], s[12:13], v[18:19]
	v_add_f64 v[24:25], v[20:21], v[26:27]
	v_add_f64 v[18:19], v[24:25], -v[20:21]
	v_add_f64 v[26:27], v[26:27], -v[18:19]
	s_andn2_saveexec_b64 s[0:1], s[14:15]
	s_cbranch_execz .LBB7_155
	s_branch .LBB7_154
.LBB7_153:
	s_andn2_saveexec_b64 s[0:1], s[14:15]
	s_cbranch_execz .LBB7_155
.LBB7_154:
	s_mov_b32 s12, 0x6dc9c883
	s_mov_b32 s13, 0x3fe45f30
	v_mul_f64 v[18:19], |v[14:15]|, s[12:13]
	s_mov_b32 s12, 0x54442d18
	v_rndne_f64_e32 v[18:19], v[18:19]
	s_mov_b32 s13, 0xbff921fb
	v_fma_f64 v[20:21], v[18:19], s[12:13], |v[14:15]|
	s_mov_b32 s13, 0xbc91a626
	s_mov_b32 s12, 0x33145c00
	v_mul_f64 v[24:25], v[18:19], s[12:13]
	v_add_f64 v[30:31], v[20:21], v[24:25]
	v_fma_f64 v[26:27], s[12:13], v[18:19], v[20:21]
	s_mov_b32 s13, 0x3c91a626
	v_add_f64 v[20:21], v[20:21], -v[30:31]
	v_fma_f64 v[28:29], s[12:13], v[18:19], v[24:25]
	v_add_f64 v[20:21], v[20:21], v[24:25]
	v_add_f64 v[24:25], v[30:31], -v[26:27]
	v_add_f64 v[20:21], v[24:25], v[20:21]
	s_mov_b32 s12, 0x252049c0
	v_add_f64 v[20:21], v[20:21], -v[28:29]
	s_mov_b32 s13, 0xb97b839a
	v_fmac_f64_e32 v[20:21], s[12:13], v[18:19]
	v_add_f64 v[24:25], v[26:27], v[20:21]
	v_add_f64 v[26:27], v[24:25], -v[26:27]
	v_add_f64 v[26:27], v[20:21], -v[26:27]
	v_cvt_i32_f64_e32 v3, v[18:19]
.LBB7_155:
	s_or_b64 exec, exec, s[0:1]
                                        ; implicit-def: $vgpr1
                                        ; implicit-def: $vgpr18_vgpr19
                                        ; implicit-def: $vgpr20_vgpr21
	s_and_saveexec_b64 s[0:1], s[10:11]
	s_xor_b64 s[10:11], exec, s[0:1]
	s_cbranch_execz .LBB7_157
; %bb.156:
	s_mov_b32 s0, 0
	s_mov_b32 s1, 0x7b000000
	s_movk_i32 s12, 0xff80
	v_and_b32_e32 v1, 0x7fffffff, v15
	v_ldexp_f64 v[28:29], |v[14:15]|, s12
	v_cmp_ge_f64_e64 vcc, |v[14:15]|, s[0:1]
	v_trig_preop_f64 v[18:19], |v[14:15]|, 0
	v_trig_preop_f64 v[20:21], |v[14:15]|, 1
	v_cndmask_b32_e32 v29, v1, v29, vcc
	v_cndmask_b32_e32 v28, v14, v28, vcc
	v_mul_f64 v[32:33], v[18:19], v[28:29]
	v_mul_f64 v[30:31], v[20:21], v[28:29]
	v_fma_f64 v[18:19], v[18:19], v[28:29], -v[32:33]
	v_add_f64 v[34:35], v[30:31], v[18:19]
	v_add_f64 v[42:43], v[34:35], -v[30:31]
	v_add_f64 v[18:19], v[18:19], -v[42:43]
	;; [unrolled: 1-line block ×4, first 2 shown]
	v_fma_f64 v[20:21], v[20:21], v[28:29], -v[30:31]
	v_trig_preop_f64 v[30:31], |v[14:15]|, 2
	v_add_f64 v[18:19], v[18:19], v[42:43]
	v_mul_f64 v[42:43], v[30:31], v[28:29]
	v_add_f64 v[44:45], v[42:43], v[20:21]
	v_add_f64 v[36:37], v[32:33], v[34:35]
	;; [unrolled: 1-line block ×3, first 2 shown]
	v_ldexp_f64 v[38:39], v[36:37], -2
	v_add_f64 v[32:33], v[36:37], -v[32:33]
	v_add_f64 v[36:37], v[46:47], -v[44:45]
	;; [unrolled: 1-line block ×5, first 2 shown]
	v_add_f64 v[18:19], v[18:19], v[36:37]
	v_add_f64 v[36:37], v[44:45], -v[42:43]
	v_add_f64 v[20:21], v[20:21], -v[36:37]
	;; [unrolled: 1-line block ×4, first 2 shown]
	v_add_f64 v[20:21], v[20:21], v[36:37]
	s_mov_b32 s0, 0
	v_fract_f64_e32 v[40:41], v[38:39]
	v_add_f64 v[18:19], v[20:21], v[18:19]
	v_fma_f64 v[20:21], v[30:31], v[28:29], -v[42:43]
	s_mov_b32 s1, 0x7ff00000
	v_add_f64 v[32:33], v[34:35], -v[32:33]
	v_add_f64 v[18:19], v[20:21], v[18:19]
	v_ldexp_f64 v[20:21], v[40:41], 2
	v_cmp_neq_f64_e64 vcc, |v[38:39]|, s[0:1]
	v_add_f64 v[34:35], v[32:33], v[46:47]
	v_mov_b32_e32 v1, 0x40100000
	v_cndmask_b32_e32 v21, 0, v21, vcc
	v_cndmask_b32_e32 v20, 0, v20, vcc
	v_add_f64 v[28:29], v[34:35], v[20:21]
	v_cmp_gt_f64_e32 vcc, 0, v[28:29]
	v_mov_b32_e32 v28, 0
	v_add_f64 v[32:33], v[34:35], -v[32:33]
	v_cndmask_b32_e32 v29, 0, v1, vcc
	v_add_f64 v[20:21], v[20:21], v[28:29]
	v_add_f64 v[30:31], v[34:35], v[20:21]
	v_cvt_i32_f64_e32 v1, v[30:31]
	v_cvt_f64_i32_e32 v[30:31], v1
	v_add_f64 v[20:21], v[20:21], -v[30:31]
	v_add_f64 v[30:31], v[34:35], v[20:21]
	v_add_f64 v[32:33], v[46:47], -v[32:33]
	v_add_f64 v[20:21], v[30:31], -v[20:21]
	v_cmp_le_f64_e32 vcc, 0.5, v[30:31]
	v_mov_b32_e32 v5, 0x3ff00000
	v_add_f64 v[18:19], v[32:33], v[18:19]
	v_add_f64 v[20:21], v[34:35], -v[20:21]
	v_cndmask_b32_e32 v29, 0, v5, vcc
	v_add_f64 v[18:19], v[18:19], v[20:21]
	v_addc_co_u32_e64 v1, s[0:1], 0, v1, vcc
	v_add_f64 v[20:21], v[30:31], -v[28:29]
	v_add_f64 v[28:29], v[20:21], v[18:19]
	s_mov_b32 s0, 0x54442d18
	v_add_f64 v[20:21], v[28:29], -v[20:21]
	s_mov_b32 s1, 0x3ff921fb
	v_add_f64 v[18:19], v[18:19], -v[20:21]
	v_mul_f64 v[20:21], v[28:29], s[0:1]
	s_mov_b32 s12, 0x33145c07
	v_fma_f64 v[30:31], v[28:29], s[0:1], -v[20:21]
	s_mov_b32 s13, 0x3c91a626
	v_fmac_f64_e32 v[30:31], s[12:13], v[28:29]
	v_fmac_f64_e32 v[30:31], s[0:1], v[18:19]
	v_add_f64 v[18:19], v[20:21], v[30:31]
	v_add_f64 v[20:21], v[18:19], -v[20:21]
	v_add_f64 v[20:21], v[30:31], -v[20:21]
	s_andn2_saveexec_b64 s[0:1], s[10:11]
	s_cbranch_execnz .LBB7_158
	s_branch .LBB7_159
.LBB7_157:
	s_andn2_saveexec_b64 s[0:1], s[10:11]
	s_cbranch_execz .LBB7_159
.LBB7_158:
	s_mov_b32 s10, 0x6dc9c883
	s_mov_b32 s11, 0x3fe45f30
	v_mul_f64 v[18:19], |v[14:15]|, s[10:11]
	s_mov_b32 s10, 0x54442d18
	v_rndne_f64_e32 v[28:29], v[18:19]
	s_mov_b32 s11, 0xbff921fb
	v_fma_f64 v[18:19], v[28:29], s[10:11], |v[14:15]|
	s_mov_b32 s11, 0xbc91a626
	s_mov_b32 s10, 0x33145c00
	v_mul_f64 v[30:31], v[28:29], s[10:11]
	v_add_f64 v[34:35], v[18:19], v[30:31]
	v_fma_f64 v[20:21], s[10:11], v[28:29], v[18:19]
	s_mov_b32 s11, 0x3c91a626
	v_add_f64 v[18:19], v[18:19], -v[34:35]
	v_fma_f64 v[32:33], s[10:11], v[28:29], v[30:31]
	v_add_f64 v[18:19], v[18:19], v[30:31]
	v_add_f64 v[30:31], v[34:35], -v[20:21]
	v_add_f64 v[18:19], v[30:31], v[18:19]
	s_mov_b32 s10, 0x252049c0
	v_add_f64 v[30:31], v[18:19], -v[32:33]
	s_mov_b32 s11, 0xb97b839a
	v_fmac_f64_e32 v[30:31], s[10:11], v[28:29]
	v_add_f64 v[18:19], v[20:21], v[30:31]
	v_add_f64 v[20:21], v[18:19], -v[20:21]
	v_add_f64 v[20:21], v[30:31], -v[20:21]
	v_cvt_i32_f64_e32 v1, v[28:29]
.LBB7_159:
	s_or_b64 exec, exec, s[0:1]
	v_div_scale_f64 v[28:29], s[0:1], v[22:23], v[22:23], 1.0
	v_rcp_f64_e32 v[30:31], v[28:29]
	v_div_scale_f64 v[32:33], vcc, 1.0, v[22:23], 1.0
	v_mov_b32_e32 v36, 0xaf76e73b
	v_fma_f64 v[34:35], -v[28:29], v[30:31], 1.0
	v_fmac_f64_e32 v[30:31], v[30:31], v[34:35]
	v_fma_f64 v[34:35], -v[28:29], v[30:31], 1.0
	v_fmac_f64_e32 v[30:31], v[30:31], v[34:35]
	v_mul_f64 v[34:35], v[32:33], v[30:31]
	v_fma_f64 v[28:29], -v[28:29], v[34:35], v[32:33]
	v_div_fmas_f64 v[28:29], v[28:29], v[30:31], v[34:35]
	v_div_fixup_f64 v[22:23], v[28:29], v[22:23], 1.0
	v_mul_f64 v[28:29], v[22:23], v[22:23]
	v_mov_b32_e32 v30, 0xd50ae6fb
	v_mov_b32_e32 v31, 0xbfc0db6c
	v_fmac_f64_e32 v[30:31], 0, v[28:29]
	v_mov_b32_e32 v32, 0x98566852
	v_mov_b32_e32 v33, 0xbfe40bee
	v_fmac_f64_e32 v[32:33], v[28:29], v[30:31]
	;; [unrolled: 3-line block ×15, first 2 shown]
	v_mov_b32_e32 v37, 0x3f13c8d7
	v_fmac_f64_e32 v[36:37], v[28:29], v[30:31]
	v_mov_b32_e32 v34, 0xb99518a7
	v_mov_b32_e32 v35, 0x3e9e52b9
	v_mul_f64 v[38:39], v[24:25], v[24:25]
	v_fmac_f64_e32 v[34:35], v[28:29], v[36:37]
	v_mov_b32_e32 v36, 0xf68ea2d2
	v_mov_b32_e32 v37, 0xbe52041c
	v_mul_f64 v[30:31], v[38:39], 0.5
	v_fmac_f64_e32 v[36:37], v[28:29], v[32:33]
	v_add_f64 v[32:33], -v[30:31], 1.0
	s_mov_b32 s0, 0x9037ab78
	v_add_f64 v[40:41], -v[32:33], 1.0
	s_mov_b32 s1, 0x3e21eeb6
	s_mov_b32 s10, 0x46cc5e42
	v_add_f64 v[40:41], v[40:41], -v[30:31]
	s_mov_b32 s11, 0xbda907db
	v_mov_b64_e32 v[30:31], s[0:1]
	s_mov_b32 s12, 0xa17f65f6
	v_fma_f64 v[44:45], s[10:11], v[38:39], v[30:31]
	s_mov_b32 s13, 0xbe927e4f
	s_mov_b32 s14, 0x19f4ec90
	v_fma_f64 v[44:45], v[38:39], v[44:45], s[12:13]
	s_mov_b32 s15, 0x3efa01a0
	;; [unrolled: 3-line block ×4, first 2 shown]
	v_mul_f64 v[42:43], v[38:39], v[38:39]
	v_fma_f64 v[44:45], v[38:39], v[44:45], s[18:19]
	v_fma_f64 v[40:41], v[24:25], -v[26:27], v[40:41]
	s_mov_b32 s0, 0xb42fdfa7
	v_fmac_f64_e32 v[40:41], v[42:43], v[44:45]
	s_mov_b32 s1, 0xbe5ae600
	s_mov_b32 s20, 0xf9a43bb8
	v_add_f64 v[40:41], v[32:33], v[40:41]
	s_mov_b32 s21, 0x3de5e0b2
	v_mov_b64_e32 v[32:33], s[0:1]
	s_mov_b32 s22, 0x796cde01
	v_fma_f64 v[42:43], s[20:21], v[38:39], v[32:33]
	s_mov_b32 s23, 0x3ec71de3
	s_mov_b32 s24, 0x19e83e5c
	v_fma_f64 v[42:43], v[38:39], v[42:43], s[22:23]
	s_mov_b32 s25, 0xbf2a01a0
	;; [unrolled: 3-line block ×3, first 2 shown]
	v_fma_f64 v[42:43], v[38:39], v[42:43], s[26:27]
	v_mul_f64 v[44:45], v[24:25], -v[38:39]
	v_mul_f64 v[46:47], v[26:27], 0.5
	v_fmac_f64_e32 v[46:47], v[44:45], v[42:43]
	v_fma_f64 v[26:27], v[38:39], v[46:47], -v[26:27]
	s_mov_b32 s29, 0xbfc55555
	s_mov_b32 s28, s18
	v_fmac_f64_e32 v[26:27], s[28:29], v[44:45]
	v_and_b32_e32 v5, 1, v3
	v_add_f64 v[24:25], v[24:25], -v[26:27]
	v_cmp_eq_u32_e32 vcc, 0, v5
	v_lshlrev_b32_e32 v3, 30, v3
	s_movk_i32 s31, 0x1f8
	v_cndmask_b32_e32 v5, v40, v24, vcc
	v_cndmask_b32_e32 v7, v41, v25, vcc
	v_mul_f64 v[24:25], v[28:29], v[36:37]
	v_div_scale_f64 v[26:27], s[0:1], v[34:35], v[34:35], v[24:25]
	v_rcp_f64_e32 v[36:37], v[26:27]
	v_xor_b32_e32 v3, v3, v15
	s_brev_b32 s30, 1
	v_cmp_class_f64_e64 s[0:1], v[14:15], s31
	v_fma_f64 v[38:39], -v[26:27], v[36:37], 1.0
	v_fmac_f64_e32 v[36:37], v[36:37], v[38:39]
	v_fma_f64 v[38:39], -v[26:27], v[36:37], 1.0
	v_fmac_f64_e32 v[36:37], v[36:37], v[38:39]
	v_div_scale_f64 v[38:39], vcc, v[24:25], v[34:35], v[24:25]
	v_mul_f64 v[40:41], v[38:39], v[36:37]
	v_fma_f64 v[26:27], -v[26:27], v[40:41], v[38:39]
	s_mov_b32 s34, 0
	s_nop 0
	v_div_fmas_f64 v[26:27], v[26:27], v[36:37], v[40:41]
	v_div_fixup_f64 v[24:25], v[26:27], v[34:35], v[24:25]
	v_mov_b32_e32 v26, 0xddcfbbde
	v_mov_b32_e32 v27, 0x3f943525
	v_fmac_f64_e32 v[26:27], 0, v[28:29]
	v_mov_b32_e32 v34, 0x6437b7
	v_mov_b32_e32 v35, 0x3fd907d5
	v_fmac_f64_e32 v[34:35], v[28:29], v[26:27]
	;; [unrolled: 3-line block ×14, first 2 shown]
	v_mov_b32_e32 v36, 0x2b79dbce
	v_mov_b32_e32 v37, 0x4015e84e
	v_bitop3_b32 v3, v7, v3, s30 bitop3:0x78
	v_cndmask_b32_e64 v14, 0, v5, s[0:1]
	v_mov_b32_e32 v5, 0x7ff80000
	v_fmac_f64_e32 v[36:37], v[28:29], v[34:35]
	v_mov_b32_e32 v34, 0xc195ece3
	v_mov_b32_e32 v35, 0x3fee8992
	s_brev_b32 s35, 8
	v_cndmask_b32_e64 v15, v5, v3, s[0:1]
	v_fmac_f64_e32 v[34:35], v[28:29], v[36:37]
	v_mov_b32_e32 v36, 0xed64a9ee
	v_mov_b32_e32 v37, 0x3fb6221d
	v_mov_b32_e32 v3, 0x100
	v_cmp_gt_f64_e32 vcc, s[34:35], v[12:13]
	v_fmac_f64_e32 v[36:37], v[28:29], v[34:35]
	v_mov_b32_e32 v34, 0x6be393bb
	v_mov_b32_e32 v35, 0x3f70e704
	v_cndmask_b32_e32 v3, 0, v3, vcc
	v_fmac_f64_e32 v[34:35], v[28:29], v[36:37]
	v_mov_b32_e32 v36, 0xd603a5a0
	v_mov_b32_e32 v37, 0x3f1a8b61
	v_ldexp_f64 v[12:13], v[12:13], v3
	v_fmac_f64_e32 v[36:37], v[28:29], v[34:35]
	v_rsq_f64_e32 v[34:35], v[12:13]
	v_mov_b32_e32 v38, 0xdb0724e8
	v_mov_b32_e32 v39, 0x3eb3a845
	v_fmac_f64_e32 v[38:39], v[28:29], v[36:37]
	v_mul_f64 v[36:37], v[12:13], v[34:35]
	v_mul_f64 v[34:35], v[34:35], 0.5
	v_fma_f64 v[40:41], -v[34:35], v[36:37], 0.5
	v_fmac_f64_e32 v[36:37], v[36:37], v[40:41]
	v_fma_f64 v[42:43], -v[36:37], v[36:37], v[12:13]
	v_fmac_f64_e32 v[34:35], v[34:35], v[40:41]
	v_fmac_f64_e32 v[36:37], v[42:43], v[34:35]
	v_fma_f64 v[40:41], -v[36:37], v[36:37], v[12:13]
	v_mov_b32_e32 v3, 0xffffff80
	v_fmac_f64_e32 v[36:37], v[40:41], v[34:35]
	v_cndmask_b32_e32 v3, 0, v3, vcc
	v_ldexp_f64 v[34:35], v[36:37], v3
	v_mov_b32_e32 v3, 0x260
	v_cmp_class_f64_e32 vcc, v[12:13], v3
	s_mov_b32 s34, 0x50429b6d
	s_mov_b32 s35, 0x3fe20dd7
	v_cndmask_b32_e32 v13, v35, v13, vcc
	v_cndmask_b32_e32 v12, v34, v12, vcc
	v_div_scale_f64 v[34:35], s[36:37], v[12:13], v[12:13], s[34:35]
	v_rcp_f64_e32 v[36:37], v[34:35]
	v_mov_b32_e32 v40, 0x3dd589d4
	v_mov_b32_e32 v41, 0x3e351fc7
	v_fmac_f64_e32 v[40:41], v[28:29], v[38:39]
	v_fma_f64 v[28:29], -v[34:35], v[36:37], 1.0
	v_fmac_f64_e32 v[36:37], v[36:37], v[28:29]
	v_fma_f64 v[28:29], -v[34:35], v[36:37], 1.0
	v_fmac_f64_e32 v[36:37], v[36:37], v[28:29]
	v_div_scale_f64 v[28:29], vcc, s[34:35], v[12:13], s[34:35]
	v_mul_f64 v[38:39], v[28:29], v[36:37]
	v_fma_f64 v[28:29], -v[34:35], v[38:39], v[28:29]
	v_and_b32_e32 v7, 1, v1
	s_nop 0
	v_div_fmas_f64 v[28:29], v[28:29], v[36:37], v[38:39]
	v_div_fixup_f64 v[12:13], v[28:29], v[12:13], s[34:35]
	v_mul_f64 v[28:29], v[18:19], v[18:19]
	v_mul_f64 v[34:35], v[28:29], 0.5
	v_fmac_f64_e32 v[30:31], s[10:11], v[28:29]
	v_add_f64 v[36:37], -v[34:35], 1.0
	v_fma_f64 v[30:31], v[28:29], v[30:31], s[12:13]
	v_add_f64 v[38:39], -v[36:37], 1.0
	v_fma_f64 v[30:31], v[28:29], v[30:31], s[14:15]
	v_add_f64 v[34:35], v[38:39], -v[34:35]
	v_fma_f64 v[30:31], v[28:29], v[30:31], s[16:17]
	v_fmac_f64_e32 v[32:33], s[20:21], v[28:29]
	v_mul_f64 v[38:39], v[28:29], v[28:29]
	v_fma_f64 v[30:31], v[28:29], v[30:31], s[18:19]
	v_fma_f64 v[34:35], v[18:19], -v[20:21], v[34:35]
	v_fma_f64 v[32:33], v[28:29], v[32:33], s[22:23]
	v_fmac_f64_e32 v[34:35], v[38:39], v[30:31]
	v_fma_f64 v[32:33], v[28:29], v[32:33], s[24:25]
	v_add_f64 v[30:31], v[36:37], v[34:35]
	v_fma_f64 v[32:33], v[28:29], v[32:33], s[26:27]
	v_mul_f64 v[34:35], v[18:19], -v[28:29]
	v_mul_f64 v[36:37], v[20:21], 0.5
	v_fmac_f64_e32 v[36:37], v[34:35], v[32:33]
	v_fma_f64 v[20:21], v[28:29], v[36:37], -v[20:21]
	v_fmac_f64_e32 v[20:21], s[28:29], v[34:35]
	v_add_f64 v[18:19], v[18:19], -v[20:21]
	v_cmp_eq_u32_e32 vcc, 0, v7
	v_xor_b32_e32 v3, 0x80000000, v19
	v_lshlrev_b32_e32 v1, 30, v1
	v_cndmask_b32_e32 v7, v18, v30, vcc
	v_mul_f64 v[18:19], v[22:23], v[26:27]
	v_div_scale_f64 v[20:21], s[10:11], v[40:41], v[40:41], v[18:19]
	v_rcp_f64_e32 v[22:23], v[20:21]
	v_cndmask_b32_e32 v3, v3, v31, vcc
	v_bitop3_b32 v1, v3, v1, s30 bitop3:0x78
	v_cndmask_b32_e64 v26, 0, v7, s[0:1]
	v_fma_f64 v[28:29], -v[20:21], v[22:23], 1.0
	v_fmac_f64_e32 v[22:23], v[22:23], v[28:29]
	v_fma_f64 v[28:29], -v[20:21], v[22:23], 1.0
	v_fmac_f64_e32 v[22:23], v[22:23], v[28:29]
	v_div_scale_f64 v[28:29], vcc, v[18:19], v[40:41], v[18:19]
	v_mul_f64 v[30:31], v[28:29], v[22:23]
	v_fma_f64 v[20:21], -v[20:21], v[30:31], v[28:29]
	v_cndmask_b32_e64 v27, v5, v1, s[0:1]
	s_nop 0
	v_div_fmas_f64 v[20:21], v[20:21], v[22:23], v[30:31]
	v_div_fixup_f64 v[18:19], v[20:21], v[40:41], v[18:19]
	v_add_f64 v[24:25], v[24:25], 1.0
	v_mul_f64 v[18:19], v[18:19], v[26:27]
	v_fma_f64 v[14:15], v[24:25], v[14:15], -v[18:19]
	v_mul_f64 v[14:15], v[12:13], v[14:15]
.LBB7_160:
	s_or_b64 exec, exec, s[8:9]
.LBB7_161:
	s_or_b64 exec, exec, s[6:7]
.LBB7_162:
	s_or_b64 exec, exec, s[2:3]
	global_store_dwordx2 v0, v[10:11], s[4:5]
	global_store_dwordx2 v2, v[8:9], s[4:5]
	;; [unrolled: 1-line block ×4, first 2 shown]
	s_endpgm
.LBB7_163:
	v_mov_b32_e32 v2, 0
	v_mov_b32_e32 v0, 0
	s_branch .LBB7_169
.LBB7_164:
	v_mov_b32_e32 v2, 0
	v_mov_b32_e32 v0, 0
	s_branch .LBB7_189
.LBB7_165:
	v_mov_b32_e32 v0, 0
	s_mov_b32 s54, 0
	v_mov_b32_e32 v1, v0
                                        ; implicit-def: $vgpr2
	v_mov_b32_e32 v4, v24
.LBB7_166:
	s_and_b32 s4, s55, 3
	s_cmp_eq_u32 s4, 0
	s_cbranch_scc1 .LBB7_169
; %bb.167:
	s_lshl_b32 s0, s54, 3
	s_add_u32 s0, s34, s0
	s_addc_u32 s1, s35, 0
	s_add_u32 s0, s0, 0xc4
	s_addc_u32 s1, s1, 0
	s_mul_i32 s2, s54, 12
	s_add_u32 s2, s34, s2
	s_addc_u32 s3, s35, 0
.LBB7_168:                              ; =>This Inner Loop Header: Depth=1
	s_load_dwordx2 s[6:7], s[2:3], 0x4
	s_load_dword s5, s[2:3], 0xc
	s_load_dwordx2 s[8:9], s[0:1], 0x0
	v_mov_b32_e32 v2, v1
	s_add_u32 s2, s2, 12
	s_waitcnt lgkmcnt(0)
	v_mul_hi_u32 v1, s7, v4
	v_add_u32_e32 v1, v4, v1
	v_lshrrev_b32_e32 v1, s5, v1
	s_addc_u32 s3, s3, 0
	v_mul_lo_u32 v3, v1, s6
	s_add_u32 s0, s0, 8
	v_sub_u32_e32 v5, v4, v3
	s_addc_u32 s1, s1, 0
	s_add_i32 s4, s4, -1
	v_mov_b32_e32 v4, v1
	v_mad_u64_u32 v[2:3], s[6:7], v5, s9, v[2:3]
	v_mad_u64_u32 v[0:1], s[6:7], v5, s8, v[0:1]
	s_cmp_lg_u32 s4, 0
	v_mov_b32_e32 v1, v2
	s_cbranch_scc1 .LBB7_168
.LBB7_169:
	s_cbranch_execnz .LBB7_172
.LBB7_170:
	s_waitcnt lgkmcnt(0)
	v_mul_hi_u32 v0, s25, v24
	v_add_u32_e32 v0, v24, v0
	v_lshrrev_b32_e32 v1, s26, v0
	v_mul_lo_u32 v0, v1, s24
	v_sub_u32_e32 v0, v24, v0
	v_mul_lo_u32 v2, v0, s21
	s_andn2_b64 vcc, exec, s[42:43]
	v_mul_lo_u32 v0, v0, s20
	s_cbranch_vccnz .LBB7_172
; %bb.171:
	v_mul_hi_u32 v3, s40, v1
	v_add_u32_e32 v3, v1, v3
	v_lshrrev_b32_e32 v3, s41, v3
	v_mul_lo_u32 v3, v3, s27
	v_sub_u32_e32 v3, v1, v3
	v_mad_u64_u32 v[0:1], s[0:1], v3, s22, v[0:1]
	v_mad_u64_u32 v[2:3], s[0:1], v3, s23, v[2:3]
.LBB7_172:
	s_waitcnt lgkmcnt(0)
	global_load_dwordx2 v[2:3], v2, s[18:19]
	s_mov_b32 s0, 0
	s_mov_b32 s1, 0x7ff00000
	v_mov_b32_e32 v4, 0
	v_mov_b32_e32 v5, 0x7ff80000
	s_waitcnt vmcnt(0)
	v_cmp_neq_f64_e64 s[0:1], |v[2:3]|, s[0:1]
	s_and_saveexec_b64 s[2:3], s[0:1]
	s_cbranch_execz .LBB7_218
; %bb.173:
	s_mov_b32 s0, 0x872b020c
	s_mov_b32 s1, 0x4059f916
	v_cmp_nlt_f64_e32 vcc, s[0:1], v[2:3]
	v_mov_b64_e32 v[4:5], 0
	s_and_saveexec_b64 s[4:5], vcc
	s_cbranch_execz .LBB7_217
; %bb.174:
	s_mov_b32 s1, 0xc000b851
	s_mov_b32 s0, 0xeb851eb8
	v_cmp_ngt_f64_e32 vcc, s[0:1], v[2:3]
                                        ; implicit-def: $vgpr4_vgpr5
	s_and_saveexec_b64 s[6:7], vcc
	s_xor_b64 s[6:7], exec, s[6:7]
	s_cbranch_execz .LBB7_182
; %bb.175:
	s_mov_b32 s1, 0x4000b851
	v_cmp_nle_f64_e64 s[8:9], s[0:1], v[2:3]
	v_cmp_le_f64_e32 vcc, s[0:1], v[2:3]
	v_mov_b64_e32 v[4:5], 0
	s_mov_b64 s[0:1], s[8:9]
	s_and_saveexec_b64 s[10:11], vcc
	s_cbranch_execz .LBB7_177
; %bb.176:
	s_mov_b32 s0, 0
	s_brev_b32 s1, 8
	v_mov_b32_e32 v1, 0x100
	v_cmp_gt_f64_e32 vcc, s[0:1], v[2:3]
	v_mov_b32_e32 v20, 0xffffff80
	v_mov_b32_e32 v21, 0x260
	v_cndmask_b32_e32 v4, 0, v1, vcc
	v_ldexp_f64 v[4:5], v[2:3], v4
	v_rsq_f64_e32 v[6:7], v[4:5]
	v_add_f64 v[8:9], v[2:3], v[2:3]
	s_mov_b32 s12, 0
	s_mov_b32 s13, 0x40080000
	v_mul_f64 v[10:11], v[4:5], v[6:7]
	v_mul_f64 v[6:7], v[6:7], 0.5
	v_fma_f64 v[12:13], -v[6:7], v[10:11], 0.5
	v_fmac_f64_e32 v[10:11], v[10:11], v[12:13]
	v_fma_f64 v[14:15], -v[10:11], v[10:11], v[4:5]
	v_fmac_f64_e32 v[6:7], v[6:7], v[12:13]
	v_fmac_f64_e32 v[10:11], v[14:15], v[6:7]
	v_fma_f64 v[12:13], -v[10:11], v[10:11], v[4:5]
	v_fmac_f64_e32 v[10:11], v[12:13], v[6:7]
	v_cndmask_b32_e32 v6, 0, v20, vcc
	v_ldexp_f64 v[6:7], v[10:11], v6
	v_cmp_class_f64_e32 vcc, v[4:5], v21
	s_nop 1
	v_cndmask_b32_e32 v7, v7, v5, vcc
	v_cndmask_b32_e32 v6, v6, v4, vcc
	v_mul_f64 v[4:5], v[8:9], v[6:7]
	v_div_scale_f64 v[8:9], s[14:15], s[12:13], s[12:13], v[4:5]
	v_rcp_f64_e32 v[10:11], v[8:9]
	s_nop 0
	v_fma_f64 v[12:13], -v[8:9], v[10:11], 1.0
	v_fmac_f64_e32 v[10:11], v[10:11], v[12:13]
	v_fma_f64 v[12:13], -v[8:9], v[10:11], 1.0
	v_fmac_f64_e32 v[10:11], v[10:11], v[12:13]
	v_div_scale_f64 v[12:13], vcc, v[4:5], s[12:13], v[4:5]
	v_mul_f64 v[14:15], v[12:13], v[10:11]
	v_fma_f64 v[8:9], -v[8:9], v[14:15], v[12:13]
	s_nop 1
	v_div_fmas_f64 v[8:9], v[8:9], v[10:11], v[14:15]
	v_div_fixup_f64 v[4:5], v[8:9], s[12:13], v[4:5]
	v_div_scale_f64 v[8:9], s[12:13], v[4:5], v[4:5], 1.0
	v_rcp_f64_e32 v[10:11], v[8:9]
	s_nop 0
	v_fma_f64 v[12:13], -v[8:9], v[10:11], 1.0
	v_fmac_f64_e32 v[10:11], v[10:11], v[12:13]
	v_fma_f64 v[12:13], -v[8:9], v[10:11], 1.0
	v_fmac_f64_e32 v[10:11], v[10:11], v[12:13]
	v_div_scale_f64 v[12:13], vcc, 1.0, v[4:5], 1.0
	v_mul_f64 v[14:15], v[12:13], v[10:11]
	v_fma_f64 v[8:9], -v[8:9], v[14:15], v[12:13]
	v_mov_b32_e32 v12, 0x871a9067
	s_nop 0
	v_div_fmas_f64 v[8:9], v[8:9], v[10:11], v[14:15]
	v_div_fixup_f64 v[8:9], v[8:9], v[4:5], 1.0
	v_mov_b32_e32 v10, 0x2537b658
	v_mov_b32_e32 v11, 0x3fd62dae
	v_fmac_f64_e32 v[10:11], 0, v[8:9]
	v_mov_b32_e32 v13, 0x402803e3
	v_fmac_f64_e32 v[12:13], v[8:9], v[10:11]
	v_mov_b32_e32 v10, 0xde2e1e3
	v_mov_b32_e32 v11, 0x405311e5
	v_fmac_f64_e32 v[10:11], v[8:9], v[12:13]
	v_mov_b32_e32 v12, 0xee40073c
	;; [unrolled: 3-line block ×12, first 2 shown]
	v_mov_b32_e32 v13, 0x402c311b
	v_fmac_f64_e32 v[12:13], v[8:9], v[14:15]
	v_fma_f64 v[12:13], v[8:9], v[12:13], 1.0
	v_fma_f64 v[8:9], v[8:9], v[10:11], 1.0
	v_div_scale_f64 v[10:11], s[12:13], v[12:13], v[12:13], v[8:9]
	v_rcp_f64_e32 v[14:15], v[10:11]
	s_nop 0
	v_fma_f64 v[16:17], -v[10:11], v[14:15], 1.0
	v_fmac_f64_e32 v[14:15], v[14:15], v[16:17]
	v_fma_f64 v[16:17], -v[10:11], v[14:15], 1.0
	v_fmac_f64_e32 v[14:15], v[14:15], v[16:17]
	v_div_scale_f64 v[16:17], vcc, v[8:9], v[12:13], v[8:9]
	v_mul_f64 v[18:19], v[16:17], v[14:15]
	v_fma_f64 v[10:11], -v[10:11], v[18:19], v[16:17]
	s_nop 1
	v_div_fmas_f64 v[10:11], v[10:11], v[14:15], v[18:19]
	v_cmp_gt_f64_e32 vcc, s[0:1], v[6:7]
	v_div_fixup_f64 v[8:9], v[10:11], v[12:13], v[8:9]
	s_mov_b32 s0, 0x50429b6d
	v_cndmask_b32_e32 v1, 0, v1, vcc
	v_ldexp_f64 v[10:11], v[6:7], v1
	v_rsq_f64_e32 v[12:13], v[10:11]
	s_mov_b32 s1, 0x3fe20dd7
	v_mul_f64 v[6:7], v[8:9], s[0:1]
	v_cndmask_b32_e32 v1, 0, v20, vcc
	v_mul_f64 v[8:9], v[10:11], v[12:13]
	v_mul_f64 v[12:13], v[12:13], 0.5
	v_fma_f64 v[14:15], -v[12:13], v[8:9], 0.5
	v_fmac_f64_e32 v[8:9], v[8:9], v[14:15]
	v_fma_f64 v[16:17], -v[8:9], v[8:9], v[10:11]
	v_fmac_f64_e32 v[12:13], v[12:13], v[14:15]
	v_fmac_f64_e32 v[8:9], v[16:17], v[12:13]
	v_fma_f64 v[14:15], -v[8:9], v[8:9], v[10:11]
	v_fmac_f64_e32 v[8:9], v[14:15], v[12:13]
	s_mov_b32 s0, 0x652b82fe
	v_ldexp_f64 v[8:9], v[8:9], v1
	v_cmp_class_f64_e32 vcc, v[10:11], v21
	s_mov_b32 s1, 0x3ff71547
	v_mov_b32_e32 v14, 0xfca7ab0c
	v_cndmask_b32_e32 v9, v9, v11, vcc
	v_cndmask_b32_e32 v8, v8, v10, vcc
	v_mul_f64 v[10:11], v[4:5], s[0:1]
	s_mov_b32 s0, 0xfefa39ef
	v_rndne_f64_e32 v[10:11], v[10:11]
	s_mov_b32 s1, 0xbfe62e42
	v_fma_f64 v[12:13], s[0:1], v[10:11], v[4:5]
	s_mov_b32 s0, 0x3b39803f
	s_mov_b32 s1, 0xbc7abc9e
	v_fmac_f64_e32 v[12:13], s[0:1], v[10:11]
	s_mov_b32 s0, 0x6a5dcb37
	v_mov_b32_e32 v15, 0x3e928af3
	s_mov_b32 s1, 0x3e5ade15
	v_fmac_f64_e32 v[14:15], s[0:1], v[12:13]
	v_mov_b32_e32 v16, 0x623fde64
	v_mov_b32_e32 v17, 0x3ec71dee
	v_fmac_f64_e32 v[16:17], v[12:13], v[14:15]
	v_mov_b32_e32 v14, 0x7c89e6b0
	v_mov_b32_e32 v15, 0x3efa0199
	;; [unrolled: 3-line block ×8, first 2 shown]
	s_mov_b32 s0, 0
	v_fmac_f64_e32 v[14:15], v[12:13], v[16:17]
	s_mov_b32 s1, 0x40900000
	v_fma_f64 v[14:15], v[12:13], v[14:15], 1.0
	v_cmp_nlt_f64_e32 vcc, s[0:1], v[4:5]
	s_mov_b32 s0, 0
	v_fma_f64 v[12:13], v[12:13], v[14:15], 1.0
	v_cvt_i32_f64_e32 v1, v[10:11]
	s_mov_b32 s1, 0xc090cc00
	v_ldexp_f64 v[10:11], v[12:13], v1
	v_mov_b32_e32 v1, 0x7ff00000
	v_cmp_ngt_f64_e64 s[0:1], s[0:1], v[4:5]
	v_cndmask_b32_e32 v1, v1, v11, vcc
	s_and_b64 vcc, s[0:1], vcc
	v_add_f64 v[8:9], v[8:9], v[8:9]
	v_cndmask_b32_e64 v5, 0, v1, s[0:1]
	v_cndmask_b32_e32 v4, 0, v10, vcc
	v_mul_f64 v[4:5], v[8:9], v[4:5]
	v_div_scale_f64 v[8:9], s[0:1], v[4:5], v[4:5], v[6:7]
	v_rcp_f64_e32 v[10:11], v[8:9]
	s_mov_b32 s0, 0xfd0a823a
	s_mov_b32 s1, 0x4020a402
	v_fma_f64 v[12:13], -v[8:9], v[10:11], 1.0
	v_fmac_f64_e32 v[10:11], v[10:11], v[12:13]
	v_fma_f64 v[12:13], -v[8:9], v[10:11], 1.0
	v_fmac_f64_e32 v[10:11], v[10:11], v[12:13]
	v_div_scale_f64 v[12:13], vcc, v[6:7], v[4:5], v[6:7]
	v_mul_f64 v[14:15], v[12:13], v[10:11]
	v_fma_f64 v[8:9], -v[8:9], v[14:15], v[12:13]
	s_nop 1
	v_div_fmas_f64 v[8:9], v[8:9], v[10:11], v[14:15]
	v_cmp_nlt_f64_e32 vcc, s[0:1], v[2:3]
	s_andn2_b64 s[0:1], s[8:9], exec
	s_and_b64 s[12:13], vcc, exec
	v_div_fixup_f64 v[4:5], v[8:9], v[4:5], v[6:7]
	s_or_b64 s[0:1], s[0:1], s[12:13]
.LBB7_177:
	s_or_b64 exec, exec, s[10:11]
	s_and_saveexec_b64 s[10:11], s[0:1]
	s_cbranch_execz .LBB7_181
; %bb.178:
	v_mul_f64 v[6:7], v[2:3], v[2:3]
	s_mov_b32 s14, 0
	v_mul_f64 v[8:9], v[2:3], v[6:7]
	v_mov_b64_e32 v[14:15], 1.0
	s_mov_b64 s[12:13], 0
	v_mov_b64_e32 v[12:13], 1.0
	s_mov_b32 s15, 0x3cb00000
	v_mov_b64_e32 v[10:11], v[2:3]
	v_mov_b64_e32 v[6:7], 1.0
.LBB7_179:                              ; =>This Inner Loop Header: Depth=1
	v_mul_f64 v[14:15], v[8:9], v[14:15]
	v_add_f64 v[16:17], v[12:13], 1.0
	v_mul_f64 v[2:3], v[8:9], v[2:3]
	v_div_scale_f64 v[18:19], s[0:1], v[16:17], v[16:17], v[14:15]
	v_add_f64 v[22:23], v[16:17], 1.0
	v_rcp_f64_e32 v[26:27], v[18:19]
	v_div_scale_f64 v[28:29], s[0:1], v[22:23], v[22:23], v[2:3]
	v_rcp_f64_e32 v[32:33], v[28:29]
	v_fma_f64 v[34:35], -v[18:19], v[26:27], 1.0
	v_fmac_f64_e32 v[26:27], v[26:27], v[34:35]
	v_fma_f64 v[36:37], -v[18:19], v[26:27], 1.0
	v_fma_f64 v[34:35], -v[28:29], v[32:33], 1.0
	v_fmac_f64_e32 v[32:33], v[32:33], v[34:35]
	v_div_scale_f64 v[20:21], vcc, v[14:15], v[16:17], v[14:15]
	v_fmac_f64_e32 v[26:27], v[26:27], v[36:37]
	v_fma_f64 v[34:35], -v[28:29], v[32:33], 1.0
	v_div_scale_f64 v[30:31], s[0:1], v[2:3], v[22:23], v[2:3]
	v_mul_f64 v[36:37], v[20:21], v[26:27]
	v_fmac_f64_e32 v[32:33], v[32:33], v[34:35]
	v_fma_f64 v[18:19], -v[18:19], v[36:37], v[20:21]
	v_mul_f64 v[20:21], v[30:31], v[32:33]
	v_div_fmas_f64 v[18:19], v[18:19], v[26:27], v[36:37]
	v_fma_f64 v[26:27], -v[28:29], v[20:21], v[30:31]
	s_mov_b64 vcc, s[0:1]
	v_div_fixup_f64 v[14:15], v[18:19], v[16:17], v[14:15]
	v_div_fmas_f64 v[16:17], v[26:27], v[32:33], v[20:21]
	v_div_fixup_f64 v[2:3], v[16:17], v[22:23], v[2:3]
	v_div_scale_f64 v[16:17], s[0:1], v[22:23], v[22:23], v[14:15]
	v_add_f64 v[12:13], v[22:23], 1.0
	v_rcp_f64_e32 v[20:21], v[16:17]
	v_div_scale_f64 v[26:27], s[0:1], v[12:13], v[12:13], v[2:3]
	v_rcp_f64_e32 v[30:31], v[26:27]
	v_fma_f64 v[32:33], -v[16:17], v[20:21], 1.0
	v_fmac_f64_e32 v[20:21], v[20:21], v[32:33]
	v_fma_f64 v[34:35], -v[16:17], v[20:21], 1.0
	v_fma_f64 v[32:33], -v[26:27], v[30:31], 1.0
	v_div_scale_f64 v[18:19], vcc, v[14:15], v[22:23], v[14:15]
	v_fmac_f64_e32 v[30:31], v[30:31], v[32:33]
	v_fmac_f64_e32 v[20:21], v[20:21], v[34:35]
	v_fma_f64 v[32:33], -v[26:27], v[30:31], 1.0
	v_mul_f64 v[34:35], v[18:19], v[20:21]
	v_div_scale_f64 v[28:29], s[0:1], v[2:3], v[12:13], v[2:3]
	v_fmac_f64_e32 v[30:31], v[30:31], v[32:33]
	v_fma_f64 v[16:17], -v[16:17], v[34:35], v[18:19]
	v_mul_f64 v[18:19], v[28:29], v[30:31]
	v_div_fmas_f64 v[16:17], v[16:17], v[20:21], v[34:35]
	v_fma_f64 v[20:21], -v[26:27], v[18:19], v[28:29]
	v_div_fixup_f64 v[14:15], v[16:17], v[22:23], v[14:15]
	s_mov_b64 vcc, s[0:1]
	v_div_fmas_f64 v[16:17], v[20:21], v[30:31], v[18:19]
	v_add_f64 v[6:7], v[6:7], v[14:15]
	v_div_fixup_f64 v[2:3], v[16:17], v[12:13], v[2:3]
	v_div_scale_f64 v[16:17], s[0:1], v[6:7], v[6:7], v[14:15]
	v_rcp_f64_e32 v[18:19], v[16:17]
	v_div_scale_f64 v[20:21], vcc, v[14:15], v[6:7], v[14:15]
	v_add_f64 v[10:11], v[10:11], v[2:3]
	v_fma_f64 v[22:23], -v[16:17], v[18:19], 1.0
	v_fmac_f64_e32 v[18:19], v[18:19], v[22:23]
	v_fma_f64 v[22:23], -v[16:17], v[18:19], 1.0
	v_fmac_f64_e32 v[18:19], v[18:19], v[22:23]
	v_mul_f64 v[22:23], v[20:21], v[18:19]
	v_fma_f64 v[16:17], -v[16:17], v[22:23], v[20:21]
	v_div_fmas_f64 v[16:17], v[16:17], v[18:19], v[22:23]
	v_div_fixup_f64 v[16:17], v[16:17], v[6:7], v[14:15]
	v_cmp_ngt_f64_e64 s[0:1], |v[16:17]|, s[14:15]
	s_or_b64 s[12:13], s[0:1], s[12:13]
	s_andn2_b64 exec, exec, s[12:13]
	s_cbranch_execnz .LBB7_179
; %bb.180:
	s_or_b64 exec, exec, s[12:13]
	s_mov_b32 s0, 0x42b70f8b
	s_mov_b32 s1, 0xbfd0907f
	v_mul_f64 v[2:3], v[10:11], s[0:1]
	s_mov_b32 s0, 0x962715b8
	s_mov_b32 s1, 0x3fd6b8c7
	v_fmac_f64_e32 v[2:3], s[0:1], v[6:7]
	v_cndmask_b32_e64 v5, v5, v3, s[8:9]
	v_cndmask_b32_e64 v4, v4, v2, s[8:9]
.LBB7_181:
	s_or_b64 exec, exec, s[10:11]
                                        ; implicit-def: $vgpr2_vgpr3
.LBB7_182:
	s_andn2_saveexec_b64 s[6:7], s[6:7]
	s_cbranch_execz .LBB7_216
; %bb.183:
	s_mov_b32 s0, 0
	s_brev_b32 s1, 9
	v_mov_b32_e32 v1, 0x100
	v_cmp_lt_f64_e32 vcc, s[0:1], v[2:3]
	v_mul_f64 v[8:9], v[2:3], -2.0
	s_mov_b32 s8, 0
	v_cndmask_b32_e32 v1, 0, v1, vcc
	v_ldexp_f64 v[4:5], -v[2:3], v1
	v_rsq_f64_e32 v[6:7], v[4:5]
	v_mov_b32_e32 v1, 0xffffff80
	v_cndmask_b32_e32 v1, 0, v1, vcc
	s_mov_b32 s9, 0x40080000
	v_mul_f64 v[2:3], v[4:5], v[6:7]
	v_mul_f64 v[6:7], v[6:7], 0.5
	v_fma_f64 v[10:11], -v[6:7], v[2:3], 0.5
	v_fmac_f64_e32 v[2:3], v[2:3], v[10:11]
	v_fma_f64 v[12:13], -v[2:3], v[2:3], v[4:5]
	v_fmac_f64_e32 v[6:7], v[6:7], v[10:11]
	v_fmac_f64_e32 v[2:3], v[12:13], v[6:7]
	v_fma_f64 v[10:11], -v[2:3], v[2:3], v[4:5]
	v_fmac_f64_e32 v[2:3], v[10:11], v[6:7]
	v_ldexp_f64 v[2:3], v[2:3], v1
	v_mov_b32_e32 v1, 0x260
	v_cmp_class_f64_e32 vcc, v[4:5], v1
	s_mov_b32 s11, 0x3fe921fb
	s_mov_b32 s10, 0x54442d18
	v_cndmask_b32_e32 v3, v3, v5, vcc
	v_cndmask_b32_e32 v2, v2, v4, vcc
	v_mul_f64 v[4:5], v[8:9], v[2:3]
	v_div_scale_f64 v[6:7], s[0:1], s[8:9], s[8:9], v[4:5]
	v_rcp_f64_e32 v[8:9], v[6:7]
	s_movk_i32 s0, 0xff80
                                        ; implicit-def: $vgpr25
                                        ; implicit-def: $vgpr14_vgpr15
	v_fma_f64 v[10:11], -v[6:7], v[8:9], 1.0
	v_fmac_f64_e32 v[8:9], v[8:9], v[10:11]
	v_fma_f64 v[10:11], -v[6:7], v[8:9], 1.0
	v_fmac_f64_e32 v[8:9], v[8:9], v[10:11]
	v_div_scale_f64 v[10:11], vcc, v[4:5], s[8:9], v[4:5]
	v_mul_f64 v[12:13], v[10:11], v[8:9]
	v_fma_f64 v[6:7], -v[6:7], v[12:13], v[10:11]
	s_nop 1
	v_div_fmas_f64 v[6:7], v[6:7], v[8:9], v[12:13]
	v_div_fixup_f64 v[10:11], v[6:7], s[8:9], v[4:5]
	s_mov_b32 s8, 0
	v_add_f64 v[4:5], v[10:11], s[10:11]
	s_mov_b32 s9, 0x41d00000
	v_cmp_nlt_f64_e64 s[8:9], |v[4:5]|, s[8:9]
                                        ; implicit-def: $vgpr12_vgpr13
	s_and_saveexec_b64 s[12:13], s[8:9]
	s_xor_b64 s[12:13], exec, s[12:13]
	s_cbranch_execz .LBB7_205
; %bb.184:
	s_mov_b32 s14, 0
	s_mov_b32 s15, 0x7b000000
	v_and_b32_e32 v1, 0x7fffffff, v5
	v_ldexp_f64 v[12:13], |v[4:5]|, s0
	v_cmp_ge_f64_e64 vcc, |v[4:5]|, s[14:15]
	v_trig_preop_f64 v[6:7], |v[4:5]|, 0
	v_trig_preop_f64 v[8:9], |v[4:5]|, 1
	v_cndmask_b32_e32 v13, v1, v13, vcc
	v_cndmask_b32_e32 v12, v4, v12, vcc
	v_mul_f64 v[16:17], v[6:7], v[12:13]
	v_mul_f64 v[14:15], v[8:9], v[12:13]
	v_fma_f64 v[6:7], v[6:7], v[12:13], -v[16:17]
	v_add_f64 v[18:19], v[14:15], v[6:7]
	v_add_f64 v[28:29], v[18:19], -v[14:15]
	v_add_f64 v[6:7], v[6:7], -v[28:29]
	v_add_f64 v[28:29], v[18:19], -v[28:29]
	v_add_f64 v[28:29], v[14:15], -v[28:29]
	v_fma_f64 v[8:9], v[8:9], v[12:13], -v[14:15]
	v_trig_preop_f64 v[14:15], |v[4:5]|, 2
	v_add_f64 v[6:7], v[6:7], v[28:29]
	v_mul_f64 v[28:29], v[14:15], v[12:13]
	v_add_f64 v[30:31], v[28:29], v[8:9]
	v_add_f64 v[20:21], v[16:17], v[18:19]
	;; [unrolled: 1-line block ×3, first 2 shown]
	v_ldexp_f64 v[22:23], v[20:21], -2
	v_add_f64 v[16:17], v[20:21], -v[16:17]
	v_add_f64 v[20:21], v[32:33], -v[30:31]
	;; [unrolled: 1-line block ×5, first 2 shown]
	v_add_f64 v[6:7], v[6:7], v[20:21]
	v_add_f64 v[20:21], v[30:31], -v[28:29]
	v_add_f64 v[8:9], v[8:9], -v[20:21]
	;; [unrolled: 1-line block ×4, first 2 shown]
	v_add_f64 v[8:9], v[8:9], v[20:21]
	s_mov_b32 s0, 0
	v_fract_f64_e32 v[26:27], v[22:23]
	v_add_f64 v[6:7], v[8:9], v[6:7]
	v_fma_f64 v[8:9], v[14:15], v[12:13], -v[28:29]
	s_mov_b32 s1, 0x7ff00000
	v_add_f64 v[16:17], v[18:19], -v[16:17]
	v_add_f64 v[6:7], v[8:9], v[6:7]
	v_ldexp_f64 v[8:9], v[26:27], 2
	v_cmp_neq_f64_e64 vcc, |v[22:23]|, s[0:1]
	v_add_f64 v[18:19], v[16:17], v[32:33]
	v_mov_b32_e32 v1, 0x40100000
	v_cndmask_b32_e32 v9, 0, v9, vcc
	v_cndmask_b32_e32 v8, 0, v8, vcc
	v_add_f64 v[12:13], v[18:19], v[8:9]
	v_cmp_gt_f64_e32 vcc, 0, v[12:13]
	v_mov_b32_e32 v12, 0
	v_add_f64 v[16:17], v[18:19], -v[16:17]
	v_cndmask_b32_e32 v13, 0, v1, vcc
	v_add_f64 v[8:9], v[8:9], v[12:13]
	v_add_f64 v[14:15], v[18:19], v[8:9]
	v_cvt_i32_f64_e32 v1, v[14:15]
	v_cvt_f64_i32_e32 v[14:15], v1
	v_add_f64 v[8:9], v[8:9], -v[14:15]
	v_add_f64 v[14:15], v[18:19], v[8:9]
	v_cmp_le_f64_e32 vcc, 0.5, v[14:15]
	v_add_f64 v[16:17], v[32:33], -v[16:17]
	v_add_f64 v[8:9], v[14:15], -v[8:9]
	v_addc_co_u32_e64 v25, s[0:1], 0, v1, vcc
	v_mov_b32_e32 v1, 0x3ff00000
	v_add_f64 v[6:7], v[16:17], v[6:7]
	v_add_f64 v[8:9], v[18:19], -v[8:9]
	v_cndmask_b32_e32 v13, 0, v1, vcc
	v_add_f64 v[6:7], v[6:7], v[8:9]
	v_add_f64 v[8:9], v[14:15], -v[12:13]
	v_add_f64 v[12:13], v[8:9], v[6:7]
	v_add_f64 v[8:9], v[12:13], -v[8:9]
	s_mov_b32 s11, 0x3ff921fb
	v_add_f64 v[6:7], v[6:7], -v[8:9]
	v_mul_f64 v[8:9], v[12:13], s[10:11]
	s_mov_b32 s0, 0x33145c07
	v_fma_f64 v[14:15], v[12:13], s[10:11], -v[8:9]
	s_mov_b32 s1, 0x3c91a626
	v_fmac_f64_e32 v[14:15], s[0:1], v[12:13]
	v_fmac_f64_e32 v[14:15], s[10:11], v[6:7]
	v_add_f64 v[12:13], v[8:9], v[14:15]
	v_add_f64 v[6:7], v[12:13], -v[8:9]
	v_add_f64 v[14:15], v[14:15], -v[6:7]
	s_andn2_saveexec_b64 s[0:1], s[12:13]
	s_cbranch_execz .LBB7_207
	s_branch .LBB7_206
.LBB7_185:
	v_mov_b32_e32 v0, 0
	s_mov_b32 s54, 0
	v_mov_b32_e32 v1, v0
                                        ; implicit-def: $vgpr2
	v_mov_b32_e32 v4, v24
.LBB7_186:
	s_and_b32 s4, s55, 3
	s_cmp_eq_u32 s4, 0
	s_cbranch_scc1 .LBB7_189
; %bb.187:
	s_lshl_b32 s0, s54, 3
	s_add_u32 s0, s34, s0
	s_addc_u32 s1, s35, 0
	s_add_u32 s0, s0, 0xc4
	s_addc_u32 s1, s1, 0
	s_mul_i32 s2, s54, 12
	s_add_u32 s2, s34, s2
	s_addc_u32 s3, s35, 0
.LBB7_188:                              ; =>This Inner Loop Header: Depth=1
	s_load_dwordx2 s[6:7], s[2:3], 0x4
	s_load_dword s5, s[2:3], 0xc
	s_load_dwordx2 s[8:9], s[0:1], 0x0
	v_mov_b32_e32 v2, v1
	s_add_u32 s2, s2, 12
	s_waitcnt lgkmcnt(0)
	v_mul_hi_u32 v1, s7, v4
	v_add_u32_e32 v1, v4, v1
	v_lshrrev_b32_e32 v1, s5, v1
	s_addc_u32 s3, s3, 0
	v_mul_lo_u32 v3, v1, s6
	s_add_u32 s0, s0, 8
	v_sub_u32_e32 v5, v4, v3
	s_addc_u32 s1, s1, 0
	s_add_i32 s4, s4, -1
	v_mov_b32_e32 v4, v1
	v_mad_u64_u32 v[2:3], s[6:7], v5, s9, v[2:3]
	v_mad_u64_u32 v[0:1], s[6:7], v5, s8, v[0:1]
	s_cmp_lg_u32 s4, 0
	v_mov_b32_e32 v1, v2
	s_cbranch_scc1 .LBB7_188
.LBB7_189:
	s_cbranch_execnz .LBB7_192
.LBB7_190:
	s_waitcnt lgkmcnt(0)
	v_mul_hi_u32 v0, s25, v24
	v_add_u32_e32 v0, v24, v0
	v_lshrrev_b32_e32 v1, s26, v0
	v_mul_lo_u32 v0, v1, s24
	v_sub_u32_e32 v0, v24, v0
	v_mul_lo_u32 v2, v0, s21
	s_andn2_b64 vcc, exec, s[42:43]
	v_mul_lo_u32 v0, v0, s20
	s_cbranch_vccnz .LBB7_192
; %bb.191:
	v_mul_hi_u32 v3, s40, v1
	v_add_u32_e32 v3, v1, v3
	v_lshrrev_b32_e32 v3, s41, v3
	v_mul_lo_u32 v3, v3, s27
	v_sub_u32_e32 v3, v1, v3
	v_mad_u64_u32 v[0:1], s[0:1], v3, s22, v[0:1]
	v_mad_u64_u32 v[2:3], s[0:1], v3, s23, v[2:3]
.LBB7_192:
	s_waitcnt lgkmcnt(0)
	global_load_dwordx2 v[2:3], v2, s[18:19]
	s_mov_b32 s0, 0
	s_mov_b32 s1, 0x7ff00000
	v_mov_b32_e32 v4, 0
	v_mov_b32_e32 v5, 0x7ff80000
	s_waitcnt vmcnt(0)
	v_cmp_neq_f64_e64 s[0:1], |v[2:3]|, s[0:1]
	s_and_saveexec_b64 s[2:3], s[0:1]
	s_cbranch_execz .LBB7_253
; %bb.193:
	s_mov_b32 s0, 0x872b020c
	s_mov_b32 s1, 0x4059f916
	v_cmp_nlt_f64_e32 vcc, s[0:1], v[2:3]
	v_mov_b64_e32 v[4:5], 0
	s_and_saveexec_b64 s[4:5], vcc
	s_cbranch_execz .LBB7_252
; %bb.194:
	s_mov_b32 s1, 0xc000b851
	s_mov_b32 s0, 0xeb851eb8
	v_cmp_ngt_f64_e32 vcc, s[0:1], v[2:3]
                                        ; implicit-def: $vgpr4_vgpr5
	s_and_saveexec_b64 s[6:7], vcc
	s_xor_b64 s[6:7], exec, s[6:7]
	s_cbranch_execz .LBB7_202
; %bb.195:
	s_mov_b32 s1, 0x4000b851
	v_cmp_nle_f64_e64 s[8:9], s[0:1], v[2:3]
	v_cmp_le_f64_e32 vcc, s[0:1], v[2:3]
	v_mov_b64_e32 v[4:5], 0
	s_mov_b64 s[0:1], s[8:9]
	s_and_saveexec_b64 s[10:11], vcc
	s_cbranch_execz .LBB7_197
; %bb.196:
	s_mov_b32 s0, 0
	s_brev_b32 s1, 8
	v_mov_b32_e32 v1, 0x100
	v_cmp_gt_f64_e32 vcc, s[0:1], v[2:3]
	v_mov_b32_e32 v20, 0xffffff80
	v_mov_b32_e32 v21, 0x260
	v_cndmask_b32_e32 v4, 0, v1, vcc
	v_ldexp_f64 v[4:5], v[2:3], v4
	v_rsq_f64_e32 v[6:7], v[4:5]
	v_add_f64 v[8:9], v[2:3], v[2:3]
	s_mov_b32 s12, 0
	s_mov_b32 s13, 0x40080000
	v_mul_f64 v[10:11], v[4:5], v[6:7]
	v_mul_f64 v[6:7], v[6:7], 0.5
	v_fma_f64 v[12:13], -v[6:7], v[10:11], 0.5
	v_fmac_f64_e32 v[10:11], v[10:11], v[12:13]
	v_fma_f64 v[14:15], -v[10:11], v[10:11], v[4:5]
	v_fmac_f64_e32 v[6:7], v[6:7], v[12:13]
	v_fmac_f64_e32 v[10:11], v[14:15], v[6:7]
	v_fma_f64 v[12:13], -v[10:11], v[10:11], v[4:5]
	v_fmac_f64_e32 v[10:11], v[12:13], v[6:7]
	v_cndmask_b32_e32 v6, 0, v20, vcc
	v_ldexp_f64 v[6:7], v[10:11], v6
	v_cmp_class_f64_e32 vcc, v[4:5], v21
	s_nop 1
	v_cndmask_b32_e32 v7, v7, v5, vcc
	v_cndmask_b32_e32 v6, v6, v4, vcc
	v_mul_f64 v[4:5], v[8:9], v[6:7]
	v_div_scale_f64 v[8:9], s[14:15], s[12:13], s[12:13], v[4:5]
	v_rcp_f64_e32 v[10:11], v[8:9]
	s_nop 0
	v_fma_f64 v[12:13], -v[8:9], v[10:11], 1.0
	v_fmac_f64_e32 v[10:11], v[10:11], v[12:13]
	v_fma_f64 v[12:13], -v[8:9], v[10:11], 1.0
	v_fmac_f64_e32 v[10:11], v[10:11], v[12:13]
	v_div_scale_f64 v[12:13], vcc, v[4:5], s[12:13], v[4:5]
	v_mul_f64 v[14:15], v[12:13], v[10:11]
	v_fma_f64 v[8:9], -v[8:9], v[14:15], v[12:13]
	s_nop 1
	v_div_fmas_f64 v[8:9], v[8:9], v[10:11], v[14:15]
	v_div_fixup_f64 v[4:5], v[8:9], s[12:13], v[4:5]
	v_div_scale_f64 v[8:9], s[12:13], v[4:5], v[4:5], 1.0
	v_rcp_f64_e32 v[10:11], v[8:9]
	s_nop 0
	v_fma_f64 v[12:13], -v[8:9], v[10:11], 1.0
	v_fmac_f64_e32 v[10:11], v[10:11], v[12:13]
	v_fma_f64 v[12:13], -v[8:9], v[10:11], 1.0
	v_fmac_f64_e32 v[10:11], v[10:11], v[12:13]
	v_div_scale_f64 v[12:13], vcc, 1.0, v[4:5], 1.0
	v_mul_f64 v[14:15], v[12:13], v[10:11]
	v_fma_f64 v[8:9], -v[8:9], v[14:15], v[12:13]
	v_mov_b32_e32 v12, 0x871a9067
	s_nop 0
	v_div_fmas_f64 v[8:9], v[8:9], v[10:11], v[14:15]
	v_div_fixup_f64 v[8:9], v[8:9], v[4:5], 1.0
	v_mov_b32_e32 v10, 0x2537b658
	v_mov_b32_e32 v11, 0x3fd62dae
	v_fmac_f64_e32 v[10:11], 0, v[8:9]
	v_mov_b32_e32 v13, 0x402803e3
	v_fmac_f64_e32 v[12:13], v[8:9], v[10:11]
	v_mov_b32_e32 v10, 0xde2e1e3
	v_mov_b32_e32 v11, 0x405311e5
	v_fmac_f64_e32 v[10:11], v[8:9], v[12:13]
	v_mov_b32_e32 v12, 0xee40073c
	v_mov_b32_e32 v13, 0x406502da
	v_fmac_f64_e32 v[12:13], v[8:9], v[10:11]
	v_mov_b32_e32 v10, 0x5ba1fddf
	v_mov_b32_e32 v11, 0x4063f834
	v_fmac_f64_e32 v[10:11], v[8:9], v[12:13]
	v_mov_b32_e32 v12, 0x4f4cea4f
	v_mov_b32_e32 v13, 0x4051a24f
	v_fmac_f64_e32 v[12:13], v[8:9], v[10:11]
	v_mov_b32_e32 v10, 0x5c2a0f4d
	v_mov_b32_e32 v11, 0x402c0d8d
	v_fmac_f64_e32 v[10:11], v[8:9], v[12:13]
	v_mov_b32_e32 v12, 0x2624d31
	v_mov_b32_e32 v13, 0x3fe229bc
	v_fmac_f64_e32 v[12:13], 0, v[8:9]
	v_mov_b32_e32 v14, 0x5332ca5
	v_mov_b32_e32 v15, 0x402d8334
	v_fmac_f64_e32 v[14:15], v[8:9], v[12:13]
	v_mov_b32_e32 v12, 0xb04d51a0
	v_mov_b32_e32 v13, 0x405520e3
	v_fmac_f64_e32 v[12:13], v[8:9], v[14:15]
	v_mov_b32_e32 v14, 0xc730b7b0
	v_mov_b32_e32 v15, 0x40662a2d
	v_fmac_f64_e32 v[14:15], v[8:9], v[12:13]
	v_mov_b32_e32 v12, 0x9a9ffa61
	v_mov_b32_e32 v13, 0x40648782
	v_fmac_f64_e32 v[12:13], v[8:9], v[14:15]
	v_mov_b32_e32 v14, 0xee91d35f
	v_mov_b32_e32 v15, 0x4051de94
	v_fmac_f64_e32 v[14:15], v[8:9], v[12:13]
	v_mov_b32_e32 v12, 0x950d9d81
	v_mov_b32_e32 v13, 0x402c311b
	v_fmac_f64_e32 v[12:13], v[8:9], v[14:15]
	v_fma_f64 v[12:13], v[8:9], v[12:13], 1.0
	v_fma_f64 v[8:9], v[8:9], v[10:11], 1.0
	v_div_scale_f64 v[10:11], s[12:13], v[12:13], v[12:13], v[8:9]
	v_rcp_f64_e32 v[14:15], v[10:11]
	s_nop 0
	v_fma_f64 v[16:17], -v[10:11], v[14:15], 1.0
	v_fmac_f64_e32 v[14:15], v[14:15], v[16:17]
	v_fma_f64 v[16:17], -v[10:11], v[14:15], 1.0
	v_fmac_f64_e32 v[14:15], v[14:15], v[16:17]
	v_div_scale_f64 v[16:17], vcc, v[8:9], v[12:13], v[8:9]
	v_mul_f64 v[18:19], v[16:17], v[14:15]
	v_fma_f64 v[10:11], -v[10:11], v[18:19], v[16:17]
	s_nop 1
	v_div_fmas_f64 v[10:11], v[10:11], v[14:15], v[18:19]
	v_cmp_gt_f64_e32 vcc, s[0:1], v[6:7]
	v_div_fixup_f64 v[8:9], v[10:11], v[12:13], v[8:9]
	s_mov_b32 s0, 0x50429b6d
	v_cndmask_b32_e32 v1, 0, v1, vcc
	v_ldexp_f64 v[10:11], v[6:7], v1
	v_rsq_f64_e32 v[12:13], v[10:11]
	s_mov_b32 s1, 0x3fe20dd7
	v_mul_f64 v[6:7], v[8:9], s[0:1]
	v_cndmask_b32_e32 v1, 0, v20, vcc
	v_mul_f64 v[8:9], v[10:11], v[12:13]
	v_mul_f64 v[12:13], v[12:13], 0.5
	v_fma_f64 v[14:15], -v[12:13], v[8:9], 0.5
	v_fmac_f64_e32 v[8:9], v[8:9], v[14:15]
	v_fma_f64 v[16:17], -v[8:9], v[8:9], v[10:11]
	v_fmac_f64_e32 v[12:13], v[12:13], v[14:15]
	v_fmac_f64_e32 v[8:9], v[16:17], v[12:13]
	v_fma_f64 v[14:15], -v[8:9], v[8:9], v[10:11]
	v_fmac_f64_e32 v[8:9], v[14:15], v[12:13]
	s_mov_b32 s0, 0x652b82fe
	v_ldexp_f64 v[8:9], v[8:9], v1
	v_cmp_class_f64_e32 vcc, v[10:11], v21
	s_mov_b32 s1, 0x3ff71547
	v_mov_b32_e32 v14, 0xfca7ab0c
	v_cndmask_b32_e32 v9, v9, v11, vcc
	v_cndmask_b32_e32 v8, v8, v10, vcc
	v_mul_f64 v[10:11], v[4:5], s[0:1]
	s_mov_b32 s0, 0xfefa39ef
	v_rndne_f64_e32 v[10:11], v[10:11]
	s_mov_b32 s1, 0xbfe62e42
	v_fma_f64 v[12:13], s[0:1], v[10:11], v[4:5]
	s_mov_b32 s0, 0x3b39803f
	s_mov_b32 s1, 0xbc7abc9e
	v_fmac_f64_e32 v[12:13], s[0:1], v[10:11]
	s_mov_b32 s0, 0x6a5dcb37
	v_mov_b32_e32 v15, 0x3e928af3
	s_mov_b32 s1, 0x3e5ade15
	v_fmac_f64_e32 v[14:15], s[0:1], v[12:13]
	v_mov_b32_e32 v16, 0x623fde64
	v_mov_b32_e32 v17, 0x3ec71dee
	v_fmac_f64_e32 v[16:17], v[12:13], v[14:15]
	v_mov_b32_e32 v14, 0x7c89e6b0
	v_mov_b32_e32 v15, 0x3efa0199
	;; [unrolled: 3-line block ×8, first 2 shown]
	s_mov_b32 s0, 0
	v_fmac_f64_e32 v[14:15], v[12:13], v[16:17]
	s_mov_b32 s1, 0x40900000
	v_fma_f64 v[14:15], v[12:13], v[14:15], 1.0
	v_cmp_nlt_f64_e32 vcc, s[0:1], v[4:5]
	s_mov_b32 s0, 0
	v_fma_f64 v[12:13], v[12:13], v[14:15], 1.0
	v_cvt_i32_f64_e32 v1, v[10:11]
	s_mov_b32 s1, 0xc090cc00
	v_ldexp_f64 v[10:11], v[12:13], v1
	v_mov_b32_e32 v1, 0x7ff00000
	v_cmp_ngt_f64_e64 s[0:1], s[0:1], v[4:5]
	v_cndmask_b32_e32 v1, v1, v11, vcc
	s_and_b64 vcc, s[0:1], vcc
	v_add_f64 v[8:9], v[8:9], v[8:9]
	v_cndmask_b32_e64 v5, 0, v1, s[0:1]
	v_cndmask_b32_e32 v4, 0, v10, vcc
	v_mul_f64 v[4:5], v[8:9], v[4:5]
	v_div_scale_f64 v[8:9], s[0:1], v[4:5], v[4:5], v[6:7]
	v_rcp_f64_e32 v[10:11], v[8:9]
	s_mov_b32 s0, 0xfd0a823a
	s_mov_b32 s1, 0x4020a402
	v_fma_f64 v[12:13], -v[8:9], v[10:11], 1.0
	v_fmac_f64_e32 v[10:11], v[10:11], v[12:13]
	v_fma_f64 v[12:13], -v[8:9], v[10:11], 1.0
	v_fmac_f64_e32 v[10:11], v[10:11], v[12:13]
	v_div_scale_f64 v[12:13], vcc, v[6:7], v[4:5], v[6:7]
	v_mul_f64 v[14:15], v[12:13], v[10:11]
	v_fma_f64 v[8:9], -v[8:9], v[14:15], v[12:13]
	s_nop 1
	v_div_fmas_f64 v[8:9], v[8:9], v[10:11], v[14:15]
	v_cmp_nlt_f64_e32 vcc, s[0:1], v[2:3]
	s_andn2_b64 s[0:1], s[8:9], exec
	s_and_b64 s[12:13], vcc, exec
	v_div_fixup_f64 v[4:5], v[8:9], v[4:5], v[6:7]
	s_or_b64 s[0:1], s[0:1], s[12:13]
.LBB7_197:
	s_or_b64 exec, exec, s[10:11]
	s_and_saveexec_b64 s[10:11], s[0:1]
	s_cbranch_execz .LBB7_201
; %bb.198:
	v_mul_f64 v[6:7], v[2:3], v[2:3]
	s_mov_b32 s14, 0
	v_mul_f64 v[8:9], v[2:3], v[6:7]
	v_mov_b64_e32 v[14:15], 1.0
	s_mov_b64 s[12:13], 0
	v_mov_b64_e32 v[12:13], 1.0
	s_mov_b32 s15, 0x3cb00000
	v_mov_b64_e32 v[10:11], v[2:3]
	v_mov_b64_e32 v[6:7], 1.0
.LBB7_199:                              ; =>This Inner Loop Header: Depth=1
	v_mul_f64 v[14:15], v[8:9], v[14:15]
	v_add_f64 v[16:17], v[12:13], 1.0
	v_mul_f64 v[2:3], v[8:9], v[2:3]
	v_div_scale_f64 v[18:19], s[0:1], v[16:17], v[16:17], v[14:15]
	v_add_f64 v[22:23], v[16:17], 1.0
	v_rcp_f64_e32 v[26:27], v[18:19]
	v_div_scale_f64 v[28:29], s[0:1], v[22:23], v[22:23], v[2:3]
	v_rcp_f64_e32 v[32:33], v[28:29]
	v_fma_f64 v[34:35], -v[18:19], v[26:27], 1.0
	v_fmac_f64_e32 v[26:27], v[26:27], v[34:35]
	v_fma_f64 v[36:37], -v[18:19], v[26:27], 1.0
	v_fma_f64 v[34:35], -v[28:29], v[32:33], 1.0
	v_fmac_f64_e32 v[32:33], v[32:33], v[34:35]
	v_div_scale_f64 v[20:21], vcc, v[14:15], v[16:17], v[14:15]
	v_fmac_f64_e32 v[26:27], v[26:27], v[36:37]
	v_fma_f64 v[34:35], -v[28:29], v[32:33], 1.0
	v_div_scale_f64 v[30:31], s[0:1], v[2:3], v[22:23], v[2:3]
	v_mul_f64 v[36:37], v[20:21], v[26:27]
	v_fmac_f64_e32 v[32:33], v[32:33], v[34:35]
	v_fma_f64 v[18:19], -v[18:19], v[36:37], v[20:21]
	v_mul_f64 v[20:21], v[30:31], v[32:33]
	v_div_fmas_f64 v[18:19], v[18:19], v[26:27], v[36:37]
	v_fma_f64 v[26:27], -v[28:29], v[20:21], v[30:31]
	s_mov_b64 vcc, s[0:1]
	v_div_fixup_f64 v[14:15], v[18:19], v[16:17], v[14:15]
	v_div_fmas_f64 v[16:17], v[26:27], v[32:33], v[20:21]
	v_div_fixup_f64 v[2:3], v[16:17], v[22:23], v[2:3]
	v_div_scale_f64 v[16:17], s[0:1], v[22:23], v[22:23], v[14:15]
	v_add_f64 v[12:13], v[22:23], 1.0
	v_rcp_f64_e32 v[20:21], v[16:17]
	v_div_scale_f64 v[26:27], s[0:1], v[12:13], v[12:13], v[2:3]
	v_rcp_f64_e32 v[30:31], v[26:27]
	v_fma_f64 v[32:33], -v[16:17], v[20:21], 1.0
	v_fmac_f64_e32 v[20:21], v[20:21], v[32:33]
	v_fma_f64 v[34:35], -v[16:17], v[20:21], 1.0
	v_fma_f64 v[32:33], -v[26:27], v[30:31], 1.0
	v_div_scale_f64 v[18:19], vcc, v[14:15], v[22:23], v[14:15]
	v_fmac_f64_e32 v[30:31], v[30:31], v[32:33]
	v_fmac_f64_e32 v[20:21], v[20:21], v[34:35]
	v_fma_f64 v[32:33], -v[26:27], v[30:31], 1.0
	v_mul_f64 v[34:35], v[18:19], v[20:21]
	v_div_scale_f64 v[28:29], s[0:1], v[2:3], v[12:13], v[2:3]
	v_fmac_f64_e32 v[30:31], v[30:31], v[32:33]
	v_fma_f64 v[16:17], -v[16:17], v[34:35], v[18:19]
	v_mul_f64 v[18:19], v[28:29], v[30:31]
	v_div_fmas_f64 v[16:17], v[16:17], v[20:21], v[34:35]
	v_fma_f64 v[20:21], -v[26:27], v[18:19], v[28:29]
	v_div_fixup_f64 v[14:15], v[16:17], v[22:23], v[14:15]
	s_mov_b64 vcc, s[0:1]
	v_div_fmas_f64 v[16:17], v[20:21], v[30:31], v[18:19]
	v_add_f64 v[6:7], v[6:7], v[14:15]
	v_div_fixup_f64 v[2:3], v[16:17], v[12:13], v[2:3]
	v_div_scale_f64 v[16:17], s[0:1], v[6:7], v[6:7], v[14:15]
	v_rcp_f64_e32 v[18:19], v[16:17]
	v_div_scale_f64 v[20:21], vcc, v[14:15], v[6:7], v[14:15]
	v_add_f64 v[10:11], v[10:11], v[2:3]
	v_fma_f64 v[22:23], -v[16:17], v[18:19], 1.0
	v_fmac_f64_e32 v[18:19], v[18:19], v[22:23]
	v_fma_f64 v[22:23], -v[16:17], v[18:19], 1.0
	v_fmac_f64_e32 v[18:19], v[18:19], v[22:23]
	v_mul_f64 v[22:23], v[20:21], v[18:19]
	v_fma_f64 v[16:17], -v[16:17], v[22:23], v[20:21]
	v_div_fmas_f64 v[16:17], v[16:17], v[18:19], v[22:23]
	v_div_fixup_f64 v[16:17], v[16:17], v[6:7], v[14:15]
	v_cmp_ngt_f64_e64 s[0:1], |v[16:17]|, s[14:15]
	s_or_b64 s[12:13], s[0:1], s[12:13]
	s_andn2_b64 exec, exec, s[12:13]
	s_cbranch_execnz .LBB7_199
; %bb.200:
	s_or_b64 exec, exec, s[12:13]
	s_mov_b32 s0, 0x42b70f8b
	s_mov_b32 s1, 0xbfd0907f
	v_mul_f64 v[2:3], v[10:11], s[0:1]
	s_mov_b32 s0, 0x962715b8
	s_mov_b32 s1, 0x3fd6b8c7
	v_fmac_f64_e32 v[2:3], s[0:1], v[6:7]
	v_cndmask_b32_e64 v5, v5, v3, s[8:9]
	v_cndmask_b32_e64 v4, v4, v2, s[8:9]
.LBB7_201:
	s_or_b64 exec, exec, s[10:11]
                                        ; implicit-def: $vgpr2_vgpr3
.LBB7_202:
	s_andn2_saveexec_b64 s[6:7], s[6:7]
	s_cbranch_execz .LBB7_251
; %bb.203:
	s_mov_b32 s0, 0
	s_brev_b32 s1, 9
	v_mov_b32_e32 v1, 0x100
	v_cmp_lt_f64_e32 vcc, s[0:1], v[2:3]
	v_mul_f64 v[8:9], v[2:3], -2.0
	s_mov_b32 s8, 0
	v_cndmask_b32_e32 v1, 0, v1, vcc
	v_ldexp_f64 v[4:5], -v[2:3], v1
	v_rsq_f64_e32 v[6:7], v[4:5]
	v_mov_b32_e32 v1, 0xffffff80
	v_cndmask_b32_e32 v1, 0, v1, vcc
	s_mov_b32 s9, 0x40080000
	v_mul_f64 v[2:3], v[4:5], v[6:7]
	v_mul_f64 v[6:7], v[6:7], 0.5
	v_fma_f64 v[10:11], -v[6:7], v[2:3], 0.5
	v_fmac_f64_e32 v[2:3], v[2:3], v[10:11]
	v_fma_f64 v[12:13], -v[2:3], v[2:3], v[4:5]
	v_fmac_f64_e32 v[6:7], v[6:7], v[10:11]
	v_fmac_f64_e32 v[2:3], v[12:13], v[6:7]
	v_fma_f64 v[10:11], -v[2:3], v[2:3], v[4:5]
	v_fmac_f64_e32 v[2:3], v[10:11], v[6:7]
	v_ldexp_f64 v[2:3], v[2:3], v1
	v_mov_b32_e32 v1, 0x260
	v_cmp_class_f64_e32 vcc, v[4:5], v1
	s_mov_b32 s11, 0x3fe921fb
	s_mov_b32 s10, 0x54442d18
	v_cndmask_b32_e32 v3, v3, v5, vcc
	v_cndmask_b32_e32 v2, v2, v4, vcc
	v_mul_f64 v[4:5], v[8:9], v[2:3]
	v_div_scale_f64 v[6:7], s[0:1], s[8:9], s[8:9], v[4:5]
	v_rcp_f64_e32 v[8:9], v[6:7]
	s_movk_i32 s0, 0xff80
                                        ; implicit-def: $vgpr25
                                        ; implicit-def: $vgpr14_vgpr15
	v_fma_f64 v[10:11], -v[6:7], v[8:9], 1.0
	v_fmac_f64_e32 v[8:9], v[8:9], v[10:11]
	v_fma_f64 v[10:11], -v[6:7], v[8:9], 1.0
	v_fmac_f64_e32 v[8:9], v[8:9], v[10:11]
	v_div_scale_f64 v[10:11], vcc, v[4:5], s[8:9], v[4:5]
	v_mul_f64 v[12:13], v[10:11], v[8:9]
	v_fma_f64 v[6:7], -v[6:7], v[12:13], v[10:11]
	s_nop 1
	v_div_fmas_f64 v[6:7], v[6:7], v[8:9], v[12:13]
	v_div_fixup_f64 v[10:11], v[6:7], s[8:9], v[4:5]
	s_mov_b32 s8, 0
	v_add_f64 v[4:5], v[10:11], s[10:11]
	s_mov_b32 s9, 0x41d00000
	v_cmp_nlt_f64_e64 s[8:9], |v[4:5]|, s[8:9]
                                        ; implicit-def: $vgpr12_vgpr13
	s_and_saveexec_b64 s[12:13], s[8:9]
	s_xor_b64 s[12:13], exec, s[12:13]
	s_cbranch_execz .LBB7_209
; %bb.204:
	s_mov_b32 s14, 0
	s_mov_b32 s15, 0x7b000000
	v_and_b32_e32 v1, 0x7fffffff, v5
	v_ldexp_f64 v[12:13], |v[4:5]|, s0
	v_cmp_ge_f64_e64 vcc, |v[4:5]|, s[14:15]
	v_trig_preop_f64 v[6:7], |v[4:5]|, 0
	v_trig_preop_f64 v[8:9], |v[4:5]|, 1
	v_cndmask_b32_e32 v13, v1, v13, vcc
	v_cndmask_b32_e32 v12, v4, v12, vcc
	v_mul_f64 v[16:17], v[6:7], v[12:13]
	v_mul_f64 v[14:15], v[8:9], v[12:13]
	v_fma_f64 v[6:7], v[6:7], v[12:13], -v[16:17]
	v_add_f64 v[18:19], v[14:15], v[6:7]
	v_add_f64 v[28:29], v[18:19], -v[14:15]
	v_add_f64 v[6:7], v[6:7], -v[28:29]
	;; [unrolled: 1-line block ×4, first 2 shown]
	v_fma_f64 v[8:9], v[8:9], v[12:13], -v[14:15]
	v_trig_preop_f64 v[14:15], |v[4:5]|, 2
	v_add_f64 v[6:7], v[6:7], v[28:29]
	v_mul_f64 v[28:29], v[14:15], v[12:13]
	v_add_f64 v[30:31], v[28:29], v[8:9]
	v_add_f64 v[20:21], v[16:17], v[18:19]
	;; [unrolled: 1-line block ×3, first 2 shown]
	v_ldexp_f64 v[22:23], v[20:21], -2
	v_add_f64 v[16:17], v[20:21], -v[16:17]
	v_add_f64 v[20:21], v[32:33], -v[30:31]
	;; [unrolled: 1-line block ×5, first 2 shown]
	v_add_f64 v[6:7], v[6:7], v[20:21]
	v_add_f64 v[20:21], v[30:31], -v[28:29]
	v_add_f64 v[8:9], v[8:9], -v[20:21]
	;; [unrolled: 1-line block ×4, first 2 shown]
	v_add_f64 v[8:9], v[8:9], v[20:21]
	s_mov_b32 s0, 0
	v_fract_f64_e32 v[26:27], v[22:23]
	v_add_f64 v[6:7], v[8:9], v[6:7]
	v_fma_f64 v[8:9], v[14:15], v[12:13], -v[28:29]
	s_mov_b32 s1, 0x7ff00000
	v_add_f64 v[16:17], v[18:19], -v[16:17]
	v_add_f64 v[6:7], v[8:9], v[6:7]
	v_ldexp_f64 v[8:9], v[26:27], 2
	v_cmp_neq_f64_e64 vcc, |v[22:23]|, s[0:1]
	v_add_f64 v[18:19], v[16:17], v[32:33]
	v_mov_b32_e32 v1, 0x40100000
	v_cndmask_b32_e32 v9, 0, v9, vcc
	v_cndmask_b32_e32 v8, 0, v8, vcc
	v_add_f64 v[12:13], v[18:19], v[8:9]
	v_cmp_gt_f64_e32 vcc, 0, v[12:13]
	v_mov_b32_e32 v12, 0
	v_add_f64 v[16:17], v[18:19], -v[16:17]
	v_cndmask_b32_e32 v13, 0, v1, vcc
	v_add_f64 v[8:9], v[8:9], v[12:13]
	v_add_f64 v[14:15], v[18:19], v[8:9]
	v_cvt_i32_f64_e32 v1, v[14:15]
	v_cvt_f64_i32_e32 v[14:15], v1
	v_add_f64 v[8:9], v[8:9], -v[14:15]
	v_add_f64 v[14:15], v[18:19], v[8:9]
	v_cmp_le_f64_e32 vcc, 0.5, v[14:15]
	v_add_f64 v[16:17], v[32:33], -v[16:17]
	v_add_f64 v[8:9], v[14:15], -v[8:9]
	v_addc_co_u32_e64 v25, s[0:1], 0, v1, vcc
	v_mov_b32_e32 v1, 0x3ff00000
	v_add_f64 v[6:7], v[16:17], v[6:7]
	v_add_f64 v[8:9], v[18:19], -v[8:9]
	v_cndmask_b32_e32 v13, 0, v1, vcc
	v_add_f64 v[6:7], v[6:7], v[8:9]
	v_add_f64 v[8:9], v[14:15], -v[12:13]
	v_add_f64 v[12:13], v[8:9], v[6:7]
	v_add_f64 v[8:9], v[12:13], -v[8:9]
	s_mov_b32 s11, 0x3ff921fb
	v_add_f64 v[6:7], v[6:7], -v[8:9]
	v_mul_f64 v[8:9], v[12:13], s[10:11]
	s_mov_b32 s0, 0x33145c07
	v_fma_f64 v[14:15], v[12:13], s[10:11], -v[8:9]
	s_mov_b32 s1, 0x3c91a626
	v_fmac_f64_e32 v[14:15], s[0:1], v[12:13]
	v_fmac_f64_e32 v[14:15], s[10:11], v[6:7]
	v_add_f64 v[12:13], v[8:9], v[14:15]
	v_add_f64 v[6:7], v[12:13], -v[8:9]
	v_add_f64 v[14:15], v[14:15], -v[6:7]
	s_andn2_saveexec_b64 s[0:1], s[12:13]
	s_cbranch_execz .LBB7_211
	s_branch .LBB7_210
.LBB7_205:
	s_andn2_saveexec_b64 s[0:1], s[12:13]
	s_cbranch_execz .LBB7_207
.LBB7_206:
	s_mov_b32 s10, 0x6dc9c883
	s_mov_b32 s11, 0x3fe45f30
	v_mul_f64 v[6:7], |v[4:5]|, s[10:11]
	s_mov_b32 s10, 0x54442d18
	v_rndne_f64_e32 v[6:7], v[6:7]
	s_mov_b32 s11, 0xbff921fb
	v_fma_f64 v[8:9], v[6:7], s[10:11], |v[4:5]|
	s_mov_b32 s11, 0xbc91a626
	s_mov_b32 s10, 0x33145c00
	v_mul_f64 v[12:13], v[6:7], s[10:11]
	v_add_f64 v[18:19], v[8:9], v[12:13]
	v_fma_f64 v[14:15], s[10:11], v[6:7], v[8:9]
	s_mov_b32 s11, 0x3c91a626
	v_add_f64 v[8:9], v[8:9], -v[18:19]
	v_fma_f64 v[16:17], s[10:11], v[6:7], v[12:13]
	v_add_f64 v[8:9], v[8:9], v[12:13]
	v_add_f64 v[12:13], v[18:19], -v[14:15]
	v_add_f64 v[8:9], v[12:13], v[8:9]
	s_mov_b32 s10, 0x252049c0
	v_add_f64 v[8:9], v[8:9], -v[16:17]
	s_mov_b32 s11, 0xb97b839a
	v_fmac_f64_e32 v[8:9], s[10:11], v[6:7]
	v_add_f64 v[12:13], v[14:15], v[8:9]
	v_add_f64 v[14:15], v[12:13], -v[14:15]
	v_add_f64 v[14:15], v[8:9], -v[14:15]
	v_cvt_i32_f64_e32 v25, v[6:7]
.LBB7_207:
	s_or_b64 exec, exec, s[0:1]
                                        ; implicit-def: $vgpr1
                                        ; implicit-def: $vgpr6_vgpr7
                                        ; implicit-def: $vgpr8_vgpr9
	s_and_saveexec_b64 s[0:1], s[8:9]
	s_xor_b64 s[8:9], exec, s[0:1]
	s_cbranch_execz .LBB7_213
; %bb.208:
	s_mov_b32 s0, 0
	s_mov_b32 s1, 0x7b000000
	s_movk_i32 s10, 0xff80
	v_and_b32_e32 v1, 0x7fffffff, v5
	v_ldexp_f64 v[16:17], |v[4:5]|, s10
	v_cmp_ge_f64_e64 vcc, |v[4:5]|, s[0:1]
	v_trig_preop_f64 v[6:7], |v[4:5]|, 0
	v_trig_preop_f64 v[8:9], |v[4:5]|, 1
	v_cndmask_b32_e32 v17, v1, v17, vcc
	v_cndmask_b32_e32 v16, v4, v16, vcc
	v_mul_f64 v[20:21], v[6:7], v[16:17]
	v_mul_f64 v[18:19], v[8:9], v[16:17]
	v_fma_f64 v[6:7], v[6:7], v[16:17], -v[20:21]
	v_add_f64 v[22:23], v[18:19], v[6:7]
	v_add_f64 v[32:33], v[22:23], -v[18:19]
	v_add_f64 v[6:7], v[6:7], -v[32:33]
	;; [unrolled: 1-line block ×4, first 2 shown]
	v_fma_f64 v[8:9], v[8:9], v[16:17], -v[18:19]
	v_trig_preop_f64 v[18:19], |v[4:5]|, 2
	v_add_f64 v[6:7], v[6:7], v[32:33]
	v_mul_f64 v[32:33], v[18:19], v[16:17]
	v_add_f64 v[34:35], v[32:33], v[8:9]
	v_add_f64 v[26:27], v[20:21], v[22:23]
	;; [unrolled: 1-line block ×3, first 2 shown]
	v_ldexp_f64 v[28:29], v[26:27], -2
	v_add_f64 v[20:21], v[26:27], -v[20:21]
	v_add_f64 v[26:27], v[36:37], -v[34:35]
	;; [unrolled: 1-line block ×5, first 2 shown]
	v_add_f64 v[6:7], v[6:7], v[26:27]
	v_add_f64 v[26:27], v[34:35], -v[32:33]
	v_add_f64 v[8:9], v[8:9], -v[26:27]
	;; [unrolled: 1-line block ×4, first 2 shown]
	v_add_f64 v[8:9], v[8:9], v[26:27]
	s_mov_b32 s0, 0
	v_fract_f64_e32 v[30:31], v[28:29]
	v_add_f64 v[6:7], v[8:9], v[6:7]
	v_fma_f64 v[8:9], v[18:19], v[16:17], -v[32:33]
	s_mov_b32 s1, 0x7ff00000
	v_add_f64 v[20:21], v[22:23], -v[20:21]
	v_add_f64 v[6:7], v[8:9], v[6:7]
	v_ldexp_f64 v[8:9], v[30:31], 2
	v_cmp_neq_f64_e64 vcc, |v[28:29]|, s[0:1]
	v_add_f64 v[22:23], v[20:21], v[36:37]
	v_mov_b32_e32 v1, 0x40100000
	v_cndmask_b32_e32 v9, 0, v9, vcc
	v_cndmask_b32_e32 v8, 0, v8, vcc
	v_add_f64 v[16:17], v[22:23], v[8:9]
	v_cmp_gt_f64_e32 vcc, 0, v[16:17]
	v_mov_b32_e32 v16, 0
	v_add_f64 v[20:21], v[22:23], -v[20:21]
	v_cndmask_b32_e32 v17, 0, v1, vcc
	v_add_f64 v[8:9], v[8:9], v[16:17]
	v_add_f64 v[18:19], v[22:23], v[8:9]
	v_cvt_i32_f64_e32 v1, v[18:19]
	v_cvt_f64_i32_e32 v[18:19], v1
	v_add_f64 v[8:9], v[8:9], -v[18:19]
	v_add_f64 v[18:19], v[22:23], v[8:9]
	v_add_f64 v[20:21], v[36:37], -v[20:21]
	v_add_f64 v[8:9], v[18:19], -v[8:9]
	v_add_f64 v[6:7], v[20:21], v[6:7]
	v_add_f64 v[8:9], v[22:23], -v[8:9]
	v_add_f64 v[6:7], v[6:7], v[8:9]
	v_cmp_le_f64_e32 vcc, 0.5, v[18:19]
	v_mov_b32_e32 v8, 0x3ff00000
	s_mov_b32 s10, 0x33145c07
	v_cndmask_b32_e32 v17, 0, v8, vcc
	v_addc_co_u32_e64 v1, s[0:1], 0, v1, vcc
	v_add_f64 v[8:9], v[18:19], -v[16:17]
	v_add_f64 v[16:17], v[8:9], v[6:7]
	s_mov_b32 s0, 0x54442d18
	v_add_f64 v[8:9], v[16:17], -v[8:9]
	s_mov_b32 s1, 0x3ff921fb
	v_add_f64 v[6:7], v[6:7], -v[8:9]
	v_mul_f64 v[8:9], v[16:17], s[0:1]
	v_fma_f64 v[18:19], v[16:17], s[0:1], -v[8:9]
	s_mov_b32 s11, 0x3c91a626
	v_fmac_f64_e32 v[18:19], s[10:11], v[16:17]
	v_fmac_f64_e32 v[18:19], s[0:1], v[6:7]
	v_add_f64 v[6:7], v[8:9], v[18:19]
	v_add_f64 v[8:9], v[6:7], -v[8:9]
	v_add_f64 v[8:9], v[18:19], -v[8:9]
	s_andn2_saveexec_b64 s[0:1], s[8:9]
	s_cbranch_execnz .LBB7_214
	s_branch .LBB7_215
.LBB7_209:
	s_andn2_saveexec_b64 s[0:1], s[12:13]
	s_cbranch_execz .LBB7_211
.LBB7_210:
	s_mov_b32 s10, 0x6dc9c883
	s_mov_b32 s11, 0x3fe45f30
	v_mul_f64 v[6:7], |v[4:5]|, s[10:11]
	s_mov_b32 s10, 0x54442d18
	v_rndne_f64_e32 v[6:7], v[6:7]
	s_mov_b32 s11, 0xbff921fb
	v_fma_f64 v[8:9], v[6:7], s[10:11], |v[4:5]|
	s_mov_b32 s11, 0xbc91a626
	s_mov_b32 s10, 0x33145c00
	v_mul_f64 v[12:13], v[6:7], s[10:11]
	v_add_f64 v[18:19], v[8:9], v[12:13]
	v_fma_f64 v[14:15], s[10:11], v[6:7], v[8:9]
	s_mov_b32 s11, 0x3c91a626
	v_add_f64 v[8:9], v[8:9], -v[18:19]
	v_fma_f64 v[16:17], s[10:11], v[6:7], v[12:13]
	v_add_f64 v[8:9], v[8:9], v[12:13]
	v_add_f64 v[12:13], v[18:19], -v[14:15]
	v_add_f64 v[8:9], v[12:13], v[8:9]
	s_mov_b32 s10, 0x252049c0
	v_add_f64 v[8:9], v[8:9], -v[16:17]
	s_mov_b32 s11, 0xb97b839a
	v_fmac_f64_e32 v[8:9], s[10:11], v[6:7]
	v_add_f64 v[12:13], v[14:15], v[8:9]
	v_add_f64 v[14:15], v[12:13], -v[14:15]
	v_add_f64 v[14:15], v[8:9], -v[14:15]
	v_cvt_i32_f64_e32 v25, v[6:7]
.LBB7_211:
	s_or_b64 exec, exec, s[0:1]
                                        ; implicit-def: $vgpr1
                                        ; implicit-def: $vgpr6_vgpr7
                                        ; implicit-def: $vgpr8_vgpr9
	s_and_saveexec_b64 s[0:1], s[8:9]
	s_xor_b64 s[8:9], exec, s[0:1]
	s_cbranch_execz .LBB7_248
; %bb.212:
	s_mov_b32 s0, 0
	s_mov_b32 s1, 0x7b000000
	s_movk_i32 s10, 0xff80
	v_and_b32_e32 v1, 0x7fffffff, v5
	v_ldexp_f64 v[16:17], |v[4:5]|, s10
	v_cmp_ge_f64_e64 vcc, |v[4:5]|, s[0:1]
	v_trig_preop_f64 v[6:7], |v[4:5]|, 0
	v_trig_preop_f64 v[8:9], |v[4:5]|, 1
	v_cndmask_b32_e32 v17, v1, v17, vcc
	v_cndmask_b32_e32 v16, v4, v16, vcc
	v_mul_f64 v[20:21], v[6:7], v[16:17]
	v_mul_f64 v[18:19], v[8:9], v[16:17]
	v_fma_f64 v[6:7], v[6:7], v[16:17], -v[20:21]
	v_add_f64 v[22:23], v[18:19], v[6:7]
	v_add_f64 v[32:33], v[22:23], -v[18:19]
	v_add_f64 v[6:7], v[6:7], -v[32:33]
	;; [unrolled: 1-line block ×4, first 2 shown]
	v_fma_f64 v[8:9], v[8:9], v[16:17], -v[18:19]
	v_trig_preop_f64 v[18:19], |v[4:5]|, 2
	v_add_f64 v[6:7], v[6:7], v[32:33]
	v_mul_f64 v[32:33], v[18:19], v[16:17]
	v_add_f64 v[34:35], v[32:33], v[8:9]
	v_add_f64 v[26:27], v[20:21], v[22:23]
	;; [unrolled: 1-line block ×3, first 2 shown]
	v_ldexp_f64 v[28:29], v[26:27], -2
	v_add_f64 v[20:21], v[26:27], -v[20:21]
	v_add_f64 v[26:27], v[36:37], -v[34:35]
	;; [unrolled: 1-line block ×5, first 2 shown]
	v_add_f64 v[6:7], v[6:7], v[26:27]
	v_add_f64 v[26:27], v[34:35], -v[32:33]
	v_add_f64 v[8:9], v[8:9], -v[26:27]
	;; [unrolled: 1-line block ×4, first 2 shown]
	v_add_f64 v[8:9], v[8:9], v[26:27]
	s_mov_b32 s0, 0
	v_fract_f64_e32 v[30:31], v[28:29]
	v_add_f64 v[6:7], v[8:9], v[6:7]
	v_fma_f64 v[8:9], v[18:19], v[16:17], -v[32:33]
	s_mov_b32 s1, 0x7ff00000
	v_add_f64 v[20:21], v[22:23], -v[20:21]
	v_add_f64 v[6:7], v[8:9], v[6:7]
	v_ldexp_f64 v[8:9], v[30:31], 2
	v_cmp_neq_f64_e64 vcc, |v[28:29]|, s[0:1]
	v_add_f64 v[22:23], v[20:21], v[36:37]
	v_mov_b32_e32 v1, 0x40100000
	v_cndmask_b32_e32 v9, 0, v9, vcc
	v_cndmask_b32_e32 v8, 0, v8, vcc
	v_add_f64 v[16:17], v[22:23], v[8:9]
	v_cmp_gt_f64_e32 vcc, 0, v[16:17]
	v_mov_b32_e32 v16, 0
	v_add_f64 v[20:21], v[22:23], -v[20:21]
	v_cndmask_b32_e32 v17, 0, v1, vcc
	v_add_f64 v[8:9], v[8:9], v[16:17]
	v_add_f64 v[18:19], v[22:23], v[8:9]
	v_cvt_i32_f64_e32 v1, v[18:19]
	v_cvt_f64_i32_e32 v[18:19], v1
	v_add_f64 v[8:9], v[8:9], -v[18:19]
	v_add_f64 v[18:19], v[22:23], v[8:9]
	v_add_f64 v[20:21], v[36:37], -v[20:21]
	v_add_f64 v[8:9], v[18:19], -v[8:9]
	v_add_f64 v[6:7], v[20:21], v[6:7]
	v_add_f64 v[8:9], v[22:23], -v[8:9]
	v_add_f64 v[6:7], v[6:7], v[8:9]
	v_cmp_le_f64_e32 vcc, 0.5, v[18:19]
	v_mov_b32_e32 v8, 0x3ff00000
	s_mov_b32 s10, 0x33145c07
	v_cndmask_b32_e32 v17, 0, v8, vcc
	v_addc_co_u32_e64 v1, s[0:1], 0, v1, vcc
	v_add_f64 v[8:9], v[18:19], -v[16:17]
	v_add_f64 v[16:17], v[8:9], v[6:7]
	s_mov_b32 s0, 0x54442d18
	v_add_f64 v[8:9], v[16:17], -v[8:9]
	s_mov_b32 s1, 0x3ff921fb
	v_add_f64 v[6:7], v[6:7], -v[8:9]
	v_mul_f64 v[8:9], v[16:17], s[0:1]
	v_fma_f64 v[18:19], v[16:17], s[0:1], -v[8:9]
	s_mov_b32 s11, 0x3c91a626
	v_fmac_f64_e32 v[18:19], s[10:11], v[16:17]
	v_fmac_f64_e32 v[18:19], s[0:1], v[6:7]
	v_add_f64 v[6:7], v[8:9], v[18:19]
	v_add_f64 v[8:9], v[6:7], -v[8:9]
	v_add_f64 v[8:9], v[18:19], -v[8:9]
	s_andn2_saveexec_b64 s[0:1], s[8:9]
	s_cbranch_execnz .LBB7_249
	s_branch .LBB7_250
.LBB7_213:
	s_andn2_saveexec_b64 s[0:1], s[8:9]
	s_cbranch_execz .LBB7_215
.LBB7_214:
	s_mov_b32 s8, 0x6dc9c883
	s_mov_b32 s9, 0x3fe45f30
	v_mul_f64 v[6:7], |v[4:5]|, s[8:9]
	s_mov_b32 s8, 0x54442d18
	v_rndne_f64_e32 v[16:17], v[6:7]
	s_mov_b32 s9, 0xbff921fb
	v_fma_f64 v[6:7], v[16:17], s[8:9], |v[4:5]|
	s_mov_b32 s9, 0xbc91a626
	s_mov_b32 s8, 0x33145c00
	v_mul_f64 v[18:19], v[16:17], s[8:9]
	v_add_f64 v[22:23], v[6:7], v[18:19]
	v_fma_f64 v[8:9], s[8:9], v[16:17], v[6:7]
	s_mov_b32 s9, 0x3c91a626
	v_add_f64 v[6:7], v[6:7], -v[22:23]
	v_fma_f64 v[20:21], s[8:9], v[16:17], v[18:19]
	v_add_f64 v[6:7], v[6:7], v[18:19]
	v_add_f64 v[18:19], v[22:23], -v[8:9]
	v_add_f64 v[6:7], v[18:19], v[6:7]
	s_mov_b32 s8, 0x252049c0
	v_add_f64 v[18:19], v[6:7], -v[20:21]
	s_mov_b32 s9, 0xb97b839a
	v_fmac_f64_e32 v[18:19], s[8:9], v[16:17]
	v_add_f64 v[6:7], v[8:9], v[18:19]
	v_add_f64 v[8:9], v[6:7], -v[8:9]
	v_add_f64 v[8:9], v[18:19], -v[8:9]
	v_cvt_i32_f64_e32 v1, v[16:17]
.LBB7_215:
	s_or_b64 exec, exec, s[0:1]
	v_div_scale_f64 v[16:17], s[0:1], v[10:11], v[10:11], 1.0
	v_rcp_f64_e32 v[18:19], v[16:17]
	v_div_scale_f64 v[20:21], vcc, 1.0, v[10:11], 1.0
	v_mov_b32_e32 v26, 0xaf76e73b
	v_fma_f64 v[22:23], -v[16:17], v[18:19], 1.0
	v_fmac_f64_e32 v[18:19], v[18:19], v[22:23]
	v_fma_f64 v[22:23], -v[16:17], v[18:19], 1.0
	v_fmac_f64_e32 v[18:19], v[18:19], v[22:23]
	v_mul_f64 v[22:23], v[20:21], v[18:19]
	v_fma_f64 v[16:17], -v[16:17], v[22:23], v[20:21]
	v_div_fmas_f64 v[16:17], v[16:17], v[18:19], v[22:23]
	v_div_fixup_f64 v[10:11], v[16:17], v[10:11], 1.0
	v_mul_f64 v[16:17], v[10:11], v[10:11]
	v_mov_b32_e32 v18, 0xd50ae6fb
	v_mov_b32_e32 v19, 0xbfc0db6c
	v_fmac_f64_e32 v[18:19], 0, v[16:17]
	v_mov_b32_e32 v20, 0x98566852
	v_mov_b32_e32 v21, 0xbfe40bee
	v_fmac_f64_e32 v[20:21], v[16:17], v[18:19]
	;; [unrolled: 3-line block ×15, first 2 shown]
	v_mov_b32_e32 v27, 0x3f13c8d7
	v_fmac_f64_e32 v[26:27], v[16:17], v[18:19]
	v_mov_b32_e32 v22, 0xb99518a7
	v_mov_b32_e32 v23, 0x3e9e52b9
	v_mul_f64 v[28:29], v[12:13], v[12:13]
	v_fmac_f64_e32 v[22:23], v[16:17], v[26:27]
	v_mov_b32_e32 v26, 0xf68ea2d2
	v_mov_b32_e32 v27, 0xbe52041c
	v_mul_f64 v[18:19], v[28:29], 0.5
	v_fmac_f64_e32 v[26:27], v[16:17], v[20:21]
	v_add_f64 v[20:21], -v[18:19], 1.0
	s_mov_b32 s0, 0x9037ab78
	v_add_f64 v[30:31], -v[20:21], 1.0
	s_mov_b32 s1, 0x3e21eeb6
	s_mov_b32 s8, 0x46cc5e42
	v_add_f64 v[30:31], v[30:31], -v[18:19]
	s_mov_b32 s9, 0xbda907db
	v_mov_b64_e32 v[18:19], s[0:1]
	s_mov_b32 s10, 0xa17f65f6
	v_fma_f64 v[34:35], s[8:9], v[28:29], v[18:19]
	s_mov_b32 s11, 0xbe927e4f
	s_mov_b32 s12, 0x19f4ec90
	v_fma_f64 v[34:35], v[28:29], v[34:35], s[10:11]
	s_mov_b32 s13, 0x3efa01a0
	;; [unrolled: 3-line block ×4, first 2 shown]
	v_mul_f64 v[32:33], v[28:29], v[28:29]
	v_fma_f64 v[34:35], v[28:29], v[34:35], s[28:29]
	v_fma_f64 v[30:31], v[12:13], -v[14:15], v[30:31]
	s_mov_b32 s0, 0xb42fdfa7
	v_fmac_f64_e32 v[30:31], v[32:33], v[34:35]
	s_mov_b32 s1, 0xbe5ae600
	s_mov_b32 s30, 0xf9a43bb8
	v_add_f64 v[30:31], v[20:21], v[30:31]
	s_mov_b32 s31, 0x3de5e0b2
	v_mov_b64_e32 v[20:21], s[0:1]
	s_mov_b32 s50, 0x796cde01
	v_fma_f64 v[32:33], s[30:31], v[28:29], v[20:21]
	s_mov_b32 s51, 0x3ec71de3
	s_mov_b32 s52, 0x19e83e5c
	v_fma_f64 v[32:33], v[28:29], v[32:33], s[50:51]
	s_mov_b32 s53, 0xbf2a01a0
	;; [unrolled: 3-line block ×3, first 2 shown]
	v_fma_f64 v[32:33], v[28:29], v[32:33], s[54:55]
	v_mul_f64 v[34:35], v[12:13], -v[28:29]
	v_mul_f64 v[36:37], v[14:15], 0.5
	v_fmac_f64_e32 v[36:37], v[34:35], v[32:33]
	v_fma_f64 v[14:15], v[28:29], v[36:37], -v[14:15]
	s_mov_b32 s57, 0xbfc55555
	s_mov_b32 s56, s28
	v_fmac_f64_e32 v[14:15], s[56:57], v[34:35]
	v_add_f64 v[12:13], v[12:13], -v[14:15]
	v_and_b32_e32 v14, 1, v25
	v_cmp_eq_u32_e32 vcc, 0, v14
	s_brev_b32 s61, 1
	s_movk_i32 s62, 0x1f8
	v_cndmask_b32_e32 v28, v30, v12, vcc
	v_cndmask_b32_e32 v12, v31, v13, vcc
	v_lshlrev_b32_e32 v13, 30, v25
	v_xor_b32_e32 v13, v13, v5
	v_bitop3_b32 v25, v12, v13, s61 bitop3:0x78
	v_mul_f64 v[12:13], v[16:17], v[26:27]
	v_div_scale_f64 v[14:15], s[0:1], v[22:23], v[22:23], v[12:13]
	v_rcp_f64_e32 v[26:27], v[14:15]
	v_cmp_class_f64_e64 s[0:1], v[4:5], s62
	s_mov_b32 s62, 0
	s_brev_b32 s63, 8
	v_cndmask_b32_e64 v4, 0, v28, s[0:1]
	v_fma_f64 v[28:29], -v[14:15], v[26:27], 1.0
	v_fmac_f64_e32 v[26:27], v[26:27], v[28:29]
	v_fma_f64 v[28:29], -v[14:15], v[26:27], 1.0
	v_fmac_f64_e32 v[26:27], v[26:27], v[28:29]
	v_div_scale_f64 v[28:29], vcc, v[12:13], v[22:23], v[12:13]
	v_mul_f64 v[30:31], v[28:29], v[26:27]
	v_fma_f64 v[14:15], -v[14:15], v[30:31], v[28:29]
	v_mov_b32_e32 v28, 0xdb0724e8
	s_nop 0
	v_div_fmas_f64 v[14:15], v[14:15], v[26:27], v[30:31]
	v_div_fixup_f64 v[12:13], v[14:15], v[22:23], v[12:13]
	v_mov_b32_e32 v14, 0xddcfbbde
	v_mov_b32_e32 v15, 0x3f943525
	v_fmac_f64_e32 v[14:15], 0, v[16:17]
	v_mov_b32_e32 v22, 0x6437b7
	v_mov_b32_e32 v23, 0x3fd907d5
	v_fmac_f64_e32 v[22:23], v[16:17], v[14:15]
	;; [unrolled: 3-line block ×19, first 2 shown]
	v_mov_b32_e32 v22, 0x100
	v_cmp_gt_f64_e32 vcc, s[62:63], v[2:3]
	v_mov_b32_e32 v29, 0x3eb3a845
	v_fmac_f64_e32 v[28:29], v[16:17], v[26:27]
	v_cndmask_b32_e32 v22, 0, v22, vcc
	v_ldexp_f64 v[2:3], v[2:3], v22
	v_rsq_f64_e32 v[22:23], v[2:3]
	v_mov_b32_e32 v34, 0x7ff80000
	v_cndmask_b32_e64 v5, v34, v25, s[0:1]
	v_mov_b32_e32 v25, 0x260
	v_mul_f64 v[26:27], v[2:3], v[22:23]
	v_mul_f64 v[22:23], v[22:23], 0.5
	v_fma_f64 v[30:31], -v[22:23], v[26:27], 0.5
	v_fmac_f64_e32 v[26:27], v[26:27], v[30:31]
	v_fma_f64 v[32:33], -v[26:27], v[26:27], v[2:3]
	v_fmac_f64_e32 v[22:23], v[22:23], v[30:31]
	v_fmac_f64_e32 v[26:27], v[32:33], v[22:23]
	v_fma_f64 v[30:31], -v[26:27], v[26:27], v[2:3]
	v_fmac_f64_e32 v[26:27], v[30:31], v[22:23]
	v_mov_b32_e32 v22, 0xffffff80
	v_cndmask_b32_e32 v22, 0, v22, vcc
	v_ldexp_f64 v[22:23], v[26:27], v22
	v_cmp_class_f64_e32 vcc, v[2:3], v25
	s_mov_b32 s62, 0x50429b6d
	s_mov_b32 s63, 0x3fe20dd7
	v_cndmask_b32_e32 v3, v23, v3, vcc
	v_cndmask_b32_e32 v2, v22, v2, vcc
	v_div_scale_f64 v[22:23], s[64:65], v[2:3], v[2:3], s[62:63]
	v_rcp_f64_e32 v[26:27], v[22:23]
	v_mov_b32_e32 v30, 0x3dd589d4
	v_mov_b32_e32 v31, 0x3e351fc7
	v_fmac_f64_e32 v[30:31], v[16:17], v[28:29]
	v_fma_f64 v[16:17], -v[22:23], v[26:27], 1.0
	v_fmac_f64_e32 v[26:27], v[26:27], v[16:17]
	v_fma_f64 v[16:17], -v[22:23], v[26:27], 1.0
	v_fmac_f64_e32 v[26:27], v[26:27], v[16:17]
	v_div_scale_f64 v[16:17], vcc, s[62:63], v[2:3], s[62:63]
	v_mul_f64 v[28:29], v[16:17], v[26:27]
	v_fma_f64 v[16:17], -v[22:23], v[28:29], v[16:17]
	v_add_f64 v[12:13], v[12:13], 1.0
	s_nop 0
	v_div_fmas_f64 v[16:17], v[16:17], v[26:27], v[28:29]
	v_div_fixup_f64 v[2:3], v[16:17], v[2:3], s[62:63]
	v_mul_f64 v[16:17], v[6:7], v[6:7]
	v_mul_f64 v[22:23], v[16:17], 0.5
	v_fmac_f64_e32 v[18:19], s[8:9], v[16:17]
	v_add_f64 v[26:27], -v[22:23], 1.0
	v_fma_f64 v[18:19], v[16:17], v[18:19], s[10:11]
	v_add_f64 v[28:29], -v[26:27], 1.0
	v_fma_f64 v[18:19], v[16:17], v[18:19], s[12:13]
	v_add_f64 v[22:23], v[28:29], -v[22:23]
	v_fma_f64 v[18:19], v[16:17], v[18:19], s[14:15]
	v_fmac_f64_e32 v[20:21], s[30:31], v[16:17]
	v_mul_f64 v[28:29], v[16:17], v[16:17]
	v_fma_f64 v[18:19], v[16:17], v[18:19], s[28:29]
	v_fma_f64 v[22:23], v[6:7], -v[8:9], v[22:23]
	v_fma_f64 v[20:21], v[16:17], v[20:21], s[50:51]
	v_fmac_f64_e32 v[22:23], v[28:29], v[18:19]
	v_fma_f64 v[20:21], v[16:17], v[20:21], s[52:53]
	v_add_f64 v[18:19], v[26:27], v[22:23]
	v_fma_f64 v[20:21], v[16:17], v[20:21], s[54:55]
	v_mul_f64 v[22:23], v[6:7], -v[16:17]
	v_mul_f64 v[26:27], v[8:9], 0.5
	v_fmac_f64_e32 v[26:27], v[22:23], v[20:21]
	v_fma_f64 v[8:9], v[16:17], v[26:27], -v[8:9]
	v_fmac_f64_e32 v[8:9], s[56:57], v[22:23]
	v_add_f64 v[6:7], v[6:7], -v[8:9]
	v_and_b32_e32 v8, 1, v1
	v_xor_b32_e32 v7, 0x80000000, v7
	v_cmp_eq_u32_e32 vcc, 0, v8
	v_lshlrev_b32_e32 v1, 30, v1
	s_nop 0
	v_cndmask_b32_e32 v16, v6, v18, vcc
	v_cndmask_b32_e32 v17, v7, v19, vcc
	v_mul_f64 v[6:7], v[10:11], v[14:15]
	v_div_scale_f64 v[8:9], s[8:9], v[30:31], v[30:31], v[6:7]
	v_rcp_f64_e32 v[10:11], v[8:9]
	v_bitop3_b32 v1, v17, v1, s61 bitop3:0x78
	v_cndmask_b32_e64 v14, 0, v16, s[0:1]
	v_cndmask_b32_e64 v15, v34, v1, s[0:1]
	v_fma_f64 v[16:17], -v[8:9], v[10:11], 1.0
	v_fmac_f64_e32 v[10:11], v[10:11], v[16:17]
	v_fma_f64 v[16:17], -v[8:9], v[10:11], 1.0
	v_fmac_f64_e32 v[10:11], v[10:11], v[16:17]
	v_div_scale_f64 v[16:17], vcc, v[6:7], v[30:31], v[6:7]
	v_mul_f64 v[18:19], v[16:17], v[10:11]
	v_fma_f64 v[8:9], -v[8:9], v[18:19], v[16:17]
	s_nop 1
	v_div_fmas_f64 v[8:9], v[8:9], v[10:11], v[18:19]
	v_div_fixup_f64 v[6:7], v[8:9], v[30:31], v[6:7]
	v_mul_f64 v[6:7], v[6:7], v[14:15]
	v_fma_f64 v[4:5], v[12:13], v[4:5], -v[6:7]
	v_mul_f64 v[4:5], v[2:3], v[4:5]
.LBB7_216:
	s_or_b64 exec, exec, s[6:7]
.LBB7_217:
	s_or_b64 exec, exec, s[4:5]
.LBB7_218:
	s_or_b64 exec, exec, s[2:3]
	v_add_u32_e32 v24, 0x80, v24
	global_store_dwordx2 v0, v[4:5], s[16:17]
	s_or_b64 exec, exec, s[48:49]
	v_cmp_gt_i32_e32 vcc, s59, v24
	s_and_saveexec_b64 s[48:49], vcc
	s_cbranch_execnz .LBB7_16
.LBB7_219:
	s_or_b64 exec, exec, s[48:49]
	v_cmp_gt_i32_e32 vcc, s59, v24
	s_and_saveexec_b64 s[48:49], vcc
	s_cbranch_execz .LBB7_254
.LBB7_220:
	s_andn2_b64 vcc, exec, s[36:37]
	s_cbranch_vccnz .LBB7_226
; %bb.221:
	s_andn2_b64 vcc, exec, s[46:47]
	s_cbranch_vccnz .LBB7_227
; %bb.222:
	s_add_i32 s55, s60, 1
	s_cmp_eq_u32 s58, 2
	s_cbranch_scc1 .LBB7_228
; %bb.223:
	s_and_b32 s54, s55, 28
	s_mov_b32 s56, 0
	v_mov_b32_e32 v0, 0
	v_mov_b32_e32 v2, 0
	s_mov_b64 s[50:51], s[34:35]
	s_mov_b64 s[52:53], s[44:45]
	v_mov_b32_e32 v4, v24
.LBB7_224:                              ; =>This Inner Loop Header: Depth=1
	s_load_dwordx8 s[8:15], s[50:51], 0x4
	s_load_dwordx4 s[28:31], s[50:51], 0x24
	s_load_dwordx8 s[0:7], s[52:53], 0x0
	s_add_u32 s50, s50, 48
	s_addc_u32 s51, s51, 0
	s_waitcnt lgkmcnt(0)
	v_mul_hi_u32 v1, s9, v4
	v_add_u32_e32 v1, v4, v1
	v_lshrrev_b32_e32 v1, s10, v1
	v_mul_lo_u32 v3, v1, s8
	v_mul_hi_u32 v5, s12, v1
	v_sub_u32_e32 v3, v4, v3
	v_add_u32_e32 v4, v1, v5
	v_lshrrev_b32_e32 v4, s13, v4
	v_mul_lo_u32 v6, v4, s11
	v_mul_hi_u32 v7, s15, v4
	v_sub_u32_e32 v1, v1, v6
	v_add_u32_e32 v6, v4, v7
	v_mul_lo_u32 v5, v3, s1
	v_mul_lo_u32 v3, v3, s0
	;; [unrolled: 1-line block ×4, first 2 shown]
	v_lshrrev_b32_e32 v6, s28, v6
	v_add3_u32 v0, v3, v0, v1
	v_mul_hi_u32 v3, s30, v6
	v_add3_u32 v1, v5, v2, v7
	v_mul_lo_u32 v2, v6, s14
	v_add_u32_e32 v3, v6, v3
	v_sub_u32_e32 v2, v4, v2
	v_lshrrev_b32_e32 v4, s31, v3
	s_add_i32 s56, s56, 4
	v_mul_lo_u32 v3, v4, s29
	s_add_u32 s52, s52, 32
	v_sub_u32_e32 v3, v6, v3
	s_addc_u32 s53, s53, 0
	v_mul_lo_u32 v5, v2, s4
	v_mul_lo_u32 v2, v2, s5
	;; [unrolled: 1-line block ×4, first 2 shown]
	s_cmp_eq_u32 s54, s56
	v_add3_u32 v2, v2, v1, v3
	v_add3_u32 v0, v5, v0, v6
	s_cbranch_scc0 .LBB7_224
; %bb.225:
	v_mov_b32_e32 v1, v2
	s_branch .LBB7_229
.LBB7_226:
                                        ; implicit-def: $vgpr2
                                        ; implicit-def: $vgpr0
	s_branch .LBB7_233
.LBB7_227:
	v_mov_b32_e32 v2, 0
	v_mov_b32_e32 v0, 0
	s_branch .LBB7_232
.LBB7_228:
	v_mov_b32_e32 v0, 0
	s_mov_b32 s54, 0
	v_mov_b32_e32 v1, v0
                                        ; implicit-def: $vgpr2
	v_mov_b32_e32 v4, v24
.LBB7_229:
	s_and_b32 s4, s55, 3
	s_cmp_eq_u32 s4, 0
	s_cbranch_scc1 .LBB7_232
; %bb.230:
	s_lshl_b32 s0, s54, 3
	s_add_u32 s0, s34, s0
	s_addc_u32 s1, s35, 0
	s_add_u32 s0, s0, 0xc4
	s_addc_u32 s1, s1, 0
	s_mul_i32 s2, s54, 12
	s_add_u32 s2, s34, s2
	s_addc_u32 s3, s35, 0
.LBB7_231:                              ; =>This Inner Loop Header: Depth=1
	s_load_dwordx2 s[6:7], s[2:3], 0x4
	s_load_dword s5, s[2:3], 0xc
	s_load_dwordx2 s[8:9], s[0:1], 0x0
	v_mov_b32_e32 v2, v1
	s_add_u32 s2, s2, 12
	s_waitcnt lgkmcnt(0)
	v_mul_hi_u32 v1, s7, v4
	v_add_u32_e32 v1, v4, v1
	v_lshrrev_b32_e32 v1, s5, v1
	s_addc_u32 s3, s3, 0
	v_mul_lo_u32 v3, v1, s6
	s_add_u32 s0, s0, 8
	v_sub_u32_e32 v5, v4, v3
	s_addc_u32 s1, s1, 0
	s_add_i32 s4, s4, -1
	v_mov_b32_e32 v4, v1
	v_mad_u64_u32 v[2:3], s[6:7], v5, s9, v[2:3]
	v_mad_u64_u32 v[0:1], s[6:7], v5, s8, v[0:1]
	s_cmp_lg_u32 s4, 0
	v_mov_b32_e32 v1, v2
	s_cbranch_scc1 .LBB7_231
.LBB7_232:
	s_cbranch_execnz .LBB7_235
.LBB7_233:
	s_waitcnt lgkmcnt(0)
	v_mul_hi_u32 v0, s25, v24
	v_add_u32_e32 v0, v24, v0
	v_lshrrev_b32_e32 v1, s26, v0
	v_mul_lo_u32 v0, v1, s24
	v_sub_u32_e32 v0, v24, v0
	v_mul_lo_u32 v2, v0, s21
	s_andn2_b64 vcc, exec, s[42:43]
	v_mul_lo_u32 v0, v0, s20
	s_cbranch_vccnz .LBB7_235
; %bb.234:
	v_mul_hi_u32 v3, s40, v1
	v_add_u32_e32 v3, v1, v3
	v_lshrrev_b32_e32 v3, s41, v3
	v_mul_lo_u32 v3, v3, s27
	v_sub_u32_e32 v3, v1, v3
	v_mad_u64_u32 v[0:1], s[0:1], v3, s22, v[0:1]
	v_mad_u64_u32 v[2:3], s[0:1], v3, s23, v[2:3]
.LBB7_235:
	s_waitcnt lgkmcnt(0)
	global_load_dwordx2 v[2:3], v2, s[18:19]
	s_mov_b32 s0, 0
	s_mov_b32 s1, 0x7ff00000
	v_mov_b32_e32 v4, 0
	v_mov_b32_e32 v5, 0x7ff80000
	s_waitcnt vmcnt(0)
	v_cmp_neq_f64_e64 s[0:1], |v[2:3]|, s[0:1]
	s_and_saveexec_b64 s[2:3], s[0:1]
	s_cbranch_execz .LBB7_266
; %bb.236:
	s_mov_b32 s0, 0x872b020c
	s_mov_b32 s1, 0x4059f916
	v_cmp_nlt_f64_e32 vcc, s[0:1], v[2:3]
	v_mov_b64_e32 v[4:5], 0
	s_and_saveexec_b64 s[4:5], vcc
	s_cbranch_execz .LBB7_265
; %bb.237:
	s_mov_b32 s1, 0xc000b851
	s_mov_b32 s0, 0xeb851eb8
	v_cmp_ngt_f64_e32 vcc, s[0:1], v[2:3]
                                        ; implicit-def: $vgpr4_vgpr5
	s_and_saveexec_b64 s[6:7], vcc
	s_xor_b64 s[6:7], exec, s[6:7]
	s_cbranch_execz .LBB7_245
; %bb.238:
	s_mov_b32 s1, 0x4000b851
	v_cmp_nle_f64_e64 s[8:9], s[0:1], v[2:3]
	v_cmp_le_f64_e32 vcc, s[0:1], v[2:3]
	v_mov_b64_e32 v[4:5], 0
	s_mov_b64 s[0:1], s[8:9]
	s_and_saveexec_b64 s[10:11], vcc
	s_cbranch_execz .LBB7_240
; %bb.239:
	s_mov_b32 s0, 0
	s_brev_b32 s1, 8
	v_mov_b32_e32 v1, 0x100
	v_cmp_gt_f64_e32 vcc, s[0:1], v[2:3]
	v_mov_b32_e32 v20, 0xffffff80
	v_mov_b32_e32 v21, 0x260
	v_cndmask_b32_e32 v4, 0, v1, vcc
	v_ldexp_f64 v[4:5], v[2:3], v4
	v_rsq_f64_e32 v[6:7], v[4:5]
	v_add_f64 v[8:9], v[2:3], v[2:3]
	s_mov_b32 s12, 0
	s_mov_b32 s13, 0x40080000
	v_mul_f64 v[10:11], v[4:5], v[6:7]
	v_mul_f64 v[6:7], v[6:7], 0.5
	v_fma_f64 v[12:13], -v[6:7], v[10:11], 0.5
	v_fmac_f64_e32 v[10:11], v[10:11], v[12:13]
	v_fma_f64 v[14:15], -v[10:11], v[10:11], v[4:5]
	v_fmac_f64_e32 v[6:7], v[6:7], v[12:13]
	v_fmac_f64_e32 v[10:11], v[14:15], v[6:7]
	v_fma_f64 v[12:13], -v[10:11], v[10:11], v[4:5]
	v_fmac_f64_e32 v[10:11], v[12:13], v[6:7]
	v_cndmask_b32_e32 v6, 0, v20, vcc
	v_ldexp_f64 v[6:7], v[10:11], v6
	v_cmp_class_f64_e32 vcc, v[4:5], v21
	s_nop 1
	v_cndmask_b32_e32 v7, v7, v5, vcc
	v_cndmask_b32_e32 v6, v6, v4, vcc
	v_mul_f64 v[4:5], v[8:9], v[6:7]
	v_div_scale_f64 v[8:9], s[14:15], s[12:13], s[12:13], v[4:5]
	v_rcp_f64_e32 v[10:11], v[8:9]
	s_nop 0
	v_fma_f64 v[12:13], -v[8:9], v[10:11], 1.0
	v_fmac_f64_e32 v[10:11], v[10:11], v[12:13]
	v_fma_f64 v[12:13], -v[8:9], v[10:11], 1.0
	v_fmac_f64_e32 v[10:11], v[10:11], v[12:13]
	v_div_scale_f64 v[12:13], vcc, v[4:5], s[12:13], v[4:5]
	v_mul_f64 v[14:15], v[12:13], v[10:11]
	v_fma_f64 v[8:9], -v[8:9], v[14:15], v[12:13]
	s_nop 1
	v_div_fmas_f64 v[8:9], v[8:9], v[10:11], v[14:15]
	v_div_fixup_f64 v[4:5], v[8:9], s[12:13], v[4:5]
	v_div_scale_f64 v[8:9], s[12:13], v[4:5], v[4:5], 1.0
	v_rcp_f64_e32 v[10:11], v[8:9]
	s_nop 0
	v_fma_f64 v[12:13], -v[8:9], v[10:11], 1.0
	v_fmac_f64_e32 v[10:11], v[10:11], v[12:13]
	v_fma_f64 v[12:13], -v[8:9], v[10:11], 1.0
	v_fmac_f64_e32 v[10:11], v[10:11], v[12:13]
	v_div_scale_f64 v[12:13], vcc, 1.0, v[4:5], 1.0
	v_mul_f64 v[14:15], v[12:13], v[10:11]
	v_fma_f64 v[8:9], -v[8:9], v[14:15], v[12:13]
	v_mov_b32_e32 v12, 0x871a9067
	s_nop 0
	v_div_fmas_f64 v[8:9], v[8:9], v[10:11], v[14:15]
	v_div_fixup_f64 v[8:9], v[8:9], v[4:5], 1.0
	v_mov_b32_e32 v10, 0x2537b658
	v_mov_b32_e32 v11, 0x3fd62dae
	v_fmac_f64_e32 v[10:11], 0, v[8:9]
	v_mov_b32_e32 v13, 0x402803e3
	v_fmac_f64_e32 v[12:13], v[8:9], v[10:11]
	v_mov_b32_e32 v10, 0xde2e1e3
	v_mov_b32_e32 v11, 0x405311e5
	v_fmac_f64_e32 v[10:11], v[8:9], v[12:13]
	v_mov_b32_e32 v12, 0xee40073c
	;; [unrolled: 3-line block ×12, first 2 shown]
	v_mov_b32_e32 v13, 0x402c311b
	v_fmac_f64_e32 v[12:13], v[8:9], v[14:15]
	v_fma_f64 v[12:13], v[8:9], v[12:13], 1.0
	v_fma_f64 v[8:9], v[8:9], v[10:11], 1.0
	v_div_scale_f64 v[10:11], s[12:13], v[12:13], v[12:13], v[8:9]
	v_rcp_f64_e32 v[14:15], v[10:11]
	s_nop 0
	v_fma_f64 v[16:17], -v[10:11], v[14:15], 1.0
	v_fmac_f64_e32 v[14:15], v[14:15], v[16:17]
	v_fma_f64 v[16:17], -v[10:11], v[14:15], 1.0
	v_fmac_f64_e32 v[14:15], v[14:15], v[16:17]
	v_div_scale_f64 v[16:17], vcc, v[8:9], v[12:13], v[8:9]
	v_mul_f64 v[18:19], v[16:17], v[14:15]
	v_fma_f64 v[10:11], -v[10:11], v[18:19], v[16:17]
	s_nop 1
	v_div_fmas_f64 v[10:11], v[10:11], v[14:15], v[18:19]
	v_cmp_gt_f64_e32 vcc, s[0:1], v[6:7]
	v_div_fixup_f64 v[8:9], v[10:11], v[12:13], v[8:9]
	s_mov_b32 s0, 0x50429b6d
	v_cndmask_b32_e32 v1, 0, v1, vcc
	v_ldexp_f64 v[10:11], v[6:7], v1
	v_rsq_f64_e32 v[12:13], v[10:11]
	s_mov_b32 s1, 0x3fe20dd7
	v_mul_f64 v[6:7], v[8:9], s[0:1]
	v_cndmask_b32_e32 v1, 0, v20, vcc
	v_mul_f64 v[8:9], v[10:11], v[12:13]
	v_mul_f64 v[12:13], v[12:13], 0.5
	v_fma_f64 v[14:15], -v[12:13], v[8:9], 0.5
	v_fmac_f64_e32 v[8:9], v[8:9], v[14:15]
	v_fma_f64 v[16:17], -v[8:9], v[8:9], v[10:11]
	v_fmac_f64_e32 v[12:13], v[12:13], v[14:15]
	v_fmac_f64_e32 v[8:9], v[16:17], v[12:13]
	v_fma_f64 v[14:15], -v[8:9], v[8:9], v[10:11]
	v_fmac_f64_e32 v[8:9], v[14:15], v[12:13]
	s_mov_b32 s0, 0x652b82fe
	v_ldexp_f64 v[8:9], v[8:9], v1
	v_cmp_class_f64_e32 vcc, v[10:11], v21
	s_mov_b32 s1, 0x3ff71547
	v_mov_b32_e32 v14, 0xfca7ab0c
	v_cndmask_b32_e32 v9, v9, v11, vcc
	v_cndmask_b32_e32 v8, v8, v10, vcc
	v_mul_f64 v[10:11], v[4:5], s[0:1]
	s_mov_b32 s0, 0xfefa39ef
	v_rndne_f64_e32 v[10:11], v[10:11]
	s_mov_b32 s1, 0xbfe62e42
	v_fma_f64 v[12:13], s[0:1], v[10:11], v[4:5]
	s_mov_b32 s0, 0x3b39803f
	s_mov_b32 s1, 0xbc7abc9e
	v_fmac_f64_e32 v[12:13], s[0:1], v[10:11]
	s_mov_b32 s0, 0x6a5dcb37
	v_mov_b32_e32 v15, 0x3e928af3
	s_mov_b32 s1, 0x3e5ade15
	v_fmac_f64_e32 v[14:15], s[0:1], v[12:13]
	v_mov_b32_e32 v16, 0x623fde64
	v_mov_b32_e32 v17, 0x3ec71dee
	v_fmac_f64_e32 v[16:17], v[12:13], v[14:15]
	v_mov_b32_e32 v14, 0x7c89e6b0
	v_mov_b32_e32 v15, 0x3efa0199
	;; [unrolled: 3-line block ×8, first 2 shown]
	s_mov_b32 s0, 0
	v_fmac_f64_e32 v[14:15], v[12:13], v[16:17]
	s_mov_b32 s1, 0x40900000
	v_fma_f64 v[14:15], v[12:13], v[14:15], 1.0
	v_cmp_nlt_f64_e32 vcc, s[0:1], v[4:5]
	s_mov_b32 s0, 0
	v_fma_f64 v[12:13], v[12:13], v[14:15], 1.0
	v_cvt_i32_f64_e32 v1, v[10:11]
	s_mov_b32 s1, 0xc090cc00
	v_ldexp_f64 v[10:11], v[12:13], v1
	v_mov_b32_e32 v1, 0x7ff00000
	v_cmp_ngt_f64_e64 s[0:1], s[0:1], v[4:5]
	v_cndmask_b32_e32 v1, v1, v11, vcc
	s_and_b64 vcc, s[0:1], vcc
	v_add_f64 v[8:9], v[8:9], v[8:9]
	v_cndmask_b32_e64 v5, 0, v1, s[0:1]
	v_cndmask_b32_e32 v4, 0, v10, vcc
	v_mul_f64 v[4:5], v[8:9], v[4:5]
	v_div_scale_f64 v[8:9], s[0:1], v[4:5], v[4:5], v[6:7]
	v_rcp_f64_e32 v[10:11], v[8:9]
	s_mov_b32 s0, 0xfd0a823a
	s_mov_b32 s1, 0x4020a402
	v_fma_f64 v[12:13], -v[8:9], v[10:11], 1.0
	v_fmac_f64_e32 v[10:11], v[10:11], v[12:13]
	v_fma_f64 v[12:13], -v[8:9], v[10:11], 1.0
	v_fmac_f64_e32 v[10:11], v[10:11], v[12:13]
	v_div_scale_f64 v[12:13], vcc, v[6:7], v[4:5], v[6:7]
	v_mul_f64 v[14:15], v[12:13], v[10:11]
	v_fma_f64 v[8:9], -v[8:9], v[14:15], v[12:13]
	s_nop 1
	v_div_fmas_f64 v[8:9], v[8:9], v[10:11], v[14:15]
	v_cmp_nlt_f64_e32 vcc, s[0:1], v[2:3]
	s_andn2_b64 s[0:1], s[8:9], exec
	s_and_b64 s[12:13], vcc, exec
	v_div_fixup_f64 v[4:5], v[8:9], v[4:5], v[6:7]
	s_or_b64 s[0:1], s[0:1], s[12:13]
.LBB7_240:
	s_or_b64 exec, exec, s[10:11]
	s_and_saveexec_b64 s[10:11], s[0:1]
	s_cbranch_execz .LBB7_244
; %bb.241:
	v_mul_f64 v[6:7], v[2:3], v[2:3]
	s_mov_b32 s14, 0
	v_mul_f64 v[8:9], v[2:3], v[6:7]
	v_mov_b64_e32 v[14:15], 1.0
	s_mov_b64 s[12:13], 0
	v_mov_b64_e32 v[12:13], 1.0
	s_mov_b32 s15, 0x3cb00000
	v_mov_b64_e32 v[10:11], v[2:3]
	v_mov_b64_e32 v[6:7], 1.0
.LBB7_242:                              ; =>This Inner Loop Header: Depth=1
	v_mul_f64 v[14:15], v[8:9], v[14:15]
	v_add_f64 v[16:17], v[12:13], 1.0
	v_mul_f64 v[2:3], v[8:9], v[2:3]
	v_div_scale_f64 v[18:19], s[0:1], v[16:17], v[16:17], v[14:15]
	v_add_f64 v[22:23], v[16:17], 1.0
	v_rcp_f64_e32 v[26:27], v[18:19]
	v_div_scale_f64 v[28:29], s[0:1], v[22:23], v[22:23], v[2:3]
	v_rcp_f64_e32 v[32:33], v[28:29]
	v_fma_f64 v[34:35], -v[18:19], v[26:27], 1.0
	v_fmac_f64_e32 v[26:27], v[26:27], v[34:35]
	v_fma_f64 v[36:37], -v[18:19], v[26:27], 1.0
	v_fma_f64 v[34:35], -v[28:29], v[32:33], 1.0
	v_fmac_f64_e32 v[32:33], v[32:33], v[34:35]
	v_div_scale_f64 v[20:21], vcc, v[14:15], v[16:17], v[14:15]
	v_fmac_f64_e32 v[26:27], v[26:27], v[36:37]
	v_fma_f64 v[34:35], -v[28:29], v[32:33], 1.0
	v_div_scale_f64 v[30:31], s[0:1], v[2:3], v[22:23], v[2:3]
	v_mul_f64 v[36:37], v[20:21], v[26:27]
	v_fmac_f64_e32 v[32:33], v[32:33], v[34:35]
	v_fma_f64 v[18:19], -v[18:19], v[36:37], v[20:21]
	v_mul_f64 v[20:21], v[30:31], v[32:33]
	v_div_fmas_f64 v[18:19], v[18:19], v[26:27], v[36:37]
	v_fma_f64 v[26:27], -v[28:29], v[20:21], v[30:31]
	s_mov_b64 vcc, s[0:1]
	v_div_fixup_f64 v[14:15], v[18:19], v[16:17], v[14:15]
	v_div_fmas_f64 v[16:17], v[26:27], v[32:33], v[20:21]
	v_div_fixup_f64 v[2:3], v[16:17], v[22:23], v[2:3]
	v_div_scale_f64 v[16:17], s[0:1], v[22:23], v[22:23], v[14:15]
	v_add_f64 v[12:13], v[22:23], 1.0
	v_rcp_f64_e32 v[20:21], v[16:17]
	v_div_scale_f64 v[26:27], s[0:1], v[12:13], v[12:13], v[2:3]
	v_rcp_f64_e32 v[30:31], v[26:27]
	v_fma_f64 v[32:33], -v[16:17], v[20:21], 1.0
	v_fmac_f64_e32 v[20:21], v[20:21], v[32:33]
	v_fma_f64 v[34:35], -v[16:17], v[20:21], 1.0
	v_fma_f64 v[32:33], -v[26:27], v[30:31], 1.0
	v_div_scale_f64 v[18:19], vcc, v[14:15], v[22:23], v[14:15]
	v_fmac_f64_e32 v[30:31], v[30:31], v[32:33]
	v_fmac_f64_e32 v[20:21], v[20:21], v[34:35]
	v_fma_f64 v[32:33], -v[26:27], v[30:31], 1.0
	v_mul_f64 v[34:35], v[18:19], v[20:21]
	v_div_scale_f64 v[28:29], s[0:1], v[2:3], v[12:13], v[2:3]
	v_fmac_f64_e32 v[30:31], v[30:31], v[32:33]
	v_fma_f64 v[16:17], -v[16:17], v[34:35], v[18:19]
	v_mul_f64 v[18:19], v[28:29], v[30:31]
	v_div_fmas_f64 v[16:17], v[16:17], v[20:21], v[34:35]
	v_fma_f64 v[20:21], -v[26:27], v[18:19], v[28:29]
	v_div_fixup_f64 v[14:15], v[16:17], v[22:23], v[14:15]
	s_mov_b64 vcc, s[0:1]
	v_div_fmas_f64 v[16:17], v[20:21], v[30:31], v[18:19]
	v_add_f64 v[6:7], v[6:7], v[14:15]
	v_div_fixup_f64 v[2:3], v[16:17], v[12:13], v[2:3]
	v_div_scale_f64 v[16:17], s[0:1], v[6:7], v[6:7], v[14:15]
	v_rcp_f64_e32 v[18:19], v[16:17]
	v_div_scale_f64 v[20:21], vcc, v[14:15], v[6:7], v[14:15]
	v_add_f64 v[10:11], v[10:11], v[2:3]
	v_fma_f64 v[22:23], -v[16:17], v[18:19], 1.0
	v_fmac_f64_e32 v[18:19], v[18:19], v[22:23]
	v_fma_f64 v[22:23], -v[16:17], v[18:19], 1.0
	v_fmac_f64_e32 v[18:19], v[18:19], v[22:23]
	v_mul_f64 v[22:23], v[20:21], v[18:19]
	v_fma_f64 v[16:17], -v[16:17], v[22:23], v[20:21]
	v_div_fmas_f64 v[16:17], v[16:17], v[18:19], v[22:23]
	v_div_fixup_f64 v[16:17], v[16:17], v[6:7], v[14:15]
	v_cmp_ngt_f64_e64 s[0:1], |v[16:17]|, s[14:15]
	s_or_b64 s[12:13], s[0:1], s[12:13]
	s_andn2_b64 exec, exec, s[12:13]
	s_cbranch_execnz .LBB7_242
; %bb.243:
	s_or_b64 exec, exec, s[12:13]
	s_mov_b32 s0, 0x42b70f8b
	s_mov_b32 s1, 0xbfd0907f
	v_mul_f64 v[2:3], v[10:11], s[0:1]
	s_mov_b32 s0, 0x962715b8
	s_mov_b32 s1, 0x3fd6b8c7
	v_fmac_f64_e32 v[2:3], s[0:1], v[6:7]
	v_cndmask_b32_e64 v5, v5, v3, s[8:9]
	v_cndmask_b32_e64 v4, v4, v2, s[8:9]
.LBB7_244:
	s_or_b64 exec, exec, s[10:11]
                                        ; implicit-def: $vgpr2_vgpr3
.LBB7_245:
	s_andn2_saveexec_b64 s[6:7], s[6:7]
	s_cbranch_execz .LBB7_264
; %bb.246:
	s_mov_b32 s0, 0
	s_brev_b32 s1, 9
	v_mov_b32_e32 v1, 0x100
	v_cmp_lt_f64_e32 vcc, s[0:1], v[2:3]
	v_mul_f64 v[8:9], v[2:3], -2.0
	s_mov_b32 s8, 0
	v_cndmask_b32_e32 v1, 0, v1, vcc
	v_ldexp_f64 v[4:5], -v[2:3], v1
	v_rsq_f64_e32 v[6:7], v[4:5]
	v_mov_b32_e32 v1, 0xffffff80
	v_cndmask_b32_e32 v1, 0, v1, vcc
	s_mov_b32 s9, 0x40080000
	v_mul_f64 v[2:3], v[4:5], v[6:7]
	v_mul_f64 v[6:7], v[6:7], 0.5
	v_fma_f64 v[10:11], -v[6:7], v[2:3], 0.5
	v_fmac_f64_e32 v[2:3], v[2:3], v[10:11]
	v_fma_f64 v[12:13], -v[2:3], v[2:3], v[4:5]
	v_fmac_f64_e32 v[6:7], v[6:7], v[10:11]
	v_fmac_f64_e32 v[2:3], v[12:13], v[6:7]
	v_fma_f64 v[10:11], -v[2:3], v[2:3], v[4:5]
	v_fmac_f64_e32 v[2:3], v[10:11], v[6:7]
	v_ldexp_f64 v[2:3], v[2:3], v1
	v_mov_b32_e32 v1, 0x260
	v_cmp_class_f64_e32 vcc, v[4:5], v1
	s_mov_b32 s11, 0x3fe921fb
	s_mov_b32 s10, 0x54442d18
	v_cndmask_b32_e32 v3, v3, v5, vcc
	v_cndmask_b32_e32 v2, v2, v4, vcc
	v_mul_f64 v[4:5], v[8:9], v[2:3]
	v_div_scale_f64 v[6:7], s[0:1], s[8:9], s[8:9], v[4:5]
	v_rcp_f64_e32 v[8:9], v[6:7]
	s_movk_i32 s0, 0xff80
                                        ; implicit-def: $vgpr25
                                        ; implicit-def: $vgpr14_vgpr15
	v_fma_f64 v[10:11], -v[6:7], v[8:9], 1.0
	v_fmac_f64_e32 v[8:9], v[8:9], v[10:11]
	v_fma_f64 v[10:11], -v[6:7], v[8:9], 1.0
	v_fmac_f64_e32 v[8:9], v[8:9], v[10:11]
	v_div_scale_f64 v[10:11], vcc, v[4:5], s[8:9], v[4:5]
	v_mul_f64 v[12:13], v[10:11], v[8:9]
	v_fma_f64 v[6:7], -v[6:7], v[12:13], v[10:11]
	s_nop 1
	v_div_fmas_f64 v[6:7], v[6:7], v[8:9], v[12:13]
	v_div_fixup_f64 v[10:11], v[6:7], s[8:9], v[4:5]
	s_mov_b32 s8, 0
	v_add_f64 v[4:5], v[10:11], s[10:11]
	s_mov_b32 s9, 0x41d00000
	v_cmp_nlt_f64_e64 s[8:9], |v[4:5]|, s[8:9]
                                        ; implicit-def: $vgpr12_vgpr13
	s_and_saveexec_b64 s[12:13], s[8:9]
	s_xor_b64 s[12:13], exec, s[12:13]
	s_cbranch_execz .LBB7_257
; %bb.247:
	s_mov_b32 s14, 0
	s_mov_b32 s15, 0x7b000000
	v_and_b32_e32 v1, 0x7fffffff, v5
	v_ldexp_f64 v[12:13], |v[4:5]|, s0
	v_cmp_ge_f64_e64 vcc, |v[4:5]|, s[14:15]
	v_trig_preop_f64 v[6:7], |v[4:5]|, 0
	v_trig_preop_f64 v[8:9], |v[4:5]|, 1
	v_cndmask_b32_e32 v13, v1, v13, vcc
	v_cndmask_b32_e32 v12, v4, v12, vcc
	v_mul_f64 v[16:17], v[6:7], v[12:13]
	v_mul_f64 v[14:15], v[8:9], v[12:13]
	v_fma_f64 v[6:7], v[6:7], v[12:13], -v[16:17]
	v_add_f64 v[18:19], v[14:15], v[6:7]
	v_add_f64 v[28:29], v[18:19], -v[14:15]
	v_add_f64 v[6:7], v[6:7], -v[28:29]
	v_add_f64 v[28:29], v[18:19], -v[28:29]
	v_add_f64 v[28:29], v[14:15], -v[28:29]
	v_fma_f64 v[8:9], v[8:9], v[12:13], -v[14:15]
	v_trig_preop_f64 v[14:15], |v[4:5]|, 2
	v_add_f64 v[6:7], v[6:7], v[28:29]
	v_mul_f64 v[28:29], v[14:15], v[12:13]
	v_add_f64 v[30:31], v[28:29], v[8:9]
	v_add_f64 v[20:21], v[16:17], v[18:19]
	;; [unrolled: 1-line block ×3, first 2 shown]
	v_ldexp_f64 v[22:23], v[20:21], -2
	v_add_f64 v[16:17], v[20:21], -v[16:17]
	v_add_f64 v[20:21], v[32:33], -v[30:31]
	;; [unrolled: 1-line block ×5, first 2 shown]
	v_add_f64 v[6:7], v[6:7], v[20:21]
	v_add_f64 v[20:21], v[30:31], -v[28:29]
	v_add_f64 v[8:9], v[8:9], -v[20:21]
	;; [unrolled: 1-line block ×4, first 2 shown]
	v_add_f64 v[8:9], v[8:9], v[20:21]
	s_mov_b32 s0, 0
	v_fract_f64_e32 v[26:27], v[22:23]
	v_add_f64 v[6:7], v[8:9], v[6:7]
	v_fma_f64 v[8:9], v[14:15], v[12:13], -v[28:29]
	s_mov_b32 s1, 0x7ff00000
	v_add_f64 v[16:17], v[18:19], -v[16:17]
	v_add_f64 v[6:7], v[8:9], v[6:7]
	v_ldexp_f64 v[8:9], v[26:27], 2
	v_cmp_neq_f64_e64 vcc, |v[22:23]|, s[0:1]
	v_add_f64 v[18:19], v[16:17], v[32:33]
	v_mov_b32_e32 v1, 0x40100000
	v_cndmask_b32_e32 v9, 0, v9, vcc
	v_cndmask_b32_e32 v8, 0, v8, vcc
	v_add_f64 v[12:13], v[18:19], v[8:9]
	v_cmp_gt_f64_e32 vcc, 0, v[12:13]
	v_mov_b32_e32 v12, 0
	v_add_f64 v[16:17], v[18:19], -v[16:17]
	v_cndmask_b32_e32 v13, 0, v1, vcc
	v_add_f64 v[8:9], v[8:9], v[12:13]
	v_add_f64 v[14:15], v[18:19], v[8:9]
	v_cvt_i32_f64_e32 v1, v[14:15]
	v_cvt_f64_i32_e32 v[14:15], v1
	v_add_f64 v[8:9], v[8:9], -v[14:15]
	v_add_f64 v[14:15], v[18:19], v[8:9]
	v_cmp_le_f64_e32 vcc, 0.5, v[14:15]
	v_add_f64 v[16:17], v[32:33], -v[16:17]
	v_add_f64 v[8:9], v[14:15], -v[8:9]
	v_addc_co_u32_e64 v25, s[0:1], 0, v1, vcc
	v_mov_b32_e32 v1, 0x3ff00000
	v_add_f64 v[6:7], v[16:17], v[6:7]
	v_add_f64 v[8:9], v[18:19], -v[8:9]
	v_cndmask_b32_e32 v13, 0, v1, vcc
	v_add_f64 v[6:7], v[6:7], v[8:9]
	v_add_f64 v[8:9], v[14:15], -v[12:13]
	v_add_f64 v[12:13], v[8:9], v[6:7]
	v_add_f64 v[8:9], v[12:13], -v[8:9]
	s_mov_b32 s11, 0x3ff921fb
	v_add_f64 v[6:7], v[6:7], -v[8:9]
	v_mul_f64 v[8:9], v[12:13], s[10:11]
	s_mov_b32 s0, 0x33145c07
	v_fma_f64 v[14:15], v[12:13], s[10:11], -v[8:9]
	s_mov_b32 s1, 0x3c91a626
	v_fmac_f64_e32 v[14:15], s[0:1], v[12:13]
	v_fmac_f64_e32 v[14:15], s[10:11], v[6:7]
	v_add_f64 v[12:13], v[8:9], v[14:15]
	v_add_f64 v[6:7], v[12:13], -v[8:9]
	v_add_f64 v[14:15], v[14:15], -v[6:7]
	s_andn2_saveexec_b64 s[0:1], s[12:13]
	s_cbranch_execz .LBB7_259
	s_branch .LBB7_258
.LBB7_248:
	s_andn2_saveexec_b64 s[0:1], s[8:9]
	s_cbranch_execz .LBB7_250
.LBB7_249:
	s_mov_b32 s8, 0x6dc9c883
	s_mov_b32 s9, 0x3fe45f30
	v_mul_f64 v[6:7], |v[4:5]|, s[8:9]
	s_mov_b32 s8, 0x54442d18
	v_rndne_f64_e32 v[16:17], v[6:7]
	s_mov_b32 s9, 0xbff921fb
	v_fma_f64 v[6:7], v[16:17], s[8:9], |v[4:5]|
	s_mov_b32 s9, 0xbc91a626
	s_mov_b32 s8, 0x33145c00
	v_mul_f64 v[18:19], v[16:17], s[8:9]
	v_add_f64 v[22:23], v[6:7], v[18:19]
	v_fma_f64 v[8:9], s[8:9], v[16:17], v[6:7]
	s_mov_b32 s9, 0x3c91a626
	v_add_f64 v[6:7], v[6:7], -v[22:23]
	v_fma_f64 v[20:21], s[8:9], v[16:17], v[18:19]
	v_add_f64 v[6:7], v[6:7], v[18:19]
	v_add_f64 v[18:19], v[22:23], -v[8:9]
	v_add_f64 v[6:7], v[18:19], v[6:7]
	s_mov_b32 s8, 0x252049c0
	v_add_f64 v[18:19], v[6:7], -v[20:21]
	s_mov_b32 s9, 0xb97b839a
	v_fmac_f64_e32 v[18:19], s[8:9], v[16:17]
	v_add_f64 v[6:7], v[8:9], v[18:19]
	v_add_f64 v[8:9], v[6:7], -v[8:9]
	v_add_f64 v[8:9], v[18:19], -v[8:9]
	v_cvt_i32_f64_e32 v1, v[16:17]
.LBB7_250:
	s_or_b64 exec, exec, s[0:1]
	v_div_scale_f64 v[16:17], s[0:1], v[10:11], v[10:11], 1.0
	v_rcp_f64_e32 v[18:19], v[16:17]
	v_div_scale_f64 v[20:21], vcc, 1.0, v[10:11], 1.0
	v_mov_b32_e32 v26, 0xaf76e73b
	v_fma_f64 v[22:23], -v[16:17], v[18:19], 1.0
	v_fmac_f64_e32 v[18:19], v[18:19], v[22:23]
	v_fma_f64 v[22:23], -v[16:17], v[18:19], 1.0
	v_fmac_f64_e32 v[18:19], v[18:19], v[22:23]
	v_mul_f64 v[22:23], v[20:21], v[18:19]
	v_fma_f64 v[16:17], -v[16:17], v[22:23], v[20:21]
	v_div_fmas_f64 v[16:17], v[16:17], v[18:19], v[22:23]
	v_div_fixup_f64 v[10:11], v[16:17], v[10:11], 1.0
	v_mul_f64 v[16:17], v[10:11], v[10:11]
	v_mov_b32_e32 v18, 0xd50ae6fb
	v_mov_b32_e32 v19, 0xbfc0db6c
	v_fmac_f64_e32 v[18:19], 0, v[16:17]
	v_mov_b32_e32 v20, 0x98566852
	v_mov_b32_e32 v21, 0xbfe40bee
	v_fmac_f64_e32 v[20:21], v[16:17], v[18:19]
	v_mov_b32_e32 v18, 0xc2f79f7d
	v_mov_b32_e32 v19, 0xbfe62e59
	v_fmac_f64_e32 v[18:19], v[16:17], v[20:21]
	v_mov_b32_e32 v20, 0x4bb3f40b
	v_mov_b32_e32 v21, 0xbfd1e7ea
	v_fmac_f64_e32 v[20:21], v[16:17], v[18:19]
	v_mov_b32_e32 v18, 0xf47dbd8a
	v_mov_b32_e32 v19, 0xbfa92f6e
	v_fmac_f64_e32 v[18:19], v[16:17], v[20:21]
	v_mov_b32_e32 v20, 0xc8d9e090
	v_mov_b32_e32 v21, 0xbf70a401
	v_fmac_f64_e32 v[20:21], v[16:17], v[18:19]
	v_mov_b32_e32 v18, 0xaf4b009c
	v_mov_b32_e32 v19, 0xbf24e06e
	v_fmac_f64_e32 v[18:19], v[16:17], v[20:21]
	v_mov_b32_e32 v20, 0x1d42366d
	v_mov_b32_e32 v21, 0xbec74a78
	v_fmac_f64_e32 v[20:21], v[16:17], v[18:19]
	v_mov_b32_e32 v18, 0x2572edf2
	v_mov_b32_e32 v19, 0x402ab64b
	v_fmac_f64_e32 v[18:19], 0, v[16:17]
	v_mov_b32_e32 v22, 0x44787b1a
	v_mov_b32_e32 v23, 0x4040575c
	v_fmac_f64_e32 v[22:23], v[16:17], v[18:19]
	v_mov_b32_e32 v18, 0xa3b73410
	v_mov_b32_e32 v19, 0x403abc98
	v_fmac_f64_e32 v[18:19], v[16:17], v[22:23]
	v_mov_b32_e32 v22, 0x2ac99873
	v_mov_b32_e32 v23, 0x40225fc8
	v_fmac_f64_e32 v[22:23], v[16:17], v[18:19]
	v_mov_b32_e32 v18, 0x39de9319
	v_mov_b32_e32 v19, 0x3ff79acb
	v_fmac_f64_e32 v[18:19], v[16:17], v[22:23]
	v_mov_b32_e32 v22, 0xb4045a2b
	v_mov_b32_e32 v23, 0x3fbd9dac
	v_fmac_f64_e32 v[22:23], v[16:17], v[18:19]
	v_mov_b32_e32 v18, 0xe03af617
	v_mov_b32_e32 v19, 0x3f7208ca
	v_fmac_f64_e32 v[18:19], v[16:17], v[22:23]
	v_mov_b32_e32 v27, 0x3f13c8d7
	v_fmac_f64_e32 v[26:27], v[16:17], v[18:19]
	v_mov_b32_e32 v22, 0xb99518a7
	v_mov_b32_e32 v23, 0x3e9e52b9
	v_mul_f64 v[28:29], v[12:13], v[12:13]
	v_fmac_f64_e32 v[22:23], v[16:17], v[26:27]
	v_mov_b32_e32 v26, 0xf68ea2d2
	v_mov_b32_e32 v27, 0xbe52041c
	v_mul_f64 v[18:19], v[28:29], 0.5
	v_fmac_f64_e32 v[26:27], v[16:17], v[20:21]
	v_add_f64 v[20:21], -v[18:19], 1.0
	s_mov_b32 s0, 0x9037ab78
	v_add_f64 v[30:31], -v[20:21], 1.0
	s_mov_b32 s1, 0x3e21eeb6
	s_mov_b32 s8, 0x46cc5e42
	v_add_f64 v[30:31], v[30:31], -v[18:19]
	s_mov_b32 s9, 0xbda907db
	v_mov_b64_e32 v[18:19], s[0:1]
	s_mov_b32 s10, 0xa17f65f6
	v_fma_f64 v[34:35], s[8:9], v[28:29], v[18:19]
	s_mov_b32 s11, 0xbe927e4f
	s_mov_b32 s12, 0x19f4ec90
	v_fma_f64 v[34:35], v[28:29], v[34:35], s[10:11]
	s_mov_b32 s13, 0x3efa01a0
	;; [unrolled: 3-line block ×4, first 2 shown]
	v_mul_f64 v[32:33], v[28:29], v[28:29]
	v_fma_f64 v[34:35], v[28:29], v[34:35], s[28:29]
	v_fma_f64 v[30:31], v[12:13], -v[14:15], v[30:31]
	s_mov_b32 s0, 0xb42fdfa7
	v_fmac_f64_e32 v[30:31], v[32:33], v[34:35]
	s_mov_b32 s1, 0xbe5ae600
	s_mov_b32 s30, 0xf9a43bb8
	v_add_f64 v[30:31], v[20:21], v[30:31]
	s_mov_b32 s31, 0x3de5e0b2
	v_mov_b64_e32 v[20:21], s[0:1]
	s_mov_b32 s50, 0x796cde01
	v_fma_f64 v[32:33], s[30:31], v[28:29], v[20:21]
	s_mov_b32 s51, 0x3ec71de3
	s_mov_b32 s52, 0x19e83e5c
	v_fma_f64 v[32:33], v[28:29], v[32:33], s[50:51]
	s_mov_b32 s53, 0xbf2a01a0
	;; [unrolled: 3-line block ×3, first 2 shown]
	v_fma_f64 v[32:33], v[28:29], v[32:33], s[54:55]
	v_mul_f64 v[34:35], v[12:13], -v[28:29]
	v_mul_f64 v[36:37], v[14:15], 0.5
	v_fmac_f64_e32 v[36:37], v[34:35], v[32:33]
	v_fma_f64 v[14:15], v[28:29], v[36:37], -v[14:15]
	s_mov_b32 s57, 0xbfc55555
	s_mov_b32 s56, s28
	v_fmac_f64_e32 v[14:15], s[56:57], v[34:35]
	v_add_f64 v[12:13], v[12:13], -v[14:15]
	v_and_b32_e32 v14, 1, v25
	v_cmp_eq_u32_e32 vcc, 0, v14
	s_brev_b32 s61, 1
	s_movk_i32 s62, 0x1f8
	v_cndmask_b32_e32 v28, v30, v12, vcc
	v_cndmask_b32_e32 v12, v31, v13, vcc
	v_lshlrev_b32_e32 v13, 30, v25
	v_xor_b32_e32 v13, v13, v5
	v_bitop3_b32 v25, v12, v13, s61 bitop3:0x78
	v_mul_f64 v[12:13], v[16:17], v[26:27]
	v_div_scale_f64 v[14:15], s[0:1], v[22:23], v[22:23], v[12:13]
	v_rcp_f64_e32 v[26:27], v[14:15]
	v_cmp_class_f64_e64 s[0:1], v[4:5], s62
	s_mov_b32 s62, 0
	s_brev_b32 s63, 8
	v_cndmask_b32_e64 v4, 0, v28, s[0:1]
	v_fma_f64 v[28:29], -v[14:15], v[26:27], 1.0
	v_fmac_f64_e32 v[26:27], v[26:27], v[28:29]
	v_fma_f64 v[28:29], -v[14:15], v[26:27], 1.0
	v_fmac_f64_e32 v[26:27], v[26:27], v[28:29]
	v_div_scale_f64 v[28:29], vcc, v[12:13], v[22:23], v[12:13]
	v_mul_f64 v[30:31], v[28:29], v[26:27]
	v_fma_f64 v[14:15], -v[14:15], v[30:31], v[28:29]
	v_mov_b32_e32 v28, 0xdb0724e8
	s_nop 0
	v_div_fmas_f64 v[14:15], v[14:15], v[26:27], v[30:31]
	v_div_fixup_f64 v[12:13], v[14:15], v[22:23], v[12:13]
	v_mov_b32_e32 v14, 0xddcfbbde
	v_mov_b32_e32 v15, 0x3f943525
	v_fmac_f64_e32 v[14:15], 0, v[16:17]
	v_mov_b32_e32 v22, 0x6437b7
	v_mov_b32_e32 v23, 0x3fd907d5
	v_fmac_f64_e32 v[22:23], v[16:17], v[14:15]
	;; [unrolled: 3-line block ×19, first 2 shown]
	v_mov_b32_e32 v22, 0x100
	v_cmp_gt_f64_e32 vcc, s[62:63], v[2:3]
	v_mov_b32_e32 v29, 0x3eb3a845
	v_fmac_f64_e32 v[28:29], v[16:17], v[26:27]
	v_cndmask_b32_e32 v22, 0, v22, vcc
	v_ldexp_f64 v[2:3], v[2:3], v22
	v_rsq_f64_e32 v[22:23], v[2:3]
	v_mov_b32_e32 v34, 0x7ff80000
	v_cndmask_b32_e64 v5, v34, v25, s[0:1]
	v_mov_b32_e32 v25, 0x260
	v_mul_f64 v[26:27], v[2:3], v[22:23]
	v_mul_f64 v[22:23], v[22:23], 0.5
	v_fma_f64 v[30:31], -v[22:23], v[26:27], 0.5
	v_fmac_f64_e32 v[26:27], v[26:27], v[30:31]
	v_fma_f64 v[32:33], -v[26:27], v[26:27], v[2:3]
	v_fmac_f64_e32 v[22:23], v[22:23], v[30:31]
	v_fmac_f64_e32 v[26:27], v[32:33], v[22:23]
	v_fma_f64 v[30:31], -v[26:27], v[26:27], v[2:3]
	v_fmac_f64_e32 v[26:27], v[30:31], v[22:23]
	v_mov_b32_e32 v22, 0xffffff80
	v_cndmask_b32_e32 v22, 0, v22, vcc
	v_ldexp_f64 v[22:23], v[26:27], v22
	v_cmp_class_f64_e32 vcc, v[2:3], v25
	s_mov_b32 s62, 0x50429b6d
	s_mov_b32 s63, 0x3fe20dd7
	v_cndmask_b32_e32 v3, v23, v3, vcc
	v_cndmask_b32_e32 v2, v22, v2, vcc
	v_div_scale_f64 v[22:23], s[64:65], v[2:3], v[2:3], s[62:63]
	v_rcp_f64_e32 v[26:27], v[22:23]
	v_mov_b32_e32 v30, 0x3dd589d4
	v_mov_b32_e32 v31, 0x3e351fc7
	v_fmac_f64_e32 v[30:31], v[16:17], v[28:29]
	v_fma_f64 v[16:17], -v[22:23], v[26:27], 1.0
	v_fmac_f64_e32 v[26:27], v[26:27], v[16:17]
	v_fma_f64 v[16:17], -v[22:23], v[26:27], 1.0
	v_fmac_f64_e32 v[26:27], v[26:27], v[16:17]
	v_div_scale_f64 v[16:17], vcc, s[62:63], v[2:3], s[62:63]
	v_mul_f64 v[28:29], v[16:17], v[26:27]
	v_fma_f64 v[16:17], -v[22:23], v[28:29], v[16:17]
	v_add_f64 v[12:13], v[12:13], 1.0
	s_nop 0
	v_div_fmas_f64 v[16:17], v[16:17], v[26:27], v[28:29]
	v_div_fixup_f64 v[2:3], v[16:17], v[2:3], s[62:63]
	v_mul_f64 v[16:17], v[6:7], v[6:7]
	v_mul_f64 v[22:23], v[16:17], 0.5
	v_fmac_f64_e32 v[18:19], s[8:9], v[16:17]
	v_add_f64 v[26:27], -v[22:23], 1.0
	v_fma_f64 v[18:19], v[16:17], v[18:19], s[10:11]
	v_add_f64 v[28:29], -v[26:27], 1.0
	v_fma_f64 v[18:19], v[16:17], v[18:19], s[12:13]
	v_add_f64 v[22:23], v[28:29], -v[22:23]
	v_fma_f64 v[18:19], v[16:17], v[18:19], s[14:15]
	v_fmac_f64_e32 v[20:21], s[30:31], v[16:17]
	v_mul_f64 v[28:29], v[16:17], v[16:17]
	v_fma_f64 v[18:19], v[16:17], v[18:19], s[28:29]
	v_fma_f64 v[22:23], v[6:7], -v[8:9], v[22:23]
	v_fma_f64 v[20:21], v[16:17], v[20:21], s[50:51]
	v_fmac_f64_e32 v[22:23], v[28:29], v[18:19]
	v_fma_f64 v[20:21], v[16:17], v[20:21], s[52:53]
	v_add_f64 v[18:19], v[26:27], v[22:23]
	v_fma_f64 v[20:21], v[16:17], v[20:21], s[54:55]
	v_mul_f64 v[22:23], v[6:7], -v[16:17]
	v_mul_f64 v[26:27], v[8:9], 0.5
	v_fmac_f64_e32 v[26:27], v[22:23], v[20:21]
	v_fma_f64 v[8:9], v[16:17], v[26:27], -v[8:9]
	v_fmac_f64_e32 v[8:9], s[56:57], v[22:23]
	v_add_f64 v[6:7], v[6:7], -v[8:9]
	v_and_b32_e32 v8, 1, v1
	v_xor_b32_e32 v7, 0x80000000, v7
	v_cmp_eq_u32_e32 vcc, 0, v8
	v_lshlrev_b32_e32 v1, 30, v1
	s_nop 0
	v_cndmask_b32_e32 v16, v6, v18, vcc
	v_cndmask_b32_e32 v17, v7, v19, vcc
	v_mul_f64 v[6:7], v[10:11], v[14:15]
	v_div_scale_f64 v[8:9], s[8:9], v[30:31], v[30:31], v[6:7]
	v_rcp_f64_e32 v[10:11], v[8:9]
	v_bitop3_b32 v1, v17, v1, s61 bitop3:0x78
	v_cndmask_b32_e64 v14, 0, v16, s[0:1]
	v_cndmask_b32_e64 v15, v34, v1, s[0:1]
	v_fma_f64 v[16:17], -v[8:9], v[10:11], 1.0
	v_fmac_f64_e32 v[10:11], v[10:11], v[16:17]
	v_fma_f64 v[16:17], -v[8:9], v[10:11], 1.0
	v_fmac_f64_e32 v[10:11], v[10:11], v[16:17]
	v_div_scale_f64 v[16:17], vcc, v[6:7], v[30:31], v[6:7]
	v_mul_f64 v[18:19], v[16:17], v[10:11]
	v_fma_f64 v[8:9], -v[8:9], v[18:19], v[16:17]
	s_nop 1
	v_div_fmas_f64 v[8:9], v[8:9], v[10:11], v[18:19]
	v_div_fixup_f64 v[6:7], v[8:9], v[30:31], v[6:7]
	v_mul_f64 v[6:7], v[6:7], v[14:15]
	v_fma_f64 v[4:5], v[12:13], v[4:5], -v[6:7]
	v_mul_f64 v[4:5], v[2:3], v[4:5]
.LBB7_251:
	s_or_b64 exec, exec, s[6:7]
.LBB7_252:
	s_or_b64 exec, exec, s[4:5]
.LBB7_253:
	s_or_b64 exec, exec, s[2:3]
	v_add_u32_e32 v24, 0x80, v24
	global_store_dwordx2 v0, v[4:5], s[16:17]
	s_or_b64 exec, exec, s[48:49]
	v_cmp_gt_i32_e32 vcc, s59, v24
	s_and_saveexec_b64 s[48:49], vcc
	s_cbranch_execnz .LBB7_220
.LBB7_254:
	s_or_b64 exec, exec, s[48:49]
	v_cmp_gt_i32_e32 vcc, s59, v24
	s_and_saveexec_b64 s[48:49], vcc
	s_cbranch_execnz .LBB7_267
.LBB7_255:
	s_or_b64 exec, exec, s[48:49]
                                        ; implicit-def: $vgpr10
                                        ; implicit-def: $vgpr24
	s_andn2_saveexec_b64 s[0:1], s[38:39]
	s_cbranch_execnz .LBB7_9
.LBB7_256:
	s_endpgm
.LBB7_257:
	s_andn2_saveexec_b64 s[0:1], s[12:13]
	s_cbranch_execz .LBB7_259
.LBB7_258:
	s_mov_b32 s10, 0x6dc9c883
	s_mov_b32 s11, 0x3fe45f30
	v_mul_f64 v[6:7], |v[4:5]|, s[10:11]
	s_mov_b32 s10, 0x54442d18
	v_rndne_f64_e32 v[6:7], v[6:7]
	s_mov_b32 s11, 0xbff921fb
	v_fma_f64 v[8:9], v[6:7], s[10:11], |v[4:5]|
	s_mov_b32 s11, 0xbc91a626
	s_mov_b32 s10, 0x33145c00
	v_mul_f64 v[12:13], v[6:7], s[10:11]
	v_add_f64 v[18:19], v[8:9], v[12:13]
	v_fma_f64 v[14:15], s[10:11], v[6:7], v[8:9]
	s_mov_b32 s11, 0x3c91a626
	v_add_f64 v[8:9], v[8:9], -v[18:19]
	v_fma_f64 v[16:17], s[10:11], v[6:7], v[12:13]
	v_add_f64 v[8:9], v[8:9], v[12:13]
	v_add_f64 v[12:13], v[18:19], -v[14:15]
	v_add_f64 v[8:9], v[12:13], v[8:9]
	s_mov_b32 s10, 0x252049c0
	v_add_f64 v[8:9], v[8:9], -v[16:17]
	s_mov_b32 s11, 0xb97b839a
	v_fmac_f64_e32 v[8:9], s[10:11], v[6:7]
	v_add_f64 v[12:13], v[14:15], v[8:9]
	v_add_f64 v[14:15], v[12:13], -v[14:15]
	v_add_f64 v[14:15], v[8:9], -v[14:15]
	v_cvt_i32_f64_e32 v25, v[6:7]
.LBB7_259:
	s_or_b64 exec, exec, s[0:1]
                                        ; implicit-def: $vgpr1
                                        ; implicit-def: $vgpr6_vgpr7
                                        ; implicit-def: $vgpr8_vgpr9
	s_and_saveexec_b64 s[0:1], s[8:9]
	s_xor_b64 s[8:9], exec, s[0:1]
	s_cbranch_execz .LBB7_261
; %bb.260:
	s_mov_b32 s0, 0
	s_mov_b32 s1, 0x7b000000
	s_movk_i32 s10, 0xff80
	v_and_b32_e32 v1, 0x7fffffff, v5
	v_ldexp_f64 v[16:17], |v[4:5]|, s10
	v_cmp_ge_f64_e64 vcc, |v[4:5]|, s[0:1]
	v_trig_preop_f64 v[6:7], |v[4:5]|, 0
	v_trig_preop_f64 v[8:9], |v[4:5]|, 1
	v_cndmask_b32_e32 v17, v1, v17, vcc
	v_cndmask_b32_e32 v16, v4, v16, vcc
	v_mul_f64 v[20:21], v[6:7], v[16:17]
	v_mul_f64 v[18:19], v[8:9], v[16:17]
	v_fma_f64 v[6:7], v[6:7], v[16:17], -v[20:21]
	v_add_f64 v[22:23], v[18:19], v[6:7]
	v_add_f64 v[32:33], v[22:23], -v[18:19]
	v_add_f64 v[6:7], v[6:7], -v[32:33]
	;; [unrolled: 1-line block ×4, first 2 shown]
	v_fma_f64 v[8:9], v[8:9], v[16:17], -v[18:19]
	v_trig_preop_f64 v[18:19], |v[4:5]|, 2
	v_add_f64 v[6:7], v[6:7], v[32:33]
	v_mul_f64 v[32:33], v[18:19], v[16:17]
	v_add_f64 v[34:35], v[32:33], v[8:9]
	v_add_f64 v[26:27], v[20:21], v[22:23]
	;; [unrolled: 1-line block ×3, first 2 shown]
	v_ldexp_f64 v[28:29], v[26:27], -2
	v_add_f64 v[20:21], v[26:27], -v[20:21]
	v_add_f64 v[26:27], v[36:37], -v[34:35]
	;; [unrolled: 1-line block ×5, first 2 shown]
	v_add_f64 v[6:7], v[6:7], v[26:27]
	v_add_f64 v[26:27], v[34:35], -v[32:33]
	v_add_f64 v[8:9], v[8:9], -v[26:27]
	;; [unrolled: 1-line block ×4, first 2 shown]
	v_add_f64 v[8:9], v[8:9], v[26:27]
	s_mov_b32 s0, 0
	v_fract_f64_e32 v[30:31], v[28:29]
	v_add_f64 v[6:7], v[8:9], v[6:7]
	v_fma_f64 v[8:9], v[18:19], v[16:17], -v[32:33]
	s_mov_b32 s1, 0x7ff00000
	v_add_f64 v[20:21], v[22:23], -v[20:21]
	v_add_f64 v[6:7], v[8:9], v[6:7]
	v_ldexp_f64 v[8:9], v[30:31], 2
	v_cmp_neq_f64_e64 vcc, |v[28:29]|, s[0:1]
	v_add_f64 v[22:23], v[20:21], v[36:37]
	v_mov_b32_e32 v1, 0x40100000
	v_cndmask_b32_e32 v9, 0, v9, vcc
	v_cndmask_b32_e32 v8, 0, v8, vcc
	v_add_f64 v[16:17], v[22:23], v[8:9]
	v_cmp_gt_f64_e32 vcc, 0, v[16:17]
	v_mov_b32_e32 v16, 0
	v_add_f64 v[20:21], v[22:23], -v[20:21]
	v_cndmask_b32_e32 v17, 0, v1, vcc
	v_add_f64 v[8:9], v[8:9], v[16:17]
	v_add_f64 v[18:19], v[22:23], v[8:9]
	v_cvt_i32_f64_e32 v1, v[18:19]
	v_cvt_f64_i32_e32 v[18:19], v1
	v_add_f64 v[8:9], v[8:9], -v[18:19]
	v_add_f64 v[18:19], v[22:23], v[8:9]
	v_add_f64 v[20:21], v[36:37], -v[20:21]
	v_add_f64 v[8:9], v[18:19], -v[8:9]
	v_add_f64 v[6:7], v[20:21], v[6:7]
	v_add_f64 v[8:9], v[22:23], -v[8:9]
	v_add_f64 v[6:7], v[6:7], v[8:9]
	v_cmp_le_f64_e32 vcc, 0.5, v[18:19]
	v_mov_b32_e32 v8, 0x3ff00000
	s_mov_b32 s10, 0x33145c07
	v_cndmask_b32_e32 v17, 0, v8, vcc
	v_addc_co_u32_e64 v1, s[0:1], 0, v1, vcc
	v_add_f64 v[8:9], v[18:19], -v[16:17]
	v_add_f64 v[16:17], v[8:9], v[6:7]
	s_mov_b32 s0, 0x54442d18
	v_add_f64 v[8:9], v[16:17], -v[8:9]
	s_mov_b32 s1, 0x3ff921fb
	v_add_f64 v[6:7], v[6:7], -v[8:9]
	v_mul_f64 v[8:9], v[16:17], s[0:1]
	v_fma_f64 v[18:19], v[16:17], s[0:1], -v[8:9]
	s_mov_b32 s11, 0x3c91a626
	v_fmac_f64_e32 v[18:19], s[10:11], v[16:17]
	v_fmac_f64_e32 v[18:19], s[0:1], v[6:7]
	v_add_f64 v[6:7], v[8:9], v[18:19]
	v_add_f64 v[8:9], v[6:7], -v[8:9]
	v_add_f64 v[8:9], v[18:19], -v[8:9]
	s_andn2_saveexec_b64 s[0:1], s[8:9]
	s_cbranch_execnz .LBB7_262
	s_branch .LBB7_263
.LBB7_261:
	s_andn2_saveexec_b64 s[0:1], s[8:9]
	s_cbranch_execz .LBB7_263
.LBB7_262:
	s_mov_b32 s8, 0x6dc9c883
	s_mov_b32 s9, 0x3fe45f30
	v_mul_f64 v[6:7], |v[4:5]|, s[8:9]
	s_mov_b32 s8, 0x54442d18
	v_rndne_f64_e32 v[16:17], v[6:7]
	s_mov_b32 s9, 0xbff921fb
	v_fma_f64 v[6:7], v[16:17], s[8:9], |v[4:5]|
	s_mov_b32 s9, 0xbc91a626
	s_mov_b32 s8, 0x33145c00
	v_mul_f64 v[18:19], v[16:17], s[8:9]
	v_add_f64 v[22:23], v[6:7], v[18:19]
	v_fma_f64 v[8:9], s[8:9], v[16:17], v[6:7]
	s_mov_b32 s9, 0x3c91a626
	v_add_f64 v[6:7], v[6:7], -v[22:23]
	v_fma_f64 v[20:21], s[8:9], v[16:17], v[18:19]
	v_add_f64 v[6:7], v[6:7], v[18:19]
	v_add_f64 v[18:19], v[22:23], -v[8:9]
	v_add_f64 v[6:7], v[18:19], v[6:7]
	s_mov_b32 s8, 0x252049c0
	v_add_f64 v[18:19], v[6:7], -v[20:21]
	s_mov_b32 s9, 0xb97b839a
	v_fmac_f64_e32 v[18:19], s[8:9], v[16:17]
	v_add_f64 v[6:7], v[8:9], v[18:19]
	v_add_f64 v[8:9], v[6:7], -v[8:9]
	v_add_f64 v[8:9], v[18:19], -v[8:9]
	v_cvt_i32_f64_e32 v1, v[16:17]
.LBB7_263:
	s_or_b64 exec, exec, s[0:1]
	v_div_scale_f64 v[16:17], s[0:1], v[10:11], v[10:11], 1.0
	v_rcp_f64_e32 v[18:19], v[16:17]
	v_div_scale_f64 v[20:21], vcc, 1.0, v[10:11], 1.0
	v_mov_b32_e32 v26, 0xaf76e73b
	v_fma_f64 v[22:23], -v[16:17], v[18:19], 1.0
	v_fmac_f64_e32 v[18:19], v[18:19], v[22:23]
	v_fma_f64 v[22:23], -v[16:17], v[18:19], 1.0
	v_fmac_f64_e32 v[18:19], v[18:19], v[22:23]
	v_mul_f64 v[22:23], v[20:21], v[18:19]
	v_fma_f64 v[16:17], -v[16:17], v[22:23], v[20:21]
	v_div_fmas_f64 v[16:17], v[16:17], v[18:19], v[22:23]
	v_div_fixup_f64 v[10:11], v[16:17], v[10:11], 1.0
	v_mul_f64 v[16:17], v[10:11], v[10:11]
	v_mov_b32_e32 v18, 0xd50ae6fb
	v_mov_b32_e32 v19, 0xbfc0db6c
	v_fmac_f64_e32 v[18:19], 0, v[16:17]
	v_mov_b32_e32 v20, 0x98566852
	v_mov_b32_e32 v21, 0xbfe40bee
	v_fmac_f64_e32 v[20:21], v[16:17], v[18:19]
	v_mov_b32_e32 v18, 0xc2f79f7d
	v_mov_b32_e32 v19, 0xbfe62e59
	v_fmac_f64_e32 v[18:19], v[16:17], v[20:21]
	v_mov_b32_e32 v20, 0x4bb3f40b
	v_mov_b32_e32 v21, 0xbfd1e7ea
	v_fmac_f64_e32 v[20:21], v[16:17], v[18:19]
	v_mov_b32_e32 v18, 0xf47dbd8a
	v_mov_b32_e32 v19, 0xbfa92f6e
	v_fmac_f64_e32 v[18:19], v[16:17], v[20:21]
	v_mov_b32_e32 v20, 0xc8d9e090
	v_mov_b32_e32 v21, 0xbf70a401
	v_fmac_f64_e32 v[20:21], v[16:17], v[18:19]
	v_mov_b32_e32 v18, 0xaf4b009c
	v_mov_b32_e32 v19, 0xbf24e06e
	v_fmac_f64_e32 v[18:19], v[16:17], v[20:21]
	v_mov_b32_e32 v20, 0x1d42366d
	v_mov_b32_e32 v21, 0xbec74a78
	v_fmac_f64_e32 v[20:21], v[16:17], v[18:19]
	v_mov_b32_e32 v18, 0x2572edf2
	v_mov_b32_e32 v19, 0x402ab64b
	v_fmac_f64_e32 v[18:19], 0, v[16:17]
	v_mov_b32_e32 v22, 0x44787b1a
	v_mov_b32_e32 v23, 0x4040575c
	v_fmac_f64_e32 v[22:23], v[16:17], v[18:19]
	v_mov_b32_e32 v18, 0xa3b73410
	v_mov_b32_e32 v19, 0x403abc98
	v_fmac_f64_e32 v[18:19], v[16:17], v[22:23]
	v_mov_b32_e32 v22, 0x2ac99873
	v_mov_b32_e32 v23, 0x40225fc8
	v_fmac_f64_e32 v[22:23], v[16:17], v[18:19]
	v_mov_b32_e32 v18, 0x39de9319
	v_mov_b32_e32 v19, 0x3ff79acb
	v_fmac_f64_e32 v[18:19], v[16:17], v[22:23]
	v_mov_b32_e32 v22, 0xb4045a2b
	v_mov_b32_e32 v23, 0x3fbd9dac
	v_fmac_f64_e32 v[22:23], v[16:17], v[18:19]
	v_mov_b32_e32 v18, 0xe03af617
	v_mov_b32_e32 v19, 0x3f7208ca
	v_fmac_f64_e32 v[18:19], v[16:17], v[22:23]
	v_mov_b32_e32 v27, 0x3f13c8d7
	v_fmac_f64_e32 v[26:27], v[16:17], v[18:19]
	v_mov_b32_e32 v22, 0xb99518a7
	v_mov_b32_e32 v23, 0x3e9e52b9
	v_mul_f64 v[28:29], v[12:13], v[12:13]
	v_fmac_f64_e32 v[22:23], v[16:17], v[26:27]
	v_mov_b32_e32 v26, 0xf68ea2d2
	v_mov_b32_e32 v27, 0xbe52041c
	v_mul_f64 v[18:19], v[28:29], 0.5
	v_fmac_f64_e32 v[26:27], v[16:17], v[20:21]
	v_add_f64 v[20:21], -v[18:19], 1.0
	s_mov_b32 s0, 0x9037ab78
	v_add_f64 v[30:31], -v[20:21], 1.0
	s_mov_b32 s1, 0x3e21eeb6
	s_mov_b32 s8, 0x46cc5e42
	v_add_f64 v[30:31], v[30:31], -v[18:19]
	s_mov_b32 s9, 0xbda907db
	v_mov_b64_e32 v[18:19], s[0:1]
	s_mov_b32 s10, 0xa17f65f6
	v_fma_f64 v[34:35], s[8:9], v[28:29], v[18:19]
	s_mov_b32 s11, 0xbe927e4f
	s_mov_b32 s12, 0x19f4ec90
	v_fma_f64 v[34:35], v[28:29], v[34:35], s[10:11]
	s_mov_b32 s13, 0x3efa01a0
	;; [unrolled: 3-line block ×4, first 2 shown]
	v_mul_f64 v[32:33], v[28:29], v[28:29]
	v_fma_f64 v[34:35], v[28:29], v[34:35], s[28:29]
	v_fma_f64 v[30:31], v[12:13], -v[14:15], v[30:31]
	s_mov_b32 s0, 0xb42fdfa7
	v_fmac_f64_e32 v[30:31], v[32:33], v[34:35]
	s_mov_b32 s1, 0xbe5ae600
	s_mov_b32 s30, 0xf9a43bb8
	v_add_f64 v[30:31], v[20:21], v[30:31]
	s_mov_b32 s31, 0x3de5e0b2
	v_mov_b64_e32 v[20:21], s[0:1]
	s_mov_b32 s50, 0x796cde01
	v_fma_f64 v[32:33], s[30:31], v[28:29], v[20:21]
	s_mov_b32 s51, 0x3ec71de3
	s_mov_b32 s52, 0x19e83e5c
	v_fma_f64 v[32:33], v[28:29], v[32:33], s[50:51]
	s_mov_b32 s53, 0xbf2a01a0
	;; [unrolled: 3-line block ×3, first 2 shown]
	v_fma_f64 v[32:33], v[28:29], v[32:33], s[54:55]
	v_mul_f64 v[34:35], v[12:13], -v[28:29]
	v_mul_f64 v[36:37], v[14:15], 0.5
	v_fmac_f64_e32 v[36:37], v[34:35], v[32:33]
	v_fma_f64 v[14:15], v[28:29], v[36:37], -v[14:15]
	s_mov_b32 s57, 0xbfc55555
	s_mov_b32 s56, s28
	v_fmac_f64_e32 v[14:15], s[56:57], v[34:35]
	v_add_f64 v[12:13], v[12:13], -v[14:15]
	v_and_b32_e32 v14, 1, v25
	v_cmp_eq_u32_e32 vcc, 0, v14
	s_brev_b32 s61, 1
	s_movk_i32 s62, 0x1f8
	v_cndmask_b32_e32 v28, v30, v12, vcc
	v_cndmask_b32_e32 v12, v31, v13, vcc
	v_lshlrev_b32_e32 v13, 30, v25
	v_xor_b32_e32 v13, v13, v5
	v_bitop3_b32 v25, v12, v13, s61 bitop3:0x78
	v_mul_f64 v[12:13], v[16:17], v[26:27]
	v_div_scale_f64 v[14:15], s[0:1], v[22:23], v[22:23], v[12:13]
	v_rcp_f64_e32 v[26:27], v[14:15]
	v_cmp_class_f64_e64 s[0:1], v[4:5], s62
	s_mov_b32 s62, 0
	s_brev_b32 s63, 8
	v_cndmask_b32_e64 v4, 0, v28, s[0:1]
	v_fma_f64 v[28:29], -v[14:15], v[26:27], 1.0
	v_fmac_f64_e32 v[26:27], v[26:27], v[28:29]
	v_fma_f64 v[28:29], -v[14:15], v[26:27], 1.0
	v_fmac_f64_e32 v[26:27], v[26:27], v[28:29]
	v_div_scale_f64 v[28:29], vcc, v[12:13], v[22:23], v[12:13]
	v_mul_f64 v[30:31], v[28:29], v[26:27]
	v_fma_f64 v[14:15], -v[14:15], v[30:31], v[28:29]
	v_mov_b32_e32 v28, 0xdb0724e8
	s_nop 0
	v_div_fmas_f64 v[14:15], v[14:15], v[26:27], v[30:31]
	v_div_fixup_f64 v[12:13], v[14:15], v[22:23], v[12:13]
	v_mov_b32_e32 v14, 0xddcfbbde
	v_mov_b32_e32 v15, 0x3f943525
	v_fmac_f64_e32 v[14:15], 0, v[16:17]
	v_mov_b32_e32 v22, 0x6437b7
	v_mov_b32_e32 v23, 0x3fd907d5
	v_fmac_f64_e32 v[22:23], v[16:17], v[14:15]
	;; [unrolled: 3-line block ×19, first 2 shown]
	v_mov_b32_e32 v22, 0x100
	v_cmp_gt_f64_e32 vcc, s[62:63], v[2:3]
	v_mov_b32_e32 v29, 0x3eb3a845
	v_fmac_f64_e32 v[28:29], v[16:17], v[26:27]
	v_cndmask_b32_e32 v22, 0, v22, vcc
	v_ldexp_f64 v[2:3], v[2:3], v22
	v_rsq_f64_e32 v[22:23], v[2:3]
	v_mov_b32_e32 v34, 0x7ff80000
	v_cndmask_b32_e64 v5, v34, v25, s[0:1]
	v_mov_b32_e32 v25, 0x260
	v_mul_f64 v[26:27], v[2:3], v[22:23]
	v_mul_f64 v[22:23], v[22:23], 0.5
	v_fma_f64 v[30:31], -v[22:23], v[26:27], 0.5
	v_fmac_f64_e32 v[26:27], v[26:27], v[30:31]
	v_fma_f64 v[32:33], -v[26:27], v[26:27], v[2:3]
	v_fmac_f64_e32 v[22:23], v[22:23], v[30:31]
	v_fmac_f64_e32 v[26:27], v[32:33], v[22:23]
	v_fma_f64 v[30:31], -v[26:27], v[26:27], v[2:3]
	v_fmac_f64_e32 v[26:27], v[30:31], v[22:23]
	v_mov_b32_e32 v22, 0xffffff80
	v_cndmask_b32_e32 v22, 0, v22, vcc
	v_ldexp_f64 v[22:23], v[26:27], v22
	v_cmp_class_f64_e32 vcc, v[2:3], v25
	s_mov_b32 s62, 0x50429b6d
	s_mov_b32 s63, 0x3fe20dd7
	v_cndmask_b32_e32 v3, v23, v3, vcc
	v_cndmask_b32_e32 v2, v22, v2, vcc
	v_div_scale_f64 v[22:23], s[64:65], v[2:3], v[2:3], s[62:63]
	v_rcp_f64_e32 v[26:27], v[22:23]
	v_mov_b32_e32 v30, 0x3dd589d4
	v_mov_b32_e32 v31, 0x3e351fc7
	v_fmac_f64_e32 v[30:31], v[16:17], v[28:29]
	v_fma_f64 v[16:17], -v[22:23], v[26:27], 1.0
	v_fmac_f64_e32 v[26:27], v[26:27], v[16:17]
	v_fma_f64 v[16:17], -v[22:23], v[26:27], 1.0
	v_fmac_f64_e32 v[26:27], v[26:27], v[16:17]
	v_div_scale_f64 v[16:17], vcc, s[62:63], v[2:3], s[62:63]
	v_mul_f64 v[28:29], v[16:17], v[26:27]
	v_fma_f64 v[16:17], -v[22:23], v[28:29], v[16:17]
	v_add_f64 v[12:13], v[12:13], 1.0
	s_nop 0
	v_div_fmas_f64 v[16:17], v[16:17], v[26:27], v[28:29]
	v_div_fixup_f64 v[2:3], v[16:17], v[2:3], s[62:63]
	v_mul_f64 v[16:17], v[6:7], v[6:7]
	v_mul_f64 v[22:23], v[16:17], 0.5
	v_fmac_f64_e32 v[18:19], s[8:9], v[16:17]
	v_add_f64 v[26:27], -v[22:23], 1.0
	v_fma_f64 v[18:19], v[16:17], v[18:19], s[10:11]
	v_add_f64 v[28:29], -v[26:27], 1.0
	v_fma_f64 v[18:19], v[16:17], v[18:19], s[12:13]
	v_add_f64 v[22:23], v[28:29], -v[22:23]
	v_fma_f64 v[18:19], v[16:17], v[18:19], s[14:15]
	v_fmac_f64_e32 v[20:21], s[30:31], v[16:17]
	v_mul_f64 v[28:29], v[16:17], v[16:17]
	v_fma_f64 v[18:19], v[16:17], v[18:19], s[28:29]
	v_fma_f64 v[22:23], v[6:7], -v[8:9], v[22:23]
	v_fma_f64 v[20:21], v[16:17], v[20:21], s[50:51]
	v_fmac_f64_e32 v[22:23], v[28:29], v[18:19]
	v_fma_f64 v[20:21], v[16:17], v[20:21], s[52:53]
	v_add_f64 v[18:19], v[26:27], v[22:23]
	v_fma_f64 v[20:21], v[16:17], v[20:21], s[54:55]
	v_mul_f64 v[22:23], v[6:7], -v[16:17]
	v_mul_f64 v[26:27], v[8:9], 0.5
	v_fmac_f64_e32 v[26:27], v[22:23], v[20:21]
	v_fma_f64 v[8:9], v[16:17], v[26:27], -v[8:9]
	v_fmac_f64_e32 v[8:9], s[56:57], v[22:23]
	v_add_f64 v[6:7], v[6:7], -v[8:9]
	v_and_b32_e32 v8, 1, v1
	v_xor_b32_e32 v7, 0x80000000, v7
	v_cmp_eq_u32_e32 vcc, 0, v8
	v_lshlrev_b32_e32 v1, 30, v1
	s_nop 0
	v_cndmask_b32_e32 v16, v6, v18, vcc
	v_cndmask_b32_e32 v17, v7, v19, vcc
	v_mul_f64 v[6:7], v[10:11], v[14:15]
	v_div_scale_f64 v[8:9], s[8:9], v[30:31], v[30:31], v[6:7]
	v_rcp_f64_e32 v[10:11], v[8:9]
	v_bitop3_b32 v1, v17, v1, s61 bitop3:0x78
	v_cndmask_b32_e64 v14, 0, v16, s[0:1]
	v_cndmask_b32_e64 v15, v34, v1, s[0:1]
	v_fma_f64 v[16:17], -v[8:9], v[10:11], 1.0
	v_fmac_f64_e32 v[10:11], v[10:11], v[16:17]
	v_fma_f64 v[16:17], -v[8:9], v[10:11], 1.0
	v_fmac_f64_e32 v[10:11], v[10:11], v[16:17]
	v_div_scale_f64 v[16:17], vcc, v[6:7], v[30:31], v[6:7]
	v_mul_f64 v[18:19], v[16:17], v[10:11]
	v_fma_f64 v[8:9], -v[8:9], v[18:19], v[16:17]
	s_nop 1
	v_div_fmas_f64 v[8:9], v[8:9], v[10:11], v[18:19]
	v_div_fixup_f64 v[6:7], v[8:9], v[30:31], v[6:7]
	v_mul_f64 v[6:7], v[6:7], v[14:15]
	v_fma_f64 v[4:5], v[12:13], v[4:5], -v[6:7]
	v_mul_f64 v[4:5], v[2:3], v[4:5]
.LBB7_264:
	s_or_b64 exec, exec, s[6:7]
.LBB7_265:
	s_or_b64 exec, exec, s[4:5]
.LBB7_266:
	s_or_b64 exec, exec, s[2:3]
	v_add_u32_e32 v24, 0x80, v24
	global_store_dwordx2 v0, v[4:5], s[16:17]
	s_or_b64 exec, exec, s[48:49]
	v_cmp_gt_i32_e32 vcc, s59, v24
	s_and_saveexec_b64 s[48:49], vcc
	s_cbranch_execz .LBB7_255
.LBB7_267:
	s_andn2_b64 vcc, exec, s[36:37]
	s_cbranch_vccnz .LBB7_273
; %bb.268:
	s_andn2_b64 vcc, exec, s[46:47]
	s_cbranch_vccnz .LBB7_274
; %bb.269:
	s_add_i32 s60, s60, 1
	s_cmp_eq_u32 s58, 2
	s_cbranch_scc1 .LBB7_275
; %bb.270:
	s_and_b32 s50, s60, 28
	s_mov_b32 s51, 0
	v_mov_b32_e32 v0, 0
	v_mov_b32_e32 v2, 0
	s_mov_b64 s[46:47], s[34:35]
	v_mov_b32_e32 v4, v24
.LBB7_271:                              ; =>This Inner Loop Header: Depth=1
	s_load_dwordx8 s[8:15], s[46:47], 0x4
	s_load_dwordx4 s[28:31], s[46:47], 0x24
	s_load_dwordx8 s[0:7], s[44:45], 0x0
	s_add_u32 s46, s46, 48
	s_addc_u32 s47, s47, 0
	s_waitcnt lgkmcnt(0)
	v_mul_hi_u32 v1, s9, v4
	v_add_u32_e32 v1, v4, v1
	v_lshrrev_b32_e32 v1, s10, v1
	v_mul_lo_u32 v3, v1, s8
	v_mul_hi_u32 v5, s12, v1
	v_sub_u32_e32 v3, v4, v3
	v_add_u32_e32 v4, v1, v5
	v_lshrrev_b32_e32 v4, s13, v4
	v_mul_lo_u32 v6, v4, s11
	v_mul_hi_u32 v7, s15, v4
	v_sub_u32_e32 v1, v1, v6
	v_add_u32_e32 v6, v4, v7
	v_mul_lo_u32 v5, v3, s1
	v_mul_lo_u32 v3, v3, s0
	;; [unrolled: 1-line block ×4, first 2 shown]
	v_lshrrev_b32_e32 v6, s28, v6
	v_add3_u32 v0, v3, v0, v1
	v_mul_hi_u32 v3, s30, v6
	v_add3_u32 v1, v5, v2, v7
	v_mul_lo_u32 v2, v6, s14
	v_add_u32_e32 v3, v6, v3
	v_sub_u32_e32 v2, v4, v2
	v_lshrrev_b32_e32 v4, s31, v3
	s_add_i32 s51, s51, 4
	v_mul_lo_u32 v3, v4, s29
	s_add_u32 s44, s44, 32
	v_sub_u32_e32 v3, v6, v3
	s_addc_u32 s45, s45, 0
	v_mul_lo_u32 v5, v2, s4
	v_mul_lo_u32 v2, v2, s5
	;; [unrolled: 1-line block ×4, first 2 shown]
	s_cmp_eq_u32 s50, s51
	v_add3_u32 v2, v2, v1, v3
	v_add3_u32 v0, v5, v0, v6
	s_cbranch_scc0 .LBB7_271
; %bb.272:
	v_mov_b32_e32 v1, v2
	s_branch .LBB7_276
.LBB7_273:
                                        ; implicit-def: $vgpr2
                                        ; implicit-def: $vgpr0
	s_branch .LBB7_280
.LBB7_274:
	v_mov_b32_e32 v2, 0
	v_mov_b32_e32 v0, 0
	s_branch .LBB7_279
.LBB7_275:
	v_mov_b32_e32 v0, 0
	s_mov_b32 s50, 0
	v_mov_b32_e32 v1, v0
                                        ; implicit-def: $vgpr2
	v_mov_b32_e32 v4, v24
.LBB7_276:
	s_and_b32 s4, s60, 3
	s_cmp_eq_u32 s4, 0
	s_cbranch_scc1 .LBB7_279
; %bb.277:
	s_lshl_b32 s0, s50, 3
	s_add_u32 s0, s34, s0
	s_addc_u32 s1, s35, 0
	s_add_u32 s0, s0, 0xc4
	s_addc_u32 s1, s1, 0
	s_mul_i32 s2, s50, 12
	s_add_u32 s2, s34, s2
	s_addc_u32 s3, s35, 0
.LBB7_278:                              ; =>This Inner Loop Header: Depth=1
	s_load_dwordx2 s[6:7], s[2:3], 0x4
	s_load_dword s5, s[2:3], 0xc
	s_load_dwordx2 s[8:9], s[0:1], 0x0
	v_mov_b32_e32 v2, v1
	s_add_u32 s2, s2, 12
	s_waitcnt lgkmcnt(0)
	v_mul_hi_u32 v1, s7, v4
	v_add_u32_e32 v1, v4, v1
	v_lshrrev_b32_e32 v1, s5, v1
	s_addc_u32 s3, s3, 0
	v_mul_lo_u32 v3, v1, s6
	s_add_u32 s0, s0, 8
	v_sub_u32_e32 v5, v4, v3
	s_addc_u32 s1, s1, 0
	s_add_i32 s4, s4, -1
	v_mov_b32_e32 v4, v1
	v_mad_u64_u32 v[2:3], s[6:7], v5, s9, v[2:3]
	v_mad_u64_u32 v[0:1], s[6:7], v5, s8, v[0:1]
	s_cmp_lg_u32 s4, 0
	v_mov_b32_e32 v1, v2
	s_cbranch_scc1 .LBB7_278
.LBB7_279:
	s_cbranch_execnz .LBB7_282
.LBB7_280:
	s_waitcnt lgkmcnt(0)
	v_mul_hi_u32 v0, s25, v24
	v_add_u32_e32 v0, v24, v0
	v_lshrrev_b32_e32 v1, s26, v0
	v_mul_lo_u32 v0, v1, s24
	v_sub_u32_e32 v0, v24, v0
	v_mul_lo_u32 v2, v0, s21
	s_andn2_b64 vcc, exec, s[42:43]
	v_mul_lo_u32 v0, v0, s20
	s_cbranch_vccnz .LBB7_282
; %bb.281:
	v_mul_hi_u32 v3, s40, v1
	v_add_u32_e32 v3, v1, v3
	v_lshrrev_b32_e32 v3, s41, v3
	v_mul_lo_u32 v3, v3, s27
	v_sub_u32_e32 v3, v1, v3
	v_mad_u64_u32 v[0:1], s[0:1], v3, s22, v[0:1]
	v_mad_u64_u32 v[2:3], s[0:1], v3, s23, v[2:3]
.LBB7_282:
	s_waitcnt lgkmcnt(0)
	global_load_dwordx2 v[2:3], v2, s[18:19]
	s_mov_b32 s0, 0
	s_mov_b32 s1, 0x7ff00000
	v_mov_b32_e32 v4, 0
	v_mov_b32_e32 v5, 0x7ff80000
	s_waitcnt vmcnt(0)
	v_cmp_neq_f64_e64 s[0:1], |v[2:3]|, s[0:1]
	s_and_saveexec_b64 s[2:3], s[0:1]
	s_cbranch_execz .LBB7_304
; %bb.283:
	s_mov_b32 s0, 0x872b020c
	s_mov_b32 s1, 0x4059f916
	v_cmp_nlt_f64_e32 vcc, s[0:1], v[2:3]
	v_mov_b64_e32 v[4:5], 0
	s_and_saveexec_b64 s[4:5], vcc
	s_cbranch_execz .LBB7_303
; %bb.284:
	s_mov_b32 s1, 0xc000b851
	s_mov_b32 s0, 0xeb851eb8
	v_cmp_ngt_f64_e32 vcc, s[0:1], v[2:3]
                                        ; implicit-def: $vgpr4_vgpr5
	s_and_saveexec_b64 s[6:7], vcc
	s_xor_b64 s[6:7], exec, s[6:7]
	s_cbranch_execz .LBB7_292
; %bb.285:
	s_mov_b32 s1, 0x4000b851
	v_cmp_nle_f64_e64 s[8:9], s[0:1], v[2:3]
	v_cmp_le_f64_e32 vcc, s[0:1], v[2:3]
	v_mov_b64_e32 v[4:5], 0
	s_mov_b64 s[0:1], s[8:9]
	s_and_saveexec_b64 s[10:11], vcc
	s_cbranch_execz .LBB7_287
; %bb.286:
	s_mov_b32 s0, 0
	s_brev_b32 s1, 8
	v_mov_b32_e32 v1, 0x100
	v_cmp_gt_f64_e32 vcc, s[0:1], v[2:3]
	v_mov_b32_e32 v20, 0xffffff80
	v_mov_b32_e32 v21, 0x260
	v_cndmask_b32_e32 v4, 0, v1, vcc
	v_ldexp_f64 v[4:5], v[2:3], v4
	v_rsq_f64_e32 v[6:7], v[4:5]
	v_add_f64 v[8:9], v[2:3], v[2:3]
	s_mov_b32 s12, 0
	s_mov_b32 s13, 0x40080000
	v_mul_f64 v[10:11], v[4:5], v[6:7]
	v_mul_f64 v[6:7], v[6:7], 0.5
	v_fma_f64 v[12:13], -v[6:7], v[10:11], 0.5
	v_fmac_f64_e32 v[10:11], v[10:11], v[12:13]
	v_fma_f64 v[14:15], -v[10:11], v[10:11], v[4:5]
	v_fmac_f64_e32 v[6:7], v[6:7], v[12:13]
	v_fmac_f64_e32 v[10:11], v[14:15], v[6:7]
	v_fma_f64 v[12:13], -v[10:11], v[10:11], v[4:5]
	v_fmac_f64_e32 v[10:11], v[12:13], v[6:7]
	v_cndmask_b32_e32 v6, 0, v20, vcc
	v_ldexp_f64 v[6:7], v[10:11], v6
	v_cmp_class_f64_e32 vcc, v[4:5], v21
	s_nop 1
	v_cndmask_b32_e32 v7, v7, v5, vcc
	v_cndmask_b32_e32 v6, v6, v4, vcc
	v_mul_f64 v[4:5], v[8:9], v[6:7]
	v_div_scale_f64 v[8:9], s[14:15], s[12:13], s[12:13], v[4:5]
	v_rcp_f64_e32 v[10:11], v[8:9]
	s_nop 0
	v_fma_f64 v[12:13], -v[8:9], v[10:11], 1.0
	v_fmac_f64_e32 v[10:11], v[10:11], v[12:13]
	v_fma_f64 v[12:13], -v[8:9], v[10:11], 1.0
	v_fmac_f64_e32 v[10:11], v[10:11], v[12:13]
	v_div_scale_f64 v[12:13], vcc, v[4:5], s[12:13], v[4:5]
	v_mul_f64 v[14:15], v[12:13], v[10:11]
	v_fma_f64 v[8:9], -v[8:9], v[14:15], v[12:13]
	s_nop 1
	v_div_fmas_f64 v[8:9], v[8:9], v[10:11], v[14:15]
	v_div_fixup_f64 v[4:5], v[8:9], s[12:13], v[4:5]
	v_div_scale_f64 v[8:9], s[12:13], v[4:5], v[4:5], 1.0
	v_rcp_f64_e32 v[10:11], v[8:9]
	s_nop 0
	v_fma_f64 v[12:13], -v[8:9], v[10:11], 1.0
	v_fmac_f64_e32 v[10:11], v[10:11], v[12:13]
	v_fma_f64 v[12:13], -v[8:9], v[10:11], 1.0
	v_fmac_f64_e32 v[10:11], v[10:11], v[12:13]
	v_div_scale_f64 v[12:13], vcc, 1.0, v[4:5], 1.0
	v_mul_f64 v[14:15], v[12:13], v[10:11]
	v_fma_f64 v[8:9], -v[8:9], v[14:15], v[12:13]
	v_mov_b32_e32 v12, 0x871a9067
	s_nop 0
	v_div_fmas_f64 v[8:9], v[8:9], v[10:11], v[14:15]
	v_div_fixup_f64 v[8:9], v[8:9], v[4:5], 1.0
	v_mov_b32_e32 v10, 0x2537b658
	v_mov_b32_e32 v11, 0x3fd62dae
	v_fmac_f64_e32 v[10:11], 0, v[8:9]
	v_mov_b32_e32 v13, 0x402803e3
	v_fmac_f64_e32 v[12:13], v[8:9], v[10:11]
	v_mov_b32_e32 v10, 0xde2e1e3
	v_mov_b32_e32 v11, 0x405311e5
	v_fmac_f64_e32 v[10:11], v[8:9], v[12:13]
	v_mov_b32_e32 v12, 0xee40073c
	;; [unrolled: 3-line block ×12, first 2 shown]
	v_mov_b32_e32 v13, 0x402c311b
	v_fmac_f64_e32 v[12:13], v[8:9], v[14:15]
	v_fma_f64 v[12:13], v[8:9], v[12:13], 1.0
	v_fma_f64 v[8:9], v[8:9], v[10:11], 1.0
	v_div_scale_f64 v[10:11], s[12:13], v[12:13], v[12:13], v[8:9]
	v_rcp_f64_e32 v[14:15], v[10:11]
	s_nop 0
	v_fma_f64 v[16:17], -v[10:11], v[14:15], 1.0
	v_fmac_f64_e32 v[14:15], v[14:15], v[16:17]
	v_fma_f64 v[16:17], -v[10:11], v[14:15], 1.0
	v_fmac_f64_e32 v[14:15], v[14:15], v[16:17]
	v_div_scale_f64 v[16:17], vcc, v[8:9], v[12:13], v[8:9]
	v_mul_f64 v[18:19], v[16:17], v[14:15]
	v_fma_f64 v[10:11], -v[10:11], v[18:19], v[16:17]
	s_nop 1
	v_div_fmas_f64 v[10:11], v[10:11], v[14:15], v[18:19]
	v_cmp_gt_f64_e32 vcc, s[0:1], v[6:7]
	v_div_fixup_f64 v[8:9], v[10:11], v[12:13], v[8:9]
	s_mov_b32 s0, 0x50429b6d
	v_cndmask_b32_e32 v1, 0, v1, vcc
	v_ldexp_f64 v[10:11], v[6:7], v1
	v_rsq_f64_e32 v[12:13], v[10:11]
	s_mov_b32 s1, 0x3fe20dd7
	v_mul_f64 v[6:7], v[8:9], s[0:1]
	v_cndmask_b32_e32 v1, 0, v20, vcc
	v_mul_f64 v[8:9], v[10:11], v[12:13]
	v_mul_f64 v[12:13], v[12:13], 0.5
	v_fma_f64 v[14:15], -v[12:13], v[8:9], 0.5
	v_fmac_f64_e32 v[8:9], v[8:9], v[14:15]
	v_fma_f64 v[16:17], -v[8:9], v[8:9], v[10:11]
	v_fmac_f64_e32 v[12:13], v[12:13], v[14:15]
	v_fmac_f64_e32 v[8:9], v[16:17], v[12:13]
	v_fma_f64 v[14:15], -v[8:9], v[8:9], v[10:11]
	v_fmac_f64_e32 v[8:9], v[14:15], v[12:13]
	s_mov_b32 s0, 0x652b82fe
	v_ldexp_f64 v[8:9], v[8:9], v1
	v_cmp_class_f64_e32 vcc, v[10:11], v21
	s_mov_b32 s1, 0x3ff71547
	v_mov_b32_e32 v14, 0xfca7ab0c
	v_cndmask_b32_e32 v9, v9, v11, vcc
	v_cndmask_b32_e32 v8, v8, v10, vcc
	v_mul_f64 v[10:11], v[4:5], s[0:1]
	s_mov_b32 s0, 0xfefa39ef
	v_rndne_f64_e32 v[10:11], v[10:11]
	s_mov_b32 s1, 0xbfe62e42
	v_fma_f64 v[12:13], s[0:1], v[10:11], v[4:5]
	s_mov_b32 s0, 0x3b39803f
	s_mov_b32 s1, 0xbc7abc9e
	v_fmac_f64_e32 v[12:13], s[0:1], v[10:11]
	s_mov_b32 s0, 0x6a5dcb37
	v_mov_b32_e32 v15, 0x3e928af3
	s_mov_b32 s1, 0x3e5ade15
	v_fmac_f64_e32 v[14:15], s[0:1], v[12:13]
	v_mov_b32_e32 v16, 0x623fde64
	v_mov_b32_e32 v17, 0x3ec71dee
	v_fmac_f64_e32 v[16:17], v[12:13], v[14:15]
	v_mov_b32_e32 v14, 0x7c89e6b0
	v_mov_b32_e32 v15, 0x3efa0199
	;; [unrolled: 3-line block ×8, first 2 shown]
	s_mov_b32 s0, 0
	v_fmac_f64_e32 v[14:15], v[12:13], v[16:17]
	s_mov_b32 s1, 0x40900000
	v_fma_f64 v[14:15], v[12:13], v[14:15], 1.0
	v_cmp_nlt_f64_e32 vcc, s[0:1], v[4:5]
	s_mov_b32 s0, 0
	v_fma_f64 v[12:13], v[12:13], v[14:15], 1.0
	v_cvt_i32_f64_e32 v1, v[10:11]
	s_mov_b32 s1, 0xc090cc00
	v_ldexp_f64 v[10:11], v[12:13], v1
	v_mov_b32_e32 v1, 0x7ff00000
	v_cmp_ngt_f64_e64 s[0:1], s[0:1], v[4:5]
	v_cndmask_b32_e32 v1, v1, v11, vcc
	s_and_b64 vcc, s[0:1], vcc
	v_add_f64 v[8:9], v[8:9], v[8:9]
	v_cndmask_b32_e64 v5, 0, v1, s[0:1]
	v_cndmask_b32_e32 v4, 0, v10, vcc
	v_mul_f64 v[4:5], v[8:9], v[4:5]
	v_div_scale_f64 v[8:9], s[0:1], v[4:5], v[4:5], v[6:7]
	v_rcp_f64_e32 v[10:11], v[8:9]
	s_mov_b32 s0, 0xfd0a823a
	s_mov_b32 s1, 0x4020a402
	v_fma_f64 v[12:13], -v[8:9], v[10:11], 1.0
	v_fmac_f64_e32 v[10:11], v[10:11], v[12:13]
	v_fma_f64 v[12:13], -v[8:9], v[10:11], 1.0
	v_fmac_f64_e32 v[10:11], v[10:11], v[12:13]
	v_div_scale_f64 v[12:13], vcc, v[6:7], v[4:5], v[6:7]
	v_mul_f64 v[14:15], v[12:13], v[10:11]
	v_fma_f64 v[8:9], -v[8:9], v[14:15], v[12:13]
	s_nop 1
	v_div_fmas_f64 v[8:9], v[8:9], v[10:11], v[14:15]
	v_cmp_nlt_f64_e32 vcc, s[0:1], v[2:3]
	s_andn2_b64 s[0:1], s[8:9], exec
	s_and_b64 s[12:13], vcc, exec
	v_div_fixup_f64 v[4:5], v[8:9], v[4:5], v[6:7]
	s_or_b64 s[0:1], s[0:1], s[12:13]
.LBB7_287:
	s_or_b64 exec, exec, s[10:11]
	s_and_saveexec_b64 s[10:11], s[0:1]
	s_cbranch_execz .LBB7_291
; %bb.288:
	v_mul_f64 v[6:7], v[2:3], v[2:3]
	s_mov_b32 s14, 0
	v_mul_f64 v[8:9], v[2:3], v[6:7]
	v_mov_b64_e32 v[14:15], 1.0
	s_mov_b64 s[12:13], 0
	v_mov_b64_e32 v[12:13], 1.0
	s_mov_b32 s15, 0x3cb00000
	v_mov_b64_e32 v[10:11], v[2:3]
	v_mov_b64_e32 v[6:7], 1.0
.LBB7_289:                              ; =>This Inner Loop Header: Depth=1
	v_mul_f64 v[14:15], v[8:9], v[14:15]
	v_add_f64 v[16:17], v[12:13], 1.0
	v_mul_f64 v[2:3], v[8:9], v[2:3]
	v_div_scale_f64 v[18:19], s[0:1], v[16:17], v[16:17], v[14:15]
	v_add_f64 v[22:23], v[16:17], 1.0
	v_rcp_f64_e32 v[24:25], v[18:19]
	v_div_scale_f64 v[26:27], s[0:1], v[22:23], v[22:23], v[2:3]
	v_rcp_f64_e32 v[30:31], v[26:27]
	v_fma_f64 v[32:33], -v[18:19], v[24:25], 1.0
	v_fmac_f64_e32 v[24:25], v[24:25], v[32:33]
	v_fma_f64 v[34:35], -v[18:19], v[24:25], 1.0
	v_fma_f64 v[32:33], -v[26:27], v[30:31], 1.0
	v_fmac_f64_e32 v[30:31], v[30:31], v[32:33]
	v_div_scale_f64 v[20:21], vcc, v[14:15], v[16:17], v[14:15]
	v_fmac_f64_e32 v[24:25], v[24:25], v[34:35]
	v_fma_f64 v[32:33], -v[26:27], v[30:31], 1.0
	v_div_scale_f64 v[28:29], s[0:1], v[2:3], v[22:23], v[2:3]
	v_mul_f64 v[34:35], v[20:21], v[24:25]
	v_fmac_f64_e32 v[30:31], v[30:31], v[32:33]
	v_fma_f64 v[18:19], -v[18:19], v[34:35], v[20:21]
	v_mul_f64 v[20:21], v[28:29], v[30:31]
	v_div_fmas_f64 v[18:19], v[18:19], v[24:25], v[34:35]
	v_fma_f64 v[24:25], -v[26:27], v[20:21], v[28:29]
	s_mov_b64 vcc, s[0:1]
	v_div_fixup_f64 v[14:15], v[18:19], v[16:17], v[14:15]
	v_div_fmas_f64 v[16:17], v[24:25], v[30:31], v[20:21]
	v_div_fixup_f64 v[2:3], v[16:17], v[22:23], v[2:3]
	v_div_scale_f64 v[16:17], s[0:1], v[22:23], v[22:23], v[14:15]
	v_add_f64 v[12:13], v[22:23], 1.0
	v_rcp_f64_e32 v[20:21], v[16:17]
	v_div_scale_f64 v[24:25], s[0:1], v[12:13], v[12:13], v[2:3]
	v_rcp_f64_e32 v[28:29], v[24:25]
	v_fma_f64 v[30:31], -v[16:17], v[20:21], 1.0
	v_fmac_f64_e32 v[20:21], v[20:21], v[30:31]
	v_fma_f64 v[32:33], -v[16:17], v[20:21], 1.0
	v_fma_f64 v[30:31], -v[24:25], v[28:29], 1.0
	v_div_scale_f64 v[18:19], vcc, v[14:15], v[22:23], v[14:15]
	v_fmac_f64_e32 v[28:29], v[28:29], v[30:31]
	v_fmac_f64_e32 v[20:21], v[20:21], v[32:33]
	v_fma_f64 v[30:31], -v[24:25], v[28:29], 1.0
	v_mul_f64 v[32:33], v[18:19], v[20:21]
	v_div_scale_f64 v[26:27], s[0:1], v[2:3], v[12:13], v[2:3]
	v_fmac_f64_e32 v[28:29], v[28:29], v[30:31]
	v_fma_f64 v[16:17], -v[16:17], v[32:33], v[18:19]
	v_mul_f64 v[18:19], v[26:27], v[28:29]
	v_div_fmas_f64 v[16:17], v[16:17], v[20:21], v[32:33]
	v_fma_f64 v[20:21], -v[24:25], v[18:19], v[26:27]
	v_div_fixup_f64 v[14:15], v[16:17], v[22:23], v[14:15]
	s_mov_b64 vcc, s[0:1]
	v_div_fmas_f64 v[16:17], v[20:21], v[28:29], v[18:19]
	v_add_f64 v[6:7], v[6:7], v[14:15]
	v_div_fixup_f64 v[2:3], v[16:17], v[12:13], v[2:3]
	v_div_scale_f64 v[16:17], s[0:1], v[6:7], v[6:7], v[14:15]
	v_rcp_f64_e32 v[18:19], v[16:17]
	v_div_scale_f64 v[20:21], vcc, v[14:15], v[6:7], v[14:15]
	v_add_f64 v[10:11], v[10:11], v[2:3]
	v_fma_f64 v[22:23], -v[16:17], v[18:19], 1.0
	v_fmac_f64_e32 v[18:19], v[18:19], v[22:23]
	v_fma_f64 v[22:23], -v[16:17], v[18:19], 1.0
	v_fmac_f64_e32 v[18:19], v[18:19], v[22:23]
	v_mul_f64 v[22:23], v[20:21], v[18:19]
	v_fma_f64 v[16:17], -v[16:17], v[22:23], v[20:21]
	v_div_fmas_f64 v[16:17], v[16:17], v[18:19], v[22:23]
	v_div_fixup_f64 v[16:17], v[16:17], v[6:7], v[14:15]
	v_cmp_ngt_f64_e64 s[0:1], |v[16:17]|, s[14:15]
	s_or_b64 s[12:13], s[0:1], s[12:13]
	s_andn2_b64 exec, exec, s[12:13]
	s_cbranch_execnz .LBB7_289
; %bb.290:
	s_or_b64 exec, exec, s[12:13]
	s_mov_b32 s0, 0x42b70f8b
	s_mov_b32 s1, 0xbfd0907f
	v_mul_f64 v[2:3], v[10:11], s[0:1]
	s_mov_b32 s0, 0x962715b8
	s_mov_b32 s1, 0x3fd6b8c7
	v_fmac_f64_e32 v[2:3], s[0:1], v[6:7]
	v_cndmask_b32_e64 v5, v5, v3, s[8:9]
	v_cndmask_b32_e64 v4, v4, v2, s[8:9]
.LBB7_291:
	s_or_b64 exec, exec, s[10:11]
                                        ; implicit-def: $vgpr2_vgpr3
.LBB7_292:
	s_andn2_saveexec_b64 s[6:7], s[6:7]
	s_cbranch_execz .LBB7_302
; %bb.293:
	s_mov_b32 s0, 0
	s_brev_b32 s1, 9
	v_mov_b32_e32 v1, 0x100
	v_cmp_lt_f64_e32 vcc, s[0:1], v[2:3]
	v_mul_f64 v[8:9], v[2:3], -2.0
	s_mov_b32 s8, 0
	v_cndmask_b32_e32 v1, 0, v1, vcc
	v_ldexp_f64 v[4:5], -v[2:3], v1
	v_rsq_f64_e32 v[6:7], v[4:5]
	v_mov_b32_e32 v1, 0xffffff80
	v_cndmask_b32_e32 v1, 0, v1, vcc
	s_mov_b32 s9, 0x40080000
	v_mul_f64 v[2:3], v[4:5], v[6:7]
	v_mul_f64 v[6:7], v[6:7], 0.5
	v_fma_f64 v[10:11], -v[6:7], v[2:3], 0.5
	v_fmac_f64_e32 v[2:3], v[2:3], v[10:11]
	v_fma_f64 v[12:13], -v[2:3], v[2:3], v[4:5]
	v_fmac_f64_e32 v[6:7], v[6:7], v[10:11]
	v_fmac_f64_e32 v[2:3], v[12:13], v[6:7]
	v_fma_f64 v[10:11], -v[2:3], v[2:3], v[4:5]
	v_fmac_f64_e32 v[2:3], v[10:11], v[6:7]
	v_ldexp_f64 v[2:3], v[2:3], v1
	v_mov_b32_e32 v1, 0x260
	v_cmp_class_f64_e32 vcc, v[4:5], v1
	s_mov_b32 s11, 0x3fe921fb
	s_mov_b32 s10, 0x54442d18
	v_cndmask_b32_e32 v3, v3, v5, vcc
	v_cndmask_b32_e32 v2, v2, v4, vcc
	v_mul_f64 v[4:5], v[8:9], v[2:3]
	v_div_scale_f64 v[6:7], s[0:1], s[8:9], s[8:9], v[4:5]
	v_rcp_f64_e32 v[8:9], v[6:7]
	s_movk_i32 s0, 0xff80
                                        ; implicit-def: $vgpr24
                                        ; implicit-def: $vgpr14_vgpr15
	v_fma_f64 v[10:11], -v[6:7], v[8:9], 1.0
	v_fmac_f64_e32 v[8:9], v[8:9], v[10:11]
	v_fma_f64 v[10:11], -v[6:7], v[8:9], 1.0
	v_fmac_f64_e32 v[8:9], v[8:9], v[10:11]
	v_div_scale_f64 v[10:11], vcc, v[4:5], s[8:9], v[4:5]
	v_mul_f64 v[12:13], v[10:11], v[8:9]
	v_fma_f64 v[6:7], -v[6:7], v[12:13], v[10:11]
	s_nop 1
	v_div_fmas_f64 v[6:7], v[6:7], v[8:9], v[12:13]
	v_div_fixup_f64 v[10:11], v[6:7], s[8:9], v[4:5]
	s_mov_b32 s8, 0
	v_add_f64 v[4:5], v[10:11], s[10:11]
	s_mov_b32 s9, 0x41d00000
	v_cmp_nlt_f64_e64 s[8:9], |v[4:5]|, s[8:9]
                                        ; implicit-def: $vgpr12_vgpr13
	s_and_saveexec_b64 s[12:13], s[8:9]
	s_xor_b64 s[12:13], exec, s[12:13]
	s_cbranch_execz .LBB7_295
; %bb.294:
	s_mov_b32 s14, 0
	s_mov_b32 s15, 0x7b000000
	v_and_b32_e32 v1, 0x7fffffff, v5
	v_ldexp_f64 v[12:13], |v[4:5]|, s0
	v_cmp_ge_f64_e64 vcc, |v[4:5]|, s[14:15]
	v_trig_preop_f64 v[6:7], |v[4:5]|, 0
	v_trig_preop_f64 v[8:9], |v[4:5]|, 1
	v_cndmask_b32_e32 v13, v1, v13, vcc
	v_cndmask_b32_e32 v12, v4, v12, vcc
	v_mul_f64 v[16:17], v[6:7], v[12:13]
	v_mul_f64 v[14:15], v[8:9], v[12:13]
	v_fma_f64 v[6:7], v[6:7], v[12:13], -v[16:17]
	v_add_f64 v[18:19], v[14:15], v[6:7]
	v_add_f64 v[26:27], v[18:19], -v[14:15]
	v_add_f64 v[6:7], v[6:7], -v[26:27]
	;; [unrolled: 1-line block ×4, first 2 shown]
	v_fma_f64 v[8:9], v[8:9], v[12:13], -v[14:15]
	v_trig_preop_f64 v[14:15], |v[4:5]|, 2
	v_add_f64 v[6:7], v[6:7], v[26:27]
	v_mul_f64 v[26:27], v[14:15], v[12:13]
	v_add_f64 v[28:29], v[26:27], v[8:9]
	v_add_f64 v[20:21], v[16:17], v[18:19]
	;; [unrolled: 1-line block ×3, first 2 shown]
	v_ldexp_f64 v[22:23], v[20:21], -2
	v_add_f64 v[16:17], v[20:21], -v[16:17]
	v_add_f64 v[20:21], v[30:31], -v[28:29]
	;; [unrolled: 1-line block ×5, first 2 shown]
	v_add_f64 v[6:7], v[6:7], v[20:21]
	v_add_f64 v[20:21], v[28:29], -v[26:27]
	v_add_f64 v[8:9], v[8:9], -v[20:21]
	;; [unrolled: 1-line block ×4, first 2 shown]
	v_add_f64 v[8:9], v[8:9], v[20:21]
	s_mov_b32 s0, 0
	v_fract_f64_e32 v[24:25], v[22:23]
	v_add_f64 v[6:7], v[8:9], v[6:7]
	v_fma_f64 v[8:9], v[14:15], v[12:13], -v[26:27]
	s_mov_b32 s1, 0x7ff00000
	v_add_f64 v[16:17], v[18:19], -v[16:17]
	v_add_f64 v[6:7], v[8:9], v[6:7]
	v_ldexp_f64 v[8:9], v[24:25], 2
	v_cmp_neq_f64_e64 vcc, |v[22:23]|, s[0:1]
	v_add_f64 v[18:19], v[16:17], v[30:31]
	v_mov_b32_e32 v1, 0x40100000
	v_cndmask_b32_e32 v9, 0, v9, vcc
	v_cndmask_b32_e32 v8, 0, v8, vcc
	v_add_f64 v[12:13], v[18:19], v[8:9]
	v_cmp_gt_f64_e32 vcc, 0, v[12:13]
	v_mov_b32_e32 v12, 0
	v_add_f64 v[16:17], v[18:19], -v[16:17]
	v_cndmask_b32_e32 v13, 0, v1, vcc
	v_add_f64 v[8:9], v[8:9], v[12:13]
	v_add_f64 v[14:15], v[18:19], v[8:9]
	v_cvt_i32_f64_e32 v1, v[14:15]
	v_cvt_f64_i32_e32 v[14:15], v1
	v_add_f64 v[8:9], v[8:9], -v[14:15]
	v_add_f64 v[14:15], v[18:19], v[8:9]
	v_cmp_le_f64_e32 vcc, 0.5, v[14:15]
	v_add_f64 v[16:17], v[30:31], -v[16:17]
	v_add_f64 v[8:9], v[14:15], -v[8:9]
	v_addc_co_u32_e64 v24, s[0:1], 0, v1, vcc
	v_mov_b32_e32 v1, 0x3ff00000
	v_add_f64 v[6:7], v[16:17], v[6:7]
	v_add_f64 v[8:9], v[18:19], -v[8:9]
	v_cndmask_b32_e32 v13, 0, v1, vcc
	v_add_f64 v[6:7], v[6:7], v[8:9]
	v_add_f64 v[8:9], v[14:15], -v[12:13]
	v_add_f64 v[12:13], v[8:9], v[6:7]
	v_add_f64 v[8:9], v[12:13], -v[8:9]
	s_mov_b32 s11, 0x3ff921fb
	v_add_f64 v[6:7], v[6:7], -v[8:9]
	v_mul_f64 v[8:9], v[12:13], s[10:11]
	s_mov_b32 s0, 0x33145c07
	v_fma_f64 v[14:15], v[12:13], s[10:11], -v[8:9]
	s_mov_b32 s1, 0x3c91a626
	v_fmac_f64_e32 v[14:15], s[0:1], v[12:13]
	v_fmac_f64_e32 v[14:15], s[10:11], v[6:7]
	v_add_f64 v[12:13], v[8:9], v[14:15]
	v_add_f64 v[6:7], v[12:13], -v[8:9]
	v_add_f64 v[14:15], v[14:15], -v[6:7]
	s_andn2_saveexec_b64 s[0:1], s[12:13]
	s_cbranch_execz .LBB7_297
	s_branch .LBB7_296
.LBB7_295:
	s_andn2_saveexec_b64 s[0:1], s[12:13]
	s_cbranch_execz .LBB7_297
.LBB7_296:
	s_mov_b32 s10, 0x6dc9c883
	s_mov_b32 s11, 0x3fe45f30
	v_mul_f64 v[6:7], |v[4:5]|, s[10:11]
	s_mov_b32 s10, 0x54442d18
	v_rndne_f64_e32 v[6:7], v[6:7]
	s_mov_b32 s11, 0xbff921fb
	v_fma_f64 v[8:9], v[6:7], s[10:11], |v[4:5]|
	s_mov_b32 s11, 0xbc91a626
	s_mov_b32 s10, 0x33145c00
	v_mul_f64 v[12:13], v[6:7], s[10:11]
	v_add_f64 v[18:19], v[8:9], v[12:13]
	v_fma_f64 v[14:15], s[10:11], v[6:7], v[8:9]
	s_mov_b32 s11, 0x3c91a626
	v_add_f64 v[8:9], v[8:9], -v[18:19]
	v_fma_f64 v[16:17], s[10:11], v[6:7], v[12:13]
	v_add_f64 v[8:9], v[8:9], v[12:13]
	v_add_f64 v[12:13], v[18:19], -v[14:15]
	v_add_f64 v[8:9], v[12:13], v[8:9]
	s_mov_b32 s10, 0x252049c0
	v_add_f64 v[8:9], v[8:9], -v[16:17]
	s_mov_b32 s11, 0xb97b839a
	v_fmac_f64_e32 v[8:9], s[10:11], v[6:7]
	v_add_f64 v[12:13], v[14:15], v[8:9]
	v_add_f64 v[14:15], v[12:13], -v[14:15]
	v_add_f64 v[14:15], v[8:9], -v[14:15]
	v_cvt_i32_f64_e32 v24, v[6:7]
.LBB7_297:
	s_or_b64 exec, exec, s[0:1]
                                        ; implicit-def: $vgpr1
                                        ; implicit-def: $vgpr6_vgpr7
                                        ; implicit-def: $vgpr8_vgpr9
	s_and_saveexec_b64 s[0:1], s[8:9]
	s_xor_b64 s[8:9], exec, s[0:1]
	s_cbranch_execz .LBB7_299
; %bb.298:
	s_mov_b32 s0, 0
	s_mov_b32 s1, 0x7b000000
	s_movk_i32 s10, 0xff80
	v_and_b32_e32 v1, 0x7fffffff, v5
	v_ldexp_f64 v[16:17], |v[4:5]|, s10
	v_cmp_ge_f64_e64 vcc, |v[4:5]|, s[0:1]
	v_trig_preop_f64 v[6:7], |v[4:5]|, 0
	v_trig_preop_f64 v[8:9], |v[4:5]|, 1
	v_cndmask_b32_e32 v17, v1, v17, vcc
	v_cndmask_b32_e32 v16, v4, v16, vcc
	v_mul_f64 v[20:21], v[6:7], v[16:17]
	v_mul_f64 v[18:19], v[8:9], v[16:17]
	v_fma_f64 v[6:7], v[6:7], v[16:17], -v[20:21]
	v_add_f64 v[22:23], v[18:19], v[6:7]
	v_add_f64 v[32:33], v[22:23], -v[18:19]
	v_add_f64 v[6:7], v[6:7], -v[32:33]
	v_add_f64 v[32:33], v[22:23], -v[32:33]
	v_add_f64 v[32:33], v[18:19], -v[32:33]
	v_fma_f64 v[8:9], v[8:9], v[16:17], -v[18:19]
	v_trig_preop_f64 v[18:19], |v[4:5]|, 2
	v_add_f64 v[6:7], v[6:7], v[32:33]
	v_mul_f64 v[32:33], v[18:19], v[16:17]
	v_add_f64 v[34:35], v[32:33], v[8:9]
	v_add_f64 v[26:27], v[20:21], v[22:23]
	;; [unrolled: 1-line block ×3, first 2 shown]
	v_ldexp_f64 v[28:29], v[26:27], -2
	v_add_f64 v[20:21], v[26:27], -v[20:21]
	v_add_f64 v[26:27], v[36:37], -v[34:35]
	v_add_f64 v[6:7], v[6:7], -v[26:27]
	v_add_f64 v[26:27], v[36:37], -v[26:27]
	v_add_f64 v[26:27], v[34:35], -v[26:27]
	v_add_f64 v[6:7], v[6:7], v[26:27]
	v_add_f64 v[26:27], v[34:35], -v[32:33]
	v_add_f64 v[8:9], v[8:9], -v[26:27]
	;; [unrolled: 1-line block ×4, first 2 shown]
	v_add_f64 v[8:9], v[8:9], v[26:27]
	s_mov_b32 s0, 0
	v_fract_f64_e32 v[30:31], v[28:29]
	v_add_f64 v[6:7], v[8:9], v[6:7]
	v_fma_f64 v[8:9], v[18:19], v[16:17], -v[32:33]
	s_mov_b32 s1, 0x7ff00000
	v_add_f64 v[20:21], v[22:23], -v[20:21]
	v_add_f64 v[6:7], v[8:9], v[6:7]
	v_ldexp_f64 v[8:9], v[30:31], 2
	v_cmp_neq_f64_e64 vcc, |v[28:29]|, s[0:1]
	v_add_f64 v[22:23], v[20:21], v[36:37]
	v_mov_b32_e32 v1, 0x40100000
	v_cndmask_b32_e32 v9, 0, v9, vcc
	v_cndmask_b32_e32 v8, 0, v8, vcc
	v_add_f64 v[16:17], v[22:23], v[8:9]
	v_cmp_gt_f64_e32 vcc, 0, v[16:17]
	v_mov_b32_e32 v16, 0
	v_add_f64 v[20:21], v[22:23], -v[20:21]
	v_cndmask_b32_e32 v17, 0, v1, vcc
	v_add_f64 v[8:9], v[8:9], v[16:17]
	v_add_f64 v[18:19], v[22:23], v[8:9]
	v_cvt_i32_f64_e32 v1, v[18:19]
	v_cvt_f64_i32_e32 v[18:19], v1
	v_add_f64 v[8:9], v[8:9], -v[18:19]
	v_add_f64 v[18:19], v[22:23], v[8:9]
	v_add_f64 v[20:21], v[36:37], -v[20:21]
	v_add_f64 v[8:9], v[18:19], -v[8:9]
	v_add_f64 v[6:7], v[20:21], v[6:7]
	v_add_f64 v[8:9], v[22:23], -v[8:9]
	v_add_f64 v[6:7], v[6:7], v[8:9]
	v_cmp_le_f64_e32 vcc, 0.5, v[18:19]
	v_mov_b32_e32 v8, 0x3ff00000
	s_mov_b32 s10, 0x33145c07
	v_cndmask_b32_e32 v17, 0, v8, vcc
	v_addc_co_u32_e64 v1, s[0:1], 0, v1, vcc
	v_add_f64 v[8:9], v[18:19], -v[16:17]
	v_add_f64 v[16:17], v[8:9], v[6:7]
	s_mov_b32 s0, 0x54442d18
	v_add_f64 v[8:9], v[16:17], -v[8:9]
	s_mov_b32 s1, 0x3ff921fb
	v_add_f64 v[6:7], v[6:7], -v[8:9]
	v_mul_f64 v[8:9], v[16:17], s[0:1]
	v_fma_f64 v[18:19], v[16:17], s[0:1], -v[8:9]
	s_mov_b32 s11, 0x3c91a626
	v_fmac_f64_e32 v[18:19], s[10:11], v[16:17]
	v_fmac_f64_e32 v[18:19], s[0:1], v[6:7]
	v_add_f64 v[6:7], v[8:9], v[18:19]
	v_add_f64 v[8:9], v[6:7], -v[8:9]
	v_add_f64 v[8:9], v[18:19], -v[8:9]
	s_andn2_saveexec_b64 s[0:1], s[8:9]
	s_cbranch_execnz .LBB7_300
	s_branch .LBB7_301
.LBB7_299:
	s_andn2_saveexec_b64 s[0:1], s[8:9]
	s_cbranch_execz .LBB7_301
.LBB7_300:
	s_mov_b32 s8, 0x6dc9c883
	s_mov_b32 s9, 0x3fe45f30
	v_mul_f64 v[6:7], |v[4:5]|, s[8:9]
	s_mov_b32 s8, 0x54442d18
	v_rndne_f64_e32 v[16:17], v[6:7]
	s_mov_b32 s9, 0xbff921fb
	v_fma_f64 v[6:7], v[16:17], s[8:9], |v[4:5]|
	s_mov_b32 s9, 0xbc91a626
	s_mov_b32 s8, 0x33145c00
	v_mul_f64 v[18:19], v[16:17], s[8:9]
	v_add_f64 v[22:23], v[6:7], v[18:19]
	v_fma_f64 v[8:9], s[8:9], v[16:17], v[6:7]
	s_mov_b32 s9, 0x3c91a626
	v_add_f64 v[6:7], v[6:7], -v[22:23]
	v_fma_f64 v[20:21], s[8:9], v[16:17], v[18:19]
	v_add_f64 v[6:7], v[6:7], v[18:19]
	v_add_f64 v[18:19], v[22:23], -v[8:9]
	v_add_f64 v[6:7], v[18:19], v[6:7]
	s_mov_b32 s8, 0x252049c0
	v_add_f64 v[18:19], v[6:7], -v[20:21]
	s_mov_b32 s9, 0xb97b839a
	v_fmac_f64_e32 v[18:19], s[8:9], v[16:17]
	v_add_f64 v[6:7], v[8:9], v[18:19]
	v_add_f64 v[8:9], v[6:7], -v[8:9]
	v_add_f64 v[8:9], v[18:19], -v[8:9]
	v_cvt_i32_f64_e32 v1, v[16:17]
.LBB7_301:
	s_or_b64 exec, exec, s[0:1]
	v_div_scale_f64 v[16:17], s[0:1], v[10:11], v[10:11], 1.0
	v_rcp_f64_e32 v[18:19], v[16:17]
	v_div_scale_f64 v[20:21], vcc, 1.0, v[10:11], 1.0
	v_mov_b32_e32 v26, 0xaf76e73b
	v_fma_f64 v[22:23], -v[16:17], v[18:19], 1.0
	v_fmac_f64_e32 v[18:19], v[18:19], v[22:23]
	v_fma_f64 v[22:23], -v[16:17], v[18:19], 1.0
	v_fmac_f64_e32 v[18:19], v[18:19], v[22:23]
	v_mul_f64 v[22:23], v[20:21], v[18:19]
	v_fma_f64 v[16:17], -v[16:17], v[22:23], v[20:21]
	v_div_fmas_f64 v[16:17], v[16:17], v[18:19], v[22:23]
	v_div_fixup_f64 v[10:11], v[16:17], v[10:11], 1.0
	v_mul_f64 v[16:17], v[10:11], v[10:11]
	v_mov_b32_e32 v18, 0xd50ae6fb
	v_mov_b32_e32 v19, 0xbfc0db6c
	v_fmac_f64_e32 v[18:19], 0, v[16:17]
	v_mov_b32_e32 v20, 0x98566852
	v_mov_b32_e32 v21, 0xbfe40bee
	v_fmac_f64_e32 v[20:21], v[16:17], v[18:19]
	;; [unrolled: 3-line block ×15, first 2 shown]
	v_mov_b32_e32 v27, 0x3f13c8d7
	v_fmac_f64_e32 v[26:27], v[16:17], v[18:19]
	v_mov_b32_e32 v22, 0xb99518a7
	v_mov_b32_e32 v23, 0x3e9e52b9
	v_mul_f64 v[28:29], v[12:13], v[12:13]
	v_fmac_f64_e32 v[22:23], v[16:17], v[26:27]
	v_mov_b32_e32 v26, 0xf68ea2d2
	v_mov_b32_e32 v27, 0xbe52041c
	v_mul_f64 v[18:19], v[28:29], 0.5
	v_fmac_f64_e32 v[26:27], v[16:17], v[20:21]
	v_add_f64 v[20:21], -v[18:19], 1.0
	s_mov_b32 s0, 0x9037ab78
	v_add_f64 v[30:31], -v[20:21], 1.0
	s_mov_b32 s1, 0x3e21eeb6
	s_mov_b32 s8, 0x46cc5e42
	v_add_f64 v[30:31], v[30:31], -v[18:19]
	s_mov_b32 s9, 0xbda907db
	v_mov_b64_e32 v[18:19], s[0:1]
	s_mov_b32 s10, 0xa17f65f6
	v_fma_f64 v[34:35], s[8:9], v[28:29], v[18:19]
	s_mov_b32 s11, 0xbe927e4f
	s_mov_b32 s12, 0x19f4ec90
	v_fma_f64 v[34:35], v[28:29], v[34:35], s[10:11]
	s_mov_b32 s13, 0x3efa01a0
	;; [unrolled: 3-line block ×4, first 2 shown]
	v_mul_f64 v[32:33], v[28:29], v[28:29]
	v_fma_f64 v[34:35], v[28:29], v[34:35], s[18:19]
	v_fma_f64 v[30:31], v[12:13], -v[14:15], v[30:31]
	s_mov_b32 s0, 0xb42fdfa7
	v_fmac_f64_e32 v[30:31], v[32:33], v[34:35]
	s_mov_b32 s1, 0xbe5ae600
	s_mov_b32 s20, 0xf9a43bb8
	v_add_f64 v[30:31], v[20:21], v[30:31]
	s_mov_b32 s21, 0x3de5e0b2
	v_mov_b64_e32 v[20:21], s[0:1]
	s_mov_b32 s22, 0x796cde01
	v_fma_f64 v[32:33], s[20:21], v[28:29], v[20:21]
	s_mov_b32 s23, 0x3ec71de3
	s_mov_b32 s24, 0x19e83e5c
	v_fma_f64 v[32:33], v[28:29], v[32:33], s[22:23]
	s_mov_b32 s25, 0xbf2a01a0
	;; [unrolled: 3-line block ×3, first 2 shown]
	v_fma_f64 v[32:33], v[28:29], v[32:33], s[26:27]
	v_mul_f64 v[34:35], v[12:13], -v[28:29]
	v_mul_f64 v[36:37], v[14:15], 0.5
	v_fmac_f64_e32 v[36:37], v[34:35], v[32:33]
	v_fma_f64 v[14:15], v[28:29], v[36:37], -v[14:15]
	s_mov_b32 s29, 0xbfc55555
	s_mov_b32 s28, s18
	v_fmac_f64_e32 v[14:15], s[28:29], v[34:35]
	v_add_f64 v[12:13], v[12:13], -v[14:15]
	v_and_b32_e32 v14, 1, v24
	v_cmp_eq_u32_e32 vcc, 0, v14
	s_brev_b32 s30, 1
	s_movk_i32 s31, 0x1f8
	v_cndmask_b32_e32 v28, v30, v12, vcc
	v_cndmask_b32_e32 v12, v31, v13, vcc
	v_lshlrev_b32_e32 v13, 30, v24
	v_xor_b32_e32 v13, v13, v5
	v_bitop3_b32 v29, v12, v13, s30 bitop3:0x78
	v_mul_f64 v[12:13], v[16:17], v[26:27]
	v_div_scale_f64 v[14:15], s[0:1], v[22:23], v[22:23], v[12:13]
	v_rcp_f64_e32 v[24:25], v[14:15]
	v_cmp_class_f64_e64 s[0:1], v[4:5], s31
	v_mov_b32_e32 v32, 0x7ff80000
	s_mov_b32 s40, 0
	v_fma_f64 v[26:27], -v[14:15], v[24:25], 1.0
	v_fmac_f64_e32 v[24:25], v[24:25], v[26:27]
	v_fma_f64 v[26:27], -v[14:15], v[24:25], 1.0
	v_fmac_f64_e32 v[24:25], v[24:25], v[26:27]
	v_div_scale_f64 v[26:27], vcc, v[12:13], v[22:23], v[12:13]
	v_cndmask_b32_e64 v4, 0, v28, s[0:1]
	v_cndmask_b32_e64 v5, v32, v29, s[0:1]
	v_mul_f64 v[28:29], v[26:27], v[24:25]
	v_fma_f64 v[14:15], -v[14:15], v[28:29], v[26:27]
	v_div_fmas_f64 v[14:15], v[14:15], v[24:25], v[28:29]
	v_div_fixup_f64 v[12:13], v[14:15], v[22:23], v[12:13]
	v_mov_b32_e32 v14, 0xddcfbbde
	v_mov_b32_e32 v15, 0x3f943525
	v_fmac_f64_e32 v[14:15], 0, v[16:17]
	v_mov_b32_e32 v22, 0x6437b7
	v_mov_b32_e32 v23, 0x3fd907d5
	v_fmac_f64_e32 v[22:23], v[16:17], v[14:15]
	;; [unrolled: 3-line block ×18, first 2 shown]
	v_mov_b32_e32 v24, 0xd603a5a0
	v_mov_b32_e32 v25, 0x3f1a8b61
	s_brev_b32 s41, 8
	v_fmac_f64_e32 v[24:25], v[16:17], v[22:23]
	v_mov_b32_e32 v22, 0x100
	v_cmp_gt_f64_e32 vcc, s[40:41], v[2:3]
	v_mov_b32_e32 v26, 0xdb0724e8
	v_mov_b32_e32 v27, 0x3eb3a845
	v_cndmask_b32_e32 v22, 0, v22, vcc
	v_ldexp_f64 v[2:3], v[2:3], v22
	v_rsq_f64_e32 v[22:23], v[2:3]
	v_fmac_f64_e32 v[26:27], v[16:17], v[24:25]
	s_mov_b32 s40, 0x50429b6d
	s_mov_b32 s41, 0x3fe20dd7
	v_mul_f64 v[24:25], v[2:3], v[22:23]
	v_mul_f64 v[22:23], v[22:23], 0.5
	v_fma_f64 v[28:29], -v[22:23], v[24:25], 0.5
	v_fmac_f64_e32 v[24:25], v[24:25], v[28:29]
	v_fma_f64 v[30:31], -v[24:25], v[24:25], v[2:3]
	v_fmac_f64_e32 v[22:23], v[22:23], v[28:29]
	v_fmac_f64_e32 v[24:25], v[30:31], v[22:23]
	v_fma_f64 v[28:29], -v[24:25], v[24:25], v[2:3]
	v_fmac_f64_e32 v[24:25], v[28:29], v[22:23]
	v_mov_b32_e32 v22, 0xffffff80
	v_cndmask_b32_e32 v22, 0, v22, vcc
	v_ldexp_f64 v[22:23], v[24:25], v22
	v_mov_b32_e32 v24, 0x260
	v_cmp_class_f64_e32 vcc, v[2:3], v24
	v_mov_b32_e32 v28, 0x3dd589d4
	v_mov_b32_e32 v29, 0x3e351fc7
	v_cndmask_b32_e32 v3, v23, v3, vcc
	v_cndmask_b32_e32 v2, v22, v2, vcc
	v_div_scale_f64 v[22:23], s[42:43], v[2:3], v[2:3], s[40:41]
	v_rcp_f64_e32 v[24:25], v[22:23]
	v_fmac_f64_e32 v[28:29], v[16:17], v[26:27]
	v_add_f64 v[12:13], v[12:13], 1.0
	v_fma_f64 v[16:17], -v[22:23], v[24:25], 1.0
	v_fmac_f64_e32 v[24:25], v[24:25], v[16:17]
	v_fma_f64 v[16:17], -v[22:23], v[24:25], 1.0
	v_fmac_f64_e32 v[24:25], v[24:25], v[16:17]
	v_div_scale_f64 v[16:17], vcc, s[40:41], v[2:3], s[40:41]
	v_mul_f64 v[26:27], v[16:17], v[24:25]
	v_fma_f64 v[16:17], -v[22:23], v[26:27], v[16:17]
	s_nop 1
	v_div_fmas_f64 v[16:17], v[16:17], v[24:25], v[26:27]
	v_div_fixup_f64 v[2:3], v[16:17], v[2:3], s[40:41]
	v_mul_f64 v[16:17], v[6:7], v[6:7]
	v_mul_f64 v[22:23], v[16:17], 0.5
	v_fmac_f64_e32 v[18:19], s[8:9], v[16:17]
	v_add_f64 v[24:25], -v[22:23], 1.0
	v_fma_f64 v[18:19], v[16:17], v[18:19], s[10:11]
	v_add_f64 v[26:27], -v[24:25], 1.0
	v_fma_f64 v[18:19], v[16:17], v[18:19], s[12:13]
	v_add_f64 v[22:23], v[26:27], -v[22:23]
	v_fma_f64 v[18:19], v[16:17], v[18:19], s[14:15]
	v_fmac_f64_e32 v[20:21], s[20:21], v[16:17]
	v_mul_f64 v[26:27], v[16:17], v[16:17]
	v_fma_f64 v[18:19], v[16:17], v[18:19], s[18:19]
	v_fma_f64 v[22:23], v[6:7], -v[8:9], v[22:23]
	v_fma_f64 v[20:21], v[16:17], v[20:21], s[22:23]
	v_fmac_f64_e32 v[22:23], v[26:27], v[18:19]
	v_fma_f64 v[20:21], v[16:17], v[20:21], s[24:25]
	v_add_f64 v[18:19], v[24:25], v[22:23]
	v_fma_f64 v[20:21], v[16:17], v[20:21], s[26:27]
	v_mul_f64 v[22:23], v[6:7], -v[16:17]
	v_mul_f64 v[24:25], v[8:9], 0.5
	v_fmac_f64_e32 v[24:25], v[22:23], v[20:21]
	v_fma_f64 v[8:9], v[16:17], v[24:25], -v[8:9]
	v_fmac_f64_e32 v[8:9], s[28:29], v[22:23]
	v_add_f64 v[6:7], v[6:7], -v[8:9]
	v_and_b32_e32 v8, 1, v1
	v_xor_b32_e32 v7, 0x80000000, v7
	v_cmp_eq_u32_e32 vcc, 0, v8
	v_lshlrev_b32_e32 v1, 30, v1
	s_nop 0
	v_cndmask_b32_e32 v16, v6, v18, vcc
	v_cndmask_b32_e32 v17, v7, v19, vcc
	v_mul_f64 v[6:7], v[10:11], v[14:15]
	v_div_scale_f64 v[8:9], s[8:9], v[28:29], v[28:29], v[6:7]
	v_rcp_f64_e32 v[10:11], v[8:9]
	v_bitop3_b32 v1, v17, v1, s30 bitop3:0x78
	v_cndmask_b32_e64 v14, 0, v16, s[0:1]
	v_cndmask_b32_e64 v15, v32, v1, s[0:1]
	v_fma_f64 v[16:17], -v[8:9], v[10:11], 1.0
	v_fmac_f64_e32 v[10:11], v[10:11], v[16:17]
	v_fma_f64 v[16:17], -v[8:9], v[10:11], 1.0
	v_fmac_f64_e32 v[10:11], v[10:11], v[16:17]
	v_div_scale_f64 v[16:17], vcc, v[6:7], v[28:29], v[6:7]
	v_mul_f64 v[18:19], v[16:17], v[10:11]
	v_fma_f64 v[8:9], -v[8:9], v[18:19], v[16:17]
	s_nop 1
	v_div_fmas_f64 v[8:9], v[8:9], v[10:11], v[18:19]
	v_div_fixup_f64 v[6:7], v[8:9], v[28:29], v[6:7]
	v_mul_f64 v[6:7], v[6:7], v[14:15]
	v_fma_f64 v[4:5], v[12:13], v[4:5], -v[6:7]
	v_mul_f64 v[4:5], v[2:3], v[4:5]
.LBB7_302:
	s_or_b64 exec, exec, s[6:7]
.LBB7_303:
	s_or_b64 exec, exec, s[4:5]
.LBB7_304:
	s_or_b64 exec, exec, s[2:3]
	global_store_dwordx2 v0, v[4:5], s[16:17]
	s_or_b64 exec, exec, s[48:49]
                                        ; implicit-def: $vgpr10
                                        ; implicit-def: $vgpr24
	s_andn2_saveexec_b64 s[0:1], s[38:39]
	s_cbranch_execz .LBB7_256
	s_branch .LBB7_9
	.section	.rodata,"a",@progbits
	.p2align	6, 0x0
	.amdhsa_kernel _ZN2at6native32elementwise_kernel_manual_unrollILi128ELi4EZNS0_22gpu_kernel_impl_nocastIZZZNS0_12_GLOBAL__N_119airy_ai_kernel_cudaERNS_18TensorIteratorBaseEENKUlvE_clEvENKUlvE_clEvEUldE_EEvS5_RKT_EUlibE_EEviT1_
		.amdhsa_group_segment_fixed_size 0
		.amdhsa_private_segment_fixed_size 0
		.amdhsa_kernarg_size 360
		.amdhsa_user_sgpr_count 2
		.amdhsa_user_sgpr_dispatch_ptr 0
		.amdhsa_user_sgpr_queue_ptr 0
		.amdhsa_user_sgpr_kernarg_segment_ptr 1
		.amdhsa_user_sgpr_dispatch_id 0
		.amdhsa_user_sgpr_kernarg_preload_length 0
		.amdhsa_user_sgpr_kernarg_preload_offset 0
		.amdhsa_user_sgpr_private_segment_size 0
		.amdhsa_uses_dynamic_stack 0
		.amdhsa_enable_private_segment 0
		.amdhsa_system_sgpr_workgroup_id_x 1
		.amdhsa_system_sgpr_workgroup_id_y 0
		.amdhsa_system_sgpr_workgroup_id_z 0
		.amdhsa_system_sgpr_workgroup_info 0
		.amdhsa_system_vgpr_workitem_id 0
		.amdhsa_next_free_vgpr 50
		.amdhsa_next_free_sgpr 66
		.amdhsa_accum_offset 52
		.amdhsa_reserve_vcc 1
		.amdhsa_float_round_mode_32 0
		.amdhsa_float_round_mode_16_64 0
		.amdhsa_float_denorm_mode_32 3
		.amdhsa_float_denorm_mode_16_64 3
		.amdhsa_dx10_clamp 1
		.amdhsa_ieee_mode 1
		.amdhsa_fp16_overflow 0
		.amdhsa_tg_split 0
		.amdhsa_exception_fp_ieee_invalid_op 0
		.amdhsa_exception_fp_denorm_src 0
		.amdhsa_exception_fp_ieee_div_zero 0
		.amdhsa_exception_fp_ieee_overflow 0
		.amdhsa_exception_fp_ieee_underflow 0
		.amdhsa_exception_fp_ieee_inexact 0
		.amdhsa_exception_int_div_zero 0
	.end_amdhsa_kernel
	.section	.text._ZN2at6native32elementwise_kernel_manual_unrollILi128ELi4EZNS0_22gpu_kernel_impl_nocastIZZZNS0_12_GLOBAL__N_119airy_ai_kernel_cudaERNS_18TensorIteratorBaseEENKUlvE_clEvENKUlvE_clEvEUldE_EEvS5_RKT_EUlibE_EEviT1_,"axG",@progbits,_ZN2at6native32elementwise_kernel_manual_unrollILi128ELi4EZNS0_22gpu_kernel_impl_nocastIZZZNS0_12_GLOBAL__N_119airy_ai_kernel_cudaERNS_18TensorIteratorBaseEENKUlvE_clEvENKUlvE_clEvEUldE_EEvS5_RKT_EUlibE_EEviT1_,comdat
.Lfunc_end7:
	.size	_ZN2at6native32elementwise_kernel_manual_unrollILi128ELi4EZNS0_22gpu_kernel_impl_nocastIZZZNS0_12_GLOBAL__N_119airy_ai_kernel_cudaERNS_18TensorIteratorBaseEENKUlvE_clEvENKUlvE_clEvEUldE_EEvS5_RKT_EUlibE_EEviT1_, .Lfunc_end7-_ZN2at6native32elementwise_kernel_manual_unrollILi128ELi4EZNS0_22gpu_kernel_impl_nocastIZZZNS0_12_GLOBAL__N_119airy_ai_kernel_cudaERNS_18TensorIteratorBaseEENKUlvE_clEvENKUlvE_clEvEUldE_EEvS5_RKT_EUlibE_EEviT1_
                                        ; -- End function
	.set _ZN2at6native32elementwise_kernel_manual_unrollILi128ELi4EZNS0_22gpu_kernel_impl_nocastIZZZNS0_12_GLOBAL__N_119airy_ai_kernel_cudaERNS_18TensorIteratorBaseEENKUlvE_clEvENKUlvE_clEvEUldE_EEvS5_RKT_EUlibE_EEviT1_.num_vgpr, 50
	.set _ZN2at6native32elementwise_kernel_manual_unrollILi128ELi4EZNS0_22gpu_kernel_impl_nocastIZZZNS0_12_GLOBAL__N_119airy_ai_kernel_cudaERNS_18TensorIteratorBaseEENKUlvE_clEvENKUlvE_clEvEUldE_EEvS5_RKT_EUlibE_EEviT1_.num_agpr, 0
	.set _ZN2at6native32elementwise_kernel_manual_unrollILi128ELi4EZNS0_22gpu_kernel_impl_nocastIZZZNS0_12_GLOBAL__N_119airy_ai_kernel_cudaERNS_18TensorIteratorBaseEENKUlvE_clEvENKUlvE_clEvEUldE_EEvS5_RKT_EUlibE_EEviT1_.numbered_sgpr, 66
	.set _ZN2at6native32elementwise_kernel_manual_unrollILi128ELi4EZNS0_22gpu_kernel_impl_nocastIZZZNS0_12_GLOBAL__N_119airy_ai_kernel_cudaERNS_18TensorIteratorBaseEENKUlvE_clEvENKUlvE_clEvEUldE_EEvS5_RKT_EUlibE_EEviT1_.num_named_barrier, 0
	.set _ZN2at6native32elementwise_kernel_manual_unrollILi128ELi4EZNS0_22gpu_kernel_impl_nocastIZZZNS0_12_GLOBAL__N_119airy_ai_kernel_cudaERNS_18TensorIteratorBaseEENKUlvE_clEvENKUlvE_clEvEUldE_EEvS5_RKT_EUlibE_EEviT1_.private_seg_size, 0
	.set _ZN2at6native32elementwise_kernel_manual_unrollILi128ELi4EZNS0_22gpu_kernel_impl_nocastIZZZNS0_12_GLOBAL__N_119airy_ai_kernel_cudaERNS_18TensorIteratorBaseEENKUlvE_clEvENKUlvE_clEvEUldE_EEvS5_RKT_EUlibE_EEviT1_.uses_vcc, 1
	.set _ZN2at6native32elementwise_kernel_manual_unrollILi128ELi4EZNS0_22gpu_kernel_impl_nocastIZZZNS0_12_GLOBAL__N_119airy_ai_kernel_cudaERNS_18TensorIteratorBaseEENKUlvE_clEvENKUlvE_clEvEUldE_EEvS5_RKT_EUlibE_EEviT1_.uses_flat_scratch, 0
	.set _ZN2at6native32elementwise_kernel_manual_unrollILi128ELi4EZNS0_22gpu_kernel_impl_nocastIZZZNS0_12_GLOBAL__N_119airy_ai_kernel_cudaERNS_18TensorIteratorBaseEENKUlvE_clEvENKUlvE_clEvEUldE_EEvS5_RKT_EUlibE_EEviT1_.has_dyn_sized_stack, 0
	.set _ZN2at6native32elementwise_kernel_manual_unrollILi128ELi4EZNS0_22gpu_kernel_impl_nocastIZZZNS0_12_GLOBAL__N_119airy_ai_kernel_cudaERNS_18TensorIteratorBaseEENKUlvE_clEvENKUlvE_clEvEUldE_EEvS5_RKT_EUlibE_EEviT1_.has_recursion, 0
	.set _ZN2at6native32elementwise_kernel_manual_unrollILi128ELi4EZNS0_22gpu_kernel_impl_nocastIZZZNS0_12_GLOBAL__N_119airy_ai_kernel_cudaERNS_18TensorIteratorBaseEENKUlvE_clEvENKUlvE_clEvEUldE_EEvS5_RKT_EUlibE_EEviT1_.has_indirect_call, 0
	.section	.AMDGPU.csdata,"",@progbits
; Kernel info:
; codeLenInByte = 53828
; TotalNumSgprs: 72
; NumVgprs: 50
; NumAgprs: 0
; TotalNumVgprs: 50
; ScratchSize: 0
; MemoryBound: 0
; FloatMode: 240
; IeeeMode: 1
; LDSByteSize: 0 bytes/workgroup (compile time only)
; SGPRBlocks: 8
; VGPRBlocks: 6
; NumSGPRsForWavesPerEU: 72
; NumVGPRsForWavesPerEU: 50
; AccumOffset: 52
; Occupancy: 8
; WaveLimiterHint : 1
; COMPUTE_PGM_RSRC2:SCRATCH_EN: 0
; COMPUTE_PGM_RSRC2:USER_SGPR: 2
; COMPUTE_PGM_RSRC2:TRAP_HANDLER: 0
; COMPUTE_PGM_RSRC2:TGID_X_EN: 1
; COMPUTE_PGM_RSRC2:TGID_Y_EN: 0
; COMPUTE_PGM_RSRC2:TGID_Z_EN: 0
; COMPUTE_PGM_RSRC2:TIDIG_COMP_CNT: 0
; COMPUTE_PGM_RSRC3_GFX90A:ACCUM_OFFSET: 12
; COMPUTE_PGM_RSRC3_GFX90A:TG_SPLIT: 0
	.text
	.p2align	2                               ; -- Begin function _ZN2at6native6invokeIZZZNS0_12_GLOBAL__N_119airy_ai_kernel_cudaERNS_18TensorIteratorBaseEENKUlvE_clEvENKUlvE_clEvEUldE_i15function_traitsIS7_EEENT1_11result_typeERKT_PrKPcPKT0_PKN3c1010ScalarTypeEi
	.type	_ZN2at6native6invokeIZZZNS0_12_GLOBAL__N_119airy_ai_kernel_cudaERNS_18TensorIteratorBaseEENKUlvE_clEvENKUlvE_clEvEUldE_i15function_traitsIS7_EEENT1_11result_typeERKT_PrKPcPKT0_PKN3c1010ScalarTypeEi,@function
_ZN2at6native6invokeIZZZNS0_12_GLOBAL__N_119airy_ai_kernel_cudaERNS_18TensorIteratorBaseEENKUlvE_clEvENKUlvE_clEvEUldE_i15function_traitsIS7_EEENT1_11result_typeERKT_PrKPcPKT0_PKN3c1010ScalarTypeEi: ; @_ZN2at6native6invokeIZZZNS0_12_GLOBAL__N_119airy_ai_kernel_cudaERNS_18TensorIteratorBaseEENKUlvE_clEvENKUlvE_clEvEUldE_i15function_traitsIS7_EEENT1_11result_typeERKT_PrKPcPKT0_PKN3c1010ScalarTypeEi
; %bb.0:
	s_waitcnt vmcnt(0) expcnt(0) lgkmcnt(0)
	v_mul_lo_u32 v4, v4, v2
	v_ashrrev_i32_e32 v5, 31, v4
	v_mov_b32_e32 v2, 10
	v_lshl_add_u64 v[0:1], v[0:1], 0, v[4:5]
	v_cmp_gt_i16_sdwa s[0:1], v3, v2 src0_sel:BYTE_0 src1_sel:DWORD
	s_mov_b64 s[4:5], 0
                                        ; implicit-def: $vgpr4_vgpr5
	s_and_saveexec_b64 s[2:3], s[0:1]
	s_xor_b64 s[0:1], exec, s[2:3]
	s_cbranch_execz .LBB8_55
; %bb.1:
	v_mov_b32_e32 v2, 25
	v_cmp_gt_i16_sdwa s[6:7], v3, v2 src0_sel:BYTE_0 src1_sel:DWORD
	s_mov_b64 s[2:3], 0
	s_mov_b64 s[8:9], 0
                                        ; implicit-def: $vgpr4_vgpr5
	s_and_saveexec_b64 s[10:11], s[6:7]
	s_xor_b64 s[6:7], exec, s[10:11]
	s_cbranch_execz .LBB8_98
; %bb.2:
	v_mov_b32_e32 v2, 28
	v_cmp_gt_i16_sdwa s[4:5], v3, v2 src0_sel:BYTE_0 src1_sel:DWORD
	s_mov_b64 s[10:11], 0
                                        ; implicit-def: $vgpr4_vgpr5
	s_and_saveexec_b64 s[12:13], s[4:5]
	s_xor_b64 s[4:5], exec, s[12:13]
	s_cbranch_execz .LBB8_18
; %bb.3:
	v_mov_b32_e32 v2, 43
	v_cmp_gt_i16_sdwa s[8:9], v3, v2 src0_sel:BYTE_0 src1_sel:DWORD
	s_mov_b64 s[12:13], 0
	s_mov_b64 s[14:15], 0
                                        ; implicit-def: $vgpr4_vgpr5
	s_and_saveexec_b64 s[10:11], s[8:9]
	s_xor_b64 s[8:9], exec, s[10:11]
	s_cbranch_execz .LBB8_13
; %bb.4:
	v_mov_b32_e32 v2, 45
	v_cmp_gt_i16_sdwa s[14:15], v3, v2 src0_sel:BYTE_0 src1_sel:DWORD
	s_mov_b64 s[10:11], 0
                                        ; implicit-def: $vgpr4_vgpr5
	s_and_saveexec_b64 s[16:17], s[14:15]
	s_xor_b64 s[14:15], exec, s[16:17]
	s_cbranch_execz .LBB8_8
; %bb.5:
	v_mov_b32_e32 v2, 46
	v_cmp_eq_u16_sdwa s[18:19], v3, v2 src0_sel:BYTE_0 src1_sel:DWORD
	s_mov_b64 s[16:17], -1
                                        ; implicit-def: $vgpr4_vgpr5
	s_and_saveexec_b64 s[12:13], s[18:19]
	s_cbranch_execz .LBB8_7
; %bb.6:
	flat_load_dword v2, v[0:1]
	s_mov_b64 s[10:11], exec
	s_xor_b64 s[16:17], exec, -1
	s_waitcnt vmcnt(0) lgkmcnt(0)
	v_lshlrev_b32_e32 v2, 16, v2
	v_cvt_f64_f32_e32 v[4:5], v2
.LBB8_7:
	s_or_b64 exec, exec, s[12:13]
	s_and_b64 s[12:13], s[10:11], exec
	s_and_b64 s[10:11], s[16:17], exec
                                        ; implicit-def: $vgpr3
.LBB8_8:
	s_andn2_saveexec_b64 s[14:15], s[14:15]
	s_cbranch_execz .LBB8_12
; %bb.9:
	v_mov_b32_e32 v2, 44
	v_cmp_eq_u16_sdwa s[22:23], v3, v2 src0_sel:BYTE_0 src1_sel:DWORD
	s_mov_b64 s[20:21], -1
	s_mov_b64 s[18:19], s[12:13]
                                        ; implicit-def: $vgpr4_vgpr5
	s_and_saveexec_b64 s[16:17], s[22:23]
	s_cbranch_execz .LBB8_11
; %bb.10:
	flat_load_ubyte v4, v[0:1]
	s_movk_i32 s20, 0xff
	v_bfrev_b32_e32 v5, 4
	v_mov_b32_e32 v6, 0x7ff80000
	v_bfrev_b32_e32 v7, 28
	s_or_b64 s[18:19], s[12:13], exec
	s_waitcnt vmcnt(0) lgkmcnt(0)
	v_lshlrev_b32_e32 v2, 23, v4
	v_cvt_f64_f32_e32 v[2:3], v2
	v_cmp_ne_u32_e32 vcc, s20, v4
	s_xor_b64 s[20:21], exec, -1
	s_nop 0
	v_cndmask_b32_e32 v2, v5, v2, vcc
	v_cndmask_b32_e32 v3, v6, v3, vcc
	v_cmp_ne_u32_e32 vcc, 0, v4
	s_nop 1
	v_cndmask_b32_e32 v5, v7, v3, vcc
	v_cndmask_b32_e32 v4, 0, v2, vcc
.LBB8_11:
	s_or_b64 exec, exec, s[16:17]
	s_andn2_b64 s[12:13], s[12:13], exec
	s_and_b64 s[16:17], s[18:19], exec
	s_or_b64 s[12:13], s[12:13], s[16:17]
	s_andn2_b64 s[10:11], s[10:11], exec
	s_and_b64 s[16:17], s[20:21], exec
	s_or_b64 s[10:11], s[10:11], s[16:17]
.LBB8_12:
	s_or_b64 exec, exec, s[14:15]
	s_and_b64 s[14:15], s[12:13], exec
	s_and_b64 s[12:13], s[10:11], exec
                                        ; implicit-def: $vgpr3
.LBB8_13:
	s_andn2_saveexec_b64 s[8:9], s[8:9]
	s_cbranch_execz .LBB8_17
; %bb.14:
	v_mov_b32_e32 v2, 29
	v_cmp_eq_u16_sdwa s[20:21], v3, v2 src0_sel:BYTE_0 src1_sel:DWORD
	s_mov_b64 s[10:11], -1
	s_mov_b64 s[16:17], s[14:15]
                                        ; implicit-def: $vgpr4_vgpr5
	s_and_saveexec_b64 s[18:19], s[20:21]
	s_cbranch_execz .LBB8_16
; %bb.15:
	flat_load_dwordx2 v[2:3], v[0:1]
	s_or_b64 s[16:17], s[14:15], exec
	s_xor_b64 s[10:11], exec, -1
	s_waitcnt vmcnt(0) lgkmcnt(0)
	v_cvt_f64_u32_e32 v[4:5], v3
	v_cvt_f64_u32_e32 v[2:3], v2
	v_ldexp_f64 v[4:5], v[4:5], 32
	v_add_f64 v[4:5], v[4:5], v[2:3]
.LBB8_16:
	s_or_b64 exec, exec, s[18:19]
	s_andn2_b64 s[14:15], s[14:15], exec
	s_and_b64 s[16:17], s[16:17], exec
	s_andn2_b64 s[12:13], s[12:13], exec
	s_and_b64 s[10:11], s[10:11], exec
	s_or_b64 s[14:15], s[14:15], s[16:17]
	s_or_b64 s[12:13], s[12:13], s[10:11]
.LBB8_17:
	s_or_b64 exec, exec, s[8:9]
	s_and_b64 s[10:11], s[14:15], exec
	s_and_b64 s[8:9], s[12:13], exec
                                        ; implicit-def: $vgpr3
.LBB8_18:
	s_andn2_saveexec_b64 s[4:5], s[4:5]
	s_cbranch_execz .LBB8_36
; %bb.19:
	v_mov_b32_e32 v2, 26
	v_cmp_gt_i16_sdwa s[12:13], v3, v2 src0_sel:BYTE_0 src1_sel:DWORD
                                        ; implicit-def: $vgpr4_vgpr5
	s_and_saveexec_b64 s[14:15], s[12:13]
	s_xor_b64 s[12:13], exec, s[14:15]
	s_cbranch_execz .LBB8_25
; %bb.20:
	v_mov_b32_e32 v2, 27
	v_cmp_gt_i16_sdwa s[14:15], v3, v2 src0_sel:BYTE_0 src1_sel:DWORD
                                        ; implicit-def: $vgpr4_vgpr5
	s_and_saveexec_b64 s[16:17], s[14:15]
	s_xor_b64 s[14:15], exec, s[16:17]
	s_cbranch_execz .LBB8_22
; %bb.21:
	flat_load_dword v2, v[0:1]
	s_waitcnt vmcnt(0) lgkmcnt(0)
	v_cvt_f64_u32_e32 v[4:5], v2
.LBB8_22:
	s_andn2_saveexec_b64 s[14:15], s[14:15]
	s_cbranch_execz .LBB8_24
; %bb.23:
	flat_load_ushort v2, v[0:1]
	s_waitcnt vmcnt(0) lgkmcnt(0)
	v_cvt_f64_u32_e32 v[4:5], v2
.LBB8_24:
	s_or_b64 exec, exec, s[14:15]
.LBB8_25:
	s_andn2_saveexec_b64 s[12:13], s[12:13]
	s_cbranch_execz .LBB8_35
; %bb.26:
	flat_load_ubyte v2, v[0:1]
	s_movk_i32 s14, 0x7f
	s_waitcnt vmcnt(0) lgkmcnt(0)
	v_cmp_lt_i16_e32 vcc, s14, v2
	s_mov_b64 s[14:15], 0
	s_and_saveexec_b64 s[16:17], vcc
	s_xor_b64 s[16:17], exec, s[16:17]
	s_cbranch_execz .LBB8_30
; %bb.27:
	s_movk_i32 s14, 0x80
	v_cmp_eq_u16_e32 vcc, s14, v2
	s_mov_b64 s[14:15], -1
	s_and_saveexec_b64 s[18:19], vcc
; %bb.28:
	s_xor_b64 s[14:15], exec, -1
; %bb.29:
	s_or_b64 exec, exec, s[18:19]
	s_and_b64 s[14:15], s[14:15], exec
.LBB8_30:
	s_or_saveexec_b64 s[16:17], s[16:17]
	v_bfrev_b32_e32 v4, 4
	v_mov_b32_e32 v5, 0x7ff80000
	s_xor_b64 exec, exec, s[16:17]
; %bb.31:
	v_cmp_ne_u16_e32 vcc, 0, v2
	s_andn2_b64 s[14:15], s[14:15], exec
	s_and_b64 s[18:19], vcc, exec
	v_mov_b64_e32 v[4:5], 0
	s_or_b64 s[14:15], s[14:15], s[18:19]
; %bb.32:
	s_or_b64 exec, exec, s[16:17]
	s_and_saveexec_b64 s[16:17], s[14:15]
	s_cbranch_execz .LBB8_34
; %bb.33:
	v_lshlrev_b32_e32 v3, 24, v2
	v_and_b32_e32 v2, 0xffff, v2
	v_and_b32_e32 v4, 7, v2
	v_ffbh_u32_e32 v6, v4
	v_min_u32_e32 v6, 32, v6
	v_subrev_u32_e32 v7, 28, v6
	v_bfe_u32 v5, v2, 3, 4
	v_lshlrev_b32_e32 v2, v7, v2
	v_sub_u32_e32 v6, 29, v6
	v_and_b32_e32 v2, 7, v2
	v_cmp_eq_u32_e32 vcc, 0, v5
	v_and_b32_e32 v3, 0x80000000, v3
	s_nop 0
	v_cndmask_b32_e32 v5, v5, v6, vcc
	v_cndmask_b32_e32 v2, v4, v2, vcc
	v_mov_b32_e32 v4, 0x3b800000
	v_lshlrev_b32_e32 v2, 20, v2
	v_lshl_add_u32 v4, v5, 23, v4
	v_or3_b32 v2, v3, v4, v2
	v_cvt_f64_f32_e32 v[4:5], v2
.LBB8_34:
	s_or_b64 exec, exec, s[16:17]
.LBB8_35:
	s_or_b64 exec, exec, s[12:13]
	s_or_b64 s[10:11], s[10:11], exec
.LBB8_36:
	s_or_b64 exec, exec, s[4:5]
	s_and_b64 s[4:5], s[10:11], exec
	s_and_b64 s[8:9], s[8:9], exec
                                        ; implicit-def: $vgpr3
	s_andn2_saveexec_b64 s[6:7], s[6:7]
	s_cbranch_execnz .LBB8_99
.LBB8_37:
	s_or_b64 exec, exec, s[6:7]
	s_and_saveexec_b64 s[6:7], s[8:9]
	s_cbranch_execnz .LBB8_126
.LBB8_38:
	s_or_b64 exec, exec, s[6:7]
	s_and_saveexec_b64 s[6:7], s[2:3]
	s_xor_b64 s[2:3], exec, s[6:7]
	s_cbranch_execz .LBB8_40
.LBB8_39:
	flat_load_ubyte v0, v[0:1]
	v_mov_b32_e32 v1, 0x3ff00000
	v_mov_b32_e32 v4, 0
	s_or_b64 s[4:5], s[4:5], exec
	s_waitcnt vmcnt(0) lgkmcnt(0)
	v_cmp_ne_u16_e32 vcc, 0, v0
	s_nop 1
	v_cndmask_b32_e32 v5, 0, v1, vcc
.LBB8_40:
	s_or_b64 exec, exec, s[2:3]
	s_and_b64 s[4:5], s[4:5], exec
                                        ; implicit-def: $vgpr3
                                        ; implicit-def: $vgpr0_vgpr1
	s_andn2_saveexec_b64 s[0:1], s[0:1]
	s_cbranch_execnz .LBB8_56
.LBB8_41:
	s_or_b64 exec, exec, s[0:1]
                                        ; implicit-def: $vgpr0_vgpr1
	s_and_saveexec_b64 s[2:3], s[4:5]
	s_cbranch_execz .LBB8_97
.LBB8_42:
	s_mov_b32 s0, 0
	s_mov_b32 s1, 0x7ff00000
	v_mov_b32_e32 v0, 0
	s_waitcnt vmcnt(0) lgkmcnt(0)
	v_cmp_neq_f64_e64 s[0:1], |v[4:5]|, s[0:1]
	v_mov_b32_e32 v1, 0x7ff80000
	s_and_saveexec_b64 s[4:5], s[0:1]
	s_cbranch_execz .LBB8_136
; %bb.43:
	s_mov_b32 s0, 0x872b020c
	s_mov_b32 s1, 0x4059f916
	v_cmp_nlt_f64_e32 vcc, s[0:1], v[4:5]
	v_mov_b64_e32 v[0:1], 0
	s_and_saveexec_b64 s[6:7], vcc
	s_cbranch_execz .LBB8_135
; %bb.44:
	s_mov_b32 s1, 0xc000b851
	s_mov_b32 s0, 0xeb851eb8
	v_cmp_ngt_f64_e32 vcc, s[0:1], v[4:5]
                                        ; implicit-def: $vgpr0_vgpr1
	s_and_saveexec_b64 s[8:9], vcc
	s_xor_b64 s[8:9], exec, s[8:9]
	s_cbranch_execz .LBB8_52
; %bb.45:
	s_mov_b32 s1, 0x4000b851
	v_cmp_nle_f64_e64 s[10:11], s[0:1], v[4:5]
	v_cmp_le_f64_e32 vcc, s[0:1], v[4:5]
	v_mov_b64_e32 v[0:1], 0
	s_mov_b64 s[0:1], s[10:11]
	s_and_saveexec_b64 s[12:13], vcc
	s_cbranch_execz .LBB8_47
; %bb.46:
	s_mov_b32 s0, 0
	s_brev_b32 s1, 8
	v_mov_b32_e32 v18, 0x100
	v_cmp_gt_f64_e32 vcc, s[0:1], v[4:5]
	v_mov_b32_e32 v19, 0xffffff80
	v_mov_b32_e32 v20, 0x260
	v_cndmask_b32_e32 v0, 0, v18, vcc
	v_ldexp_f64 v[0:1], v[4:5], v0
	v_rsq_f64_e32 v[2:3], v[0:1]
	v_add_f64 v[6:7], v[4:5], v[4:5]
	s_mov_b32 s14, 0
	s_mov_b32 s15, 0x40080000
	v_mul_f64 v[8:9], v[0:1], v[2:3]
	v_mul_f64 v[2:3], v[2:3], 0.5
	v_fma_f64 v[10:11], -v[2:3], v[8:9], 0.5
	v_fmac_f64_e32 v[8:9], v[8:9], v[10:11]
	v_fma_f64 v[12:13], -v[8:9], v[8:9], v[0:1]
	v_fmac_f64_e32 v[2:3], v[2:3], v[10:11]
	v_fmac_f64_e32 v[8:9], v[12:13], v[2:3]
	v_fma_f64 v[10:11], -v[8:9], v[8:9], v[0:1]
	v_fmac_f64_e32 v[8:9], v[10:11], v[2:3]
	v_cndmask_b32_e32 v2, 0, v19, vcc
	v_ldexp_f64 v[2:3], v[8:9], v2
	v_cmp_class_f64_e32 vcc, v[0:1], v20
	s_nop 1
	v_cndmask_b32_e32 v3, v3, v1, vcc
	v_cndmask_b32_e32 v2, v2, v0, vcc
	v_mul_f64 v[0:1], v[6:7], v[2:3]
	v_div_scale_f64 v[6:7], s[16:17], s[14:15], s[14:15], v[0:1]
	v_rcp_f64_e32 v[8:9], v[6:7]
	s_nop 0
	v_fma_f64 v[10:11], -v[6:7], v[8:9], 1.0
	v_fmac_f64_e32 v[8:9], v[8:9], v[10:11]
	v_fma_f64 v[10:11], -v[6:7], v[8:9], 1.0
	v_fmac_f64_e32 v[8:9], v[8:9], v[10:11]
	v_div_scale_f64 v[10:11], vcc, v[0:1], s[14:15], v[0:1]
	v_mul_f64 v[12:13], v[10:11], v[8:9]
	v_fma_f64 v[6:7], -v[6:7], v[12:13], v[10:11]
	s_nop 1
	v_div_fmas_f64 v[6:7], v[6:7], v[8:9], v[12:13]
	v_div_fixup_f64 v[0:1], v[6:7], s[14:15], v[0:1]
	v_div_scale_f64 v[6:7], s[14:15], v[0:1], v[0:1], 1.0
	v_rcp_f64_e32 v[8:9], v[6:7]
	s_nop 0
	v_fma_f64 v[10:11], -v[6:7], v[8:9], 1.0
	v_fmac_f64_e32 v[8:9], v[8:9], v[10:11]
	v_fma_f64 v[10:11], -v[6:7], v[8:9], 1.0
	v_fmac_f64_e32 v[8:9], v[8:9], v[10:11]
	v_div_scale_f64 v[10:11], vcc, 1.0, v[0:1], 1.0
	v_mul_f64 v[12:13], v[10:11], v[8:9]
	v_fma_f64 v[6:7], -v[6:7], v[12:13], v[10:11]
	v_mov_b32_e32 v10, 0x871a9067
	s_nop 0
	v_div_fmas_f64 v[6:7], v[6:7], v[8:9], v[12:13]
	v_div_fixup_f64 v[6:7], v[6:7], v[0:1], 1.0
	v_mov_b32_e32 v8, 0x2537b658
	v_mov_b32_e32 v9, 0x3fd62dae
	v_fmac_f64_e32 v[8:9], 0, v[6:7]
	v_mov_b32_e32 v11, 0x402803e3
	v_fmac_f64_e32 v[10:11], v[6:7], v[8:9]
	v_mov_b32_e32 v8, 0xde2e1e3
	v_mov_b32_e32 v9, 0x405311e5
	v_fmac_f64_e32 v[8:9], v[6:7], v[10:11]
	v_mov_b32_e32 v10, 0xee40073c
	;; [unrolled: 3-line block ×12, first 2 shown]
	v_mov_b32_e32 v11, 0x402c311b
	v_fmac_f64_e32 v[10:11], v[6:7], v[12:13]
	v_fma_f64 v[10:11], v[6:7], v[10:11], 1.0
	v_fma_f64 v[6:7], v[6:7], v[8:9], 1.0
	v_div_scale_f64 v[8:9], s[14:15], v[10:11], v[10:11], v[6:7]
	v_rcp_f64_e32 v[12:13], v[8:9]
	s_nop 0
	v_fma_f64 v[14:15], -v[8:9], v[12:13], 1.0
	v_fmac_f64_e32 v[12:13], v[12:13], v[14:15]
	v_fma_f64 v[14:15], -v[8:9], v[12:13], 1.0
	v_fmac_f64_e32 v[12:13], v[12:13], v[14:15]
	v_div_scale_f64 v[14:15], vcc, v[6:7], v[10:11], v[6:7]
	v_mul_f64 v[16:17], v[14:15], v[12:13]
	v_fma_f64 v[8:9], -v[8:9], v[16:17], v[14:15]
	s_nop 1
	v_div_fmas_f64 v[8:9], v[8:9], v[12:13], v[16:17]
	v_cmp_gt_f64_e32 vcc, s[0:1], v[2:3]
	v_div_fixup_f64 v[6:7], v[8:9], v[10:11], v[6:7]
	s_mov_b32 s0, 0x50429b6d
	v_cndmask_b32_e32 v8, 0, v18, vcc
	v_ldexp_f64 v[8:9], v[2:3], v8
	v_rsq_f64_e32 v[10:11], v[8:9]
	s_mov_b32 s1, 0x3fe20dd7
	v_mul_f64 v[2:3], v[6:7], s[0:1]
	s_mov_b32 s0, 0x652b82fe
	v_mul_f64 v[6:7], v[8:9], v[10:11]
	v_mul_f64 v[10:11], v[10:11], 0.5
	v_fma_f64 v[12:13], -v[10:11], v[6:7], 0.5
	v_fmac_f64_e32 v[6:7], v[6:7], v[12:13]
	v_fma_f64 v[14:15], -v[6:7], v[6:7], v[8:9]
	v_fmac_f64_e32 v[10:11], v[10:11], v[12:13]
	v_fmac_f64_e32 v[6:7], v[14:15], v[10:11]
	v_fma_f64 v[12:13], -v[6:7], v[6:7], v[8:9]
	v_fmac_f64_e32 v[6:7], v[12:13], v[10:11]
	v_cndmask_b32_e32 v10, 0, v19, vcc
	v_ldexp_f64 v[6:7], v[6:7], v10
	v_cmp_class_f64_e32 vcc, v[8:9], v20
	s_mov_b32 s1, 0x3ff71547
	v_mov_b32_e32 v12, 0xfca7ab0c
	v_cndmask_b32_e32 v7, v7, v9, vcc
	v_cndmask_b32_e32 v6, v6, v8, vcc
	v_mul_f64 v[8:9], v[0:1], s[0:1]
	s_mov_b32 s0, 0xfefa39ef
	v_rndne_f64_e32 v[8:9], v[8:9]
	s_mov_b32 s1, 0xbfe62e42
	v_fma_f64 v[10:11], s[0:1], v[8:9], v[0:1]
	s_mov_b32 s0, 0x3b39803f
	s_mov_b32 s1, 0xbc7abc9e
	v_fmac_f64_e32 v[10:11], s[0:1], v[8:9]
	s_mov_b32 s0, 0x6a5dcb37
	v_mov_b32_e32 v13, 0x3e928af3
	s_mov_b32 s1, 0x3e5ade15
	v_fmac_f64_e32 v[12:13], s[0:1], v[10:11]
	v_mov_b32_e32 v14, 0x623fde64
	v_mov_b32_e32 v15, 0x3ec71dee
	v_fmac_f64_e32 v[14:15], v[10:11], v[12:13]
	v_mov_b32_e32 v12, 0x7c89e6b0
	v_mov_b32_e32 v13, 0x3efa0199
	;; [unrolled: 3-line block ×8, first 2 shown]
	s_mov_b32 s0, 0
	v_fmac_f64_e32 v[12:13], v[10:11], v[14:15]
	s_mov_b32 s1, 0x40900000
	v_fma_f64 v[12:13], v[10:11], v[12:13], 1.0
	v_cmp_nlt_f64_e32 vcc, s[0:1], v[0:1]
	s_mov_b32 s0, 0
	v_fma_f64 v[10:11], v[10:11], v[12:13], 1.0
	v_cvt_i32_f64_e32 v8, v[8:9]
	s_mov_b32 s1, 0xc090cc00
	v_ldexp_f64 v[8:9], v[10:11], v8
	v_mov_b32_e32 v10, 0x7ff00000
	v_cmp_ngt_f64_e64 s[0:1], s[0:1], v[0:1]
	v_cndmask_b32_e32 v9, v10, v9, vcc
	s_and_b64 vcc, s[0:1], vcc
	v_add_f64 v[6:7], v[6:7], v[6:7]
	v_cndmask_b32_e64 v1, 0, v9, s[0:1]
	v_cndmask_b32_e32 v0, 0, v8, vcc
	v_mul_f64 v[0:1], v[6:7], v[0:1]
	v_div_scale_f64 v[6:7], s[0:1], v[0:1], v[0:1], v[2:3]
	v_rcp_f64_e32 v[8:9], v[6:7]
	s_mov_b32 s0, 0xfd0a823a
	s_mov_b32 s1, 0x4020a402
	v_fma_f64 v[10:11], -v[6:7], v[8:9], 1.0
	v_fmac_f64_e32 v[8:9], v[8:9], v[10:11]
	v_fma_f64 v[10:11], -v[6:7], v[8:9], 1.0
	v_fmac_f64_e32 v[8:9], v[8:9], v[10:11]
	v_div_scale_f64 v[10:11], vcc, v[2:3], v[0:1], v[2:3]
	v_mul_f64 v[12:13], v[10:11], v[8:9]
	v_fma_f64 v[6:7], -v[6:7], v[12:13], v[10:11]
	s_nop 1
	v_div_fmas_f64 v[6:7], v[6:7], v[8:9], v[12:13]
	v_cmp_nlt_f64_e32 vcc, s[0:1], v[4:5]
	s_andn2_b64 s[0:1], s[10:11], exec
	s_and_b64 s[14:15], vcc, exec
	v_div_fixup_f64 v[0:1], v[6:7], v[0:1], v[2:3]
	s_or_b64 s[0:1], s[0:1], s[14:15]
.LBB8_47:
	s_or_b64 exec, exec, s[12:13]
	s_and_saveexec_b64 s[12:13], s[0:1]
	s_cbranch_execz .LBB8_51
; %bb.48:
	v_mul_f64 v[2:3], v[4:5], v[4:5]
	s_mov_b32 s16, 0
	v_mul_f64 v[6:7], v[4:5], v[2:3]
	v_mov_b64_e32 v[12:13], 1.0
	s_mov_b64 s[14:15], 0
	v_mov_b64_e32 v[10:11], 1.0
	s_mov_b32 s17, 0x3cb00000
	v_mov_b64_e32 v[8:9], v[4:5]
	v_mov_b64_e32 v[2:3], 1.0
.LBB8_49:                               ; =>This Inner Loop Header: Depth=1
	v_mul_f64 v[12:13], v[6:7], v[12:13]
	v_add_f64 v[14:15], v[10:11], 1.0
	v_mul_f64 v[4:5], v[6:7], v[4:5]
	v_div_scale_f64 v[16:17], s[0:1], v[14:15], v[14:15], v[12:13]
	v_add_f64 v[20:21], v[14:15], 1.0
	v_rcp_f64_e32 v[22:23], v[16:17]
	v_div_scale_f64 v[24:25], s[0:1], v[20:21], v[20:21], v[4:5]
	v_rcp_f64_e32 v[28:29], v[24:25]
	v_fma_f64 v[30:31], -v[16:17], v[22:23], 1.0
	v_fmac_f64_e32 v[22:23], v[22:23], v[30:31]
	v_fma_f64 v[32:33], -v[16:17], v[22:23], 1.0
	v_fma_f64 v[30:31], -v[24:25], v[28:29], 1.0
	v_fmac_f64_e32 v[28:29], v[28:29], v[30:31]
	v_div_scale_f64 v[18:19], vcc, v[12:13], v[14:15], v[12:13]
	v_fmac_f64_e32 v[22:23], v[22:23], v[32:33]
	v_fma_f64 v[30:31], -v[24:25], v[28:29], 1.0
	v_div_scale_f64 v[26:27], s[0:1], v[4:5], v[20:21], v[4:5]
	v_mul_f64 v[32:33], v[18:19], v[22:23]
	v_fmac_f64_e32 v[28:29], v[28:29], v[30:31]
	v_fma_f64 v[16:17], -v[16:17], v[32:33], v[18:19]
	v_mul_f64 v[18:19], v[26:27], v[28:29]
	v_div_fmas_f64 v[16:17], v[16:17], v[22:23], v[32:33]
	v_fma_f64 v[22:23], -v[24:25], v[18:19], v[26:27]
	s_mov_b64 vcc, s[0:1]
	v_div_fixup_f64 v[12:13], v[16:17], v[14:15], v[12:13]
	v_div_fmas_f64 v[14:15], v[22:23], v[28:29], v[18:19]
	v_div_fixup_f64 v[4:5], v[14:15], v[20:21], v[4:5]
	v_div_scale_f64 v[14:15], s[0:1], v[20:21], v[20:21], v[12:13]
	v_add_f64 v[10:11], v[20:21], 1.0
	v_rcp_f64_e32 v[18:19], v[14:15]
	v_div_scale_f64 v[22:23], s[0:1], v[10:11], v[10:11], v[4:5]
	v_rcp_f64_e32 v[26:27], v[22:23]
	v_fma_f64 v[28:29], -v[14:15], v[18:19], 1.0
	v_fmac_f64_e32 v[18:19], v[18:19], v[28:29]
	v_fma_f64 v[30:31], -v[14:15], v[18:19], 1.0
	v_fma_f64 v[28:29], -v[22:23], v[26:27], 1.0
	v_div_scale_f64 v[16:17], vcc, v[12:13], v[20:21], v[12:13]
	v_fmac_f64_e32 v[26:27], v[26:27], v[28:29]
	v_fmac_f64_e32 v[18:19], v[18:19], v[30:31]
	v_fma_f64 v[28:29], -v[22:23], v[26:27], 1.0
	v_mul_f64 v[30:31], v[16:17], v[18:19]
	v_div_scale_f64 v[24:25], s[0:1], v[4:5], v[10:11], v[4:5]
	v_fmac_f64_e32 v[26:27], v[26:27], v[28:29]
	v_fma_f64 v[14:15], -v[14:15], v[30:31], v[16:17]
	v_mul_f64 v[16:17], v[24:25], v[26:27]
	v_div_fmas_f64 v[14:15], v[14:15], v[18:19], v[30:31]
	v_fma_f64 v[18:19], -v[22:23], v[16:17], v[24:25]
	v_div_fixup_f64 v[12:13], v[14:15], v[20:21], v[12:13]
	s_mov_b64 vcc, s[0:1]
	v_div_fmas_f64 v[14:15], v[18:19], v[26:27], v[16:17]
	v_add_f64 v[2:3], v[2:3], v[12:13]
	v_div_fixup_f64 v[4:5], v[14:15], v[10:11], v[4:5]
	v_div_scale_f64 v[14:15], s[0:1], v[2:3], v[2:3], v[12:13]
	v_rcp_f64_e32 v[16:17], v[14:15]
	v_div_scale_f64 v[18:19], vcc, v[12:13], v[2:3], v[12:13]
	v_add_f64 v[8:9], v[8:9], v[4:5]
	v_fma_f64 v[20:21], -v[14:15], v[16:17], 1.0
	v_fmac_f64_e32 v[16:17], v[16:17], v[20:21]
	v_fma_f64 v[20:21], -v[14:15], v[16:17], 1.0
	v_fmac_f64_e32 v[16:17], v[16:17], v[20:21]
	v_mul_f64 v[20:21], v[18:19], v[16:17]
	v_fma_f64 v[14:15], -v[14:15], v[20:21], v[18:19]
	v_div_fmas_f64 v[14:15], v[14:15], v[16:17], v[20:21]
	v_div_fixup_f64 v[14:15], v[14:15], v[2:3], v[12:13]
	v_cmp_ngt_f64_e64 s[0:1], |v[14:15]|, s[16:17]
	s_or_b64 s[14:15], s[0:1], s[14:15]
	s_andn2_b64 exec, exec, s[14:15]
	s_cbranch_execnz .LBB8_49
; %bb.50:
	s_or_b64 exec, exec, s[14:15]
	s_mov_b32 s0, 0x42b70f8b
	s_mov_b32 s1, 0xbfd0907f
	v_mul_f64 v[4:5], v[8:9], s[0:1]
	s_mov_b32 s0, 0x962715b8
	s_mov_b32 s1, 0x3fd6b8c7
	v_fmac_f64_e32 v[4:5], s[0:1], v[2:3]
	v_cndmask_b32_e64 v1, v1, v5, s[10:11]
	v_cndmask_b32_e64 v0, v0, v4, s[10:11]
.LBB8_51:
	s_or_b64 exec, exec, s[12:13]
                                        ; implicit-def: $vgpr4_vgpr5
.LBB8_52:
	s_andn2_saveexec_b64 s[8:9], s[8:9]
	s_cbranch_execz .LBB8_134
; %bb.53:
	s_mov_b32 s0, 0
	s_brev_b32 s1, 9
	v_mov_b32_e32 v0, 0x100
	v_cmp_lt_f64_e32 vcc, s[0:1], v[4:5]
	s_mov_b32 s10, 0
	s_mov_b32 s11, 0x40080000
	v_cndmask_b32_e32 v0, 0, v0, vcc
	v_ldexp_f64 v[0:1], -v[4:5], v0
	v_rsq_f64_e32 v[2:3], v[0:1]
	v_mul_f64 v[4:5], v[4:5], -2.0
	s_mov_b32 s13, 0x3fe921fb
	s_mov_b32 s12, 0x54442d18
	v_mul_f64 v[6:7], v[0:1], v[2:3]
	v_mul_f64 v[2:3], v[2:3], 0.5
	v_fma_f64 v[8:9], -v[2:3], v[6:7], 0.5
	v_fmac_f64_e32 v[6:7], v[6:7], v[8:9]
	v_fma_f64 v[10:11], -v[6:7], v[6:7], v[0:1]
	v_fmac_f64_e32 v[2:3], v[2:3], v[8:9]
	v_fmac_f64_e32 v[6:7], v[10:11], v[2:3]
	v_fma_f64 v[8:9], -v[6:7], v[6:7], v[0:1]
	v_fmac_f64_e32 v[6:7], v[8:9], v[2:3]
	v_mov_b32_e32 v2, 0xffffff80
	v_cndmask_b32_e32 v2, 0, v2, vcc
	v_ldexp_f64 v[2:3], v[6:7], v2
	v_mov_b32_e32 v6, 0x260
	v_cmp_class_f64_e32 vcc, v[0:1], v6
                                        ; implicit-def: $vgpr23
                                        ; implicit-def: $vgpr12_vgpr13
	s_nop 1
	v_cndmask_b32_e32 v1, v3, v1, vcc
	v_cndmask_b32_e32 v0, v2, v0, vcc
	v_mul_f64 v[2:3], v[4:5], v[0:1]
	v_div_scale_f64 v[4:5], s[0:1], s[10:11], s[10:11], v[2:3]
	v_rcp_f64_e32 v[6:7], v[4:5]
	s_movk_i32 s0, 0xff80
	v_fma_f64 v[8:9], -v[4:5], v[6:7], 1.0
	v_fmac_f64_e32 v[6:7], v[6:7], v[8:9]
	v_fma_f64 v[8:9], -v[4:5], v[6:7], 1.0
	v_fmac_f64_e32 v[6:7], v[6:7], v[8:9]
	v_div_scale_f64 v[8:9], vcc, v[2:3], s[10:11], v[2:3]
	v_mul_f64 v[10:11], v[8:9], v[6:7]
	v_fma_f64 v[4:5], -v[4:5], v[10:11], v[8:9]
	s_nop 1
	v_div_fmas_f64 v[4:5], v[4:5], v[6:7], v[10:11]
	v_div_fixup_f64 v[8:9], v[4:5], s[10:11], v[2:3]
	s_mov_b32 s10, 0
	v_add_f64 v[2:3], v[8:9], s[12:13]
	s_mov_b32 s11, 0x41d00000
	v_cmp_nlt_f64_e64 s[10:11], |v[2:3]|, s[10:11]
	v_trig_preop_f64 v[18:19], |v[2:3]|, 0
	v_trig_preop_f64 v[16:17], |v[2:3]|, 1
	;; [unrolled: 1-line block ×3, first 2 shown]
                                        ; implicit-def: $vgpr10_vgpr11
	s_and_saveexec_b64 s[14:15], s[10:11]
	s_xor_b64 s[14:15], exec, s[14:15]
	s_cbranch_execz .LBB8_127
; %bb.54:
	s_mov_b32 s16, 0
	s_mov_b32 s17, 0x7b000000
	v_and_b32_e32 v6, 0x7fffffff, v3
	v_ldexp_f64 v[4:5], |v[2:3]|, s0
	v_cmp_ge_f64_e64 vcc, |v[2:3]|, s[16:17]
	s_mov_b32 s0, 0
	s_mov_b32 s1, 0x7ff00000
	v_cndmask_b32_e32 v5, v6, v5, vcc
	v_cndmask_b32_e32 v4, v2, v4, vcc
	v_mul_f64 v[10:11], v[18:19], v[4:5]
	v_mul_f64 v[6:7], v[16:17], v[4:5]
	v_fma_f64 v[12:13], v[18:19], v[4:5], -v[10:11]
	v_add_f64 v[20:21], v[6:7], v[12:13]
	v_add_f64 v[28:29], v[20:21], -v[6:7]
	v_add_f64 v[12:13], v[12:13], -v[28:29]
	v_add_f64 v[28:29], v[20:21], -v[28:29]
	v_add_f64 v[28:29], v[6:7], -v[28:29]
	v_add_f64 v[12:13], v[12:13], v[28:29]
	v_fma_f64 v[6:7], v[16:17], v[4:5], -v[6:7]
	v_mul_f64 v[28:29], v[14:15], v[4:5]
	v_add_f64 v[30:31], v[28:29], v[6:7]
	v_add_f64 v[22:23], v[10:11], v[20:21]
	;; [unrolled: 1-line block ×3, first 2 shown]
	v_ldexp_f64 v[24:25], v[22:23], -2
	v_add_f64 v[10:11], v[22:23], -v[10:11]
	v_add_f64 v[22:23], v[32:33], -v[30:31]
	;; [unrolled: 1-line block ×5, first 2 shown]
	v_add_f64 v[12:13], v[12:13], v[22:23]
	v_add_f64 v[22:23], v[30:31], -v[28:29]
	v_add_f64 v[6:7], v[6:7], -v[22:23]
	v_add_f64 v[22:23], v[30:31], -v[22:23]
	v_add_f64 v[22:23], v[28:29], -v[22:23]
	v_add_f64 v[10:11], v[20:21], -v[10:11]
	v_add_f64 v[6:7], v[6:7], v[22:23]
	v_fract_f64_e32 v[26:27], v[24:25]
	v_add_f64 v[20:21], v[10:11], v[32:33]
	v_add_f64 v[6:7], v[6:7], v[12:13]
	v_fma_f64 v[4:5], v[14:15], v[4:5], -v[28:29]
	v_add_f64 v[10:11], v[20:21], -v[10:11]
	v_add_f64 v[4:5], v[4:5], v[6:7]
	v_ldexp_f64 v[6:7], v[26:27], 2
	v_cmp_neq_f64_e64 vcc, |v[24:25]|, s[0:1]
	v_add_f64 v[10:11], v[32:33], -v[10:11]
	v_add_f64 v[4:5], v[10:11], v[4:5]
	v_cndmask_b32_e32 v7, 0, v7, vcc
	v_cndmask_b32_e32 v6, 0, v6, vcc
	v_add_f64 v[10:11], v[20:21], v[6:7]
	v_mov_b32_e32 v12, 0x40100000
	v_cmp_gt_f64_e32 vcc, 0, v[10:11]
	v_mov_b32_e32 v10, 0
	s_mov_b32 s13, 0x3ff921fb
	v_cndmask_b32_e32 v11, 0, v12, vcc
	v_add_f64 v[6:7], v[6:7], v[10:11]
	v_add_f64 v[12:13], v[20:21], v[6:7]
	v_cvt_i32_f64_e32 v11, v[12:13]
	v_cvt_f64_i32_e32 v[12:13], v11
	v_add_f64 v[6:7], v[6:7], -v[12:13]
	v_add_f64 v[12:13], v[20:21], v[6:7]
	v_add_f64 v[6:7], v[12:13], -v[6:7]
	v_add_f64 v[6:7], v[20:21], -v[6:7]
	v_add_f64 v[4:5], v[4:5], v[6:7]
	v_cmp_le_f64_e32 vcc, 0.5, v[12:13]
	v_mov_b32_e32 v6, 0x3ff00000
	s_nop 0
	v_addc_co_u32_e64 v23, s[0:1], 0, v11, vcc
	v_cndmask_b32_e32 v11, 0, v6, vcc
	v_add_f64 v[6:7], v[12:13], -v[10:11]
	v_add_f64 v[10:11], v[6:7], v[4:5]
	v_add_f64 v[6:7], v[10:11], -v[6:7]
	v_add_f64 v[4:5], v[4:5], -v[6:7]
	v_mul_f64 v[6:7], v[10:11], s[12:13]
	s_mov_b32 s0, 0x33145c07
	v_fma_f64 v[12:13], v[10:11], s[12:13], -v[6:7]
	s_mov_b32 s1, 0x3c91a626
	v_fmac_f64_e32 v[12:13], s[0:1], v[10:11]
	v_fmac_f64_e32 v[12:13], s[12:13], v[4:5]
	v_add_f64 v[10:11], v[6:7], v[12:13]
	v_add_f64 v[4:5], v[10:11], -v[6:7]
	v_add_f64 v[12:13], v[12:13], -v[4:5]
	s_andn2_saveexec_b64 s[0:1], s[14:15]
	s_cbranch_execz .LBB8_129
	s_branch .LBB8_128
.LBB8_55:
	s_andn2_saveexec_b64 s[0:1], s[0:1]
	s_cbranch_execz .LBB8_41
.LBB8_56:
	v_mov_b32_e32 v2, 4
	v_cmp_gt_i16_sdwa s[2:3], v3, v2 src0_sel:BYTE_0 src1_sel:DWORD
                                        ; implicit-def: $vgpr4_vgpr5
	s_and_saveexec_b64 s[6:7], s[2:3]
	s_xor_b64 s[2:3], exec, s[6:7]
	s_cbranch_execz .LBB8_78
; %bb.57:
	v_mov_b32_e32 v2, 7
	v_cmp_gt_i16_sdwa s[6:7], v3, v2 src0_sel:BYTE_0 src1_sel:DWORD
                                        ; implicit-def: $vgpr4_vgpr5
	s_and_saveexec_b64 s[8:9], s[6:7]
	s_xor_b64 s[6:7], exec, s[8:9]
	s_cbranch_execz .LBB8_67
; %bb.58:
	v_mov_b32_e32 v2, 8
	v_cmp_gt_i16_sdwa s[8:9], v3, v2 src0_sel:BYTE_0 src1_sel:DWORD
                                        ; implicit-def: $vgpr4_vgpr5
	s_and_saveexec_b64 s[10:11], s[8:9]
	s_xor_b64 s[8:9], exec, s[10:11]
	s_cbranch_execz .LBB8_64
; %bb.59:
	v_mov_b32_e32 v2, 9
	v_cmp_gt_i16_sdwa s[10:11], v3, v2 src0_sel:BYTE_0 src1_sel:DWORD
                                        ; implicit-def: $vgpr4_vgpr5
	s_and_saveexec_b64 s[12:13], s[10:11]
	s_xor_b64 s[10:11], exec, s[12:13]
	s_cbranch_execz .LBB8_61
; %bb.60:
	flat_load_dwordx2 v[4:5], v[0:1]
                                        ; implicit-def: $vgpr0_vgpr1
.LBB8_61:
	s_andn2_saveexec_b64 s[10:11], s[10:11]
	s_cbranch_execz .LBB8_63
; %bb.62:
	flat_load_dword v0, v[0:1]
	s_waitcnt vmcnt(0) lgkmcnt(0)
	v_cvt_f64_f32_e32 v[4:5], v0
.LBB8_63:
	s_or_b64 exec, exec, s[10:11]
                                        ; implicit-def: $vgpr0_vgpr1
.LBB8_64:
	s_andn2_saveexec_b64 s[8:9], s[8:9]
	s_cbranch_execz .LBB8_66
; %bb.65:
	flat_load_dword v0, v[0:1]
	s_waitcnt vmcnt(0) lgkmcnt(0)
	v_cvt_f32_f16_e32 v0, v0
	v_cvt_f64_f32_e32 v[4:5], v0
.LBB8_66:
	s_or_b64 exec, exec, s[8:9]
                                        ; implicit-def: $vgpr0_vgpr1
                                        ; implicit-def: $vgpr3
.LBB8_67:
	s_andn2_saveexec_b64 s[6:7], s[6:7]
	s_cbranch_execz .LBB8_77
; %bb.68:
	v_mov_b32_e32 v2, 5
	v_cmp_gt_i16_sdwa s[8:9], v3, v2 src0_sel:BYTE_0 src1_sel:DWORD
                                        ; implicit-def: $vgpr4_vgpr5
	s_and_saveexec_b64 s[10:11], s[8:9]
	s_xor_b64 s[8:9], exec, s[10:11]
	s_cbranch_execz .LBB8_74
; %bb.69:
	v_mov_b32_e32 v2, 6
	v_cmp_gt_i16_sdwa s[10:11], v3, v2 src0_sel:BYTE_0 src1_sel:DWORD
                                        ; implicit-def: $vgpr4_vgpr5
	s_and_saveexec_b64 s[12:13], s[10:11]
	s_xor_b64 s[10:11], exec, s[12:13]
	s_cbranch_execz .LBB8_71
; %bb.70:
	s_waitcnt vmcnt(0) lgkmcnt(0)
	flat_load_dwordx2 v[4:5], v[0:1]
                                        ; implicit-def: $vgpr0_vgpr1
.LBB8_71:
	s_andn2_saveexec_b64 s[10:11], s[10:11]
	s_cbranch_execz .LBB8_73
; %bb.72:
	flat_load_dword v0, v[0:1]
	s_waitcnt vmcnt(0) lgkmcnt(0)
	v_cvt_f64_f32_e32 v[4:5], v0
.LBB8_73:
	s_or_b64 exec, exec, s[10:11]
                                        ; implicit-def: $vgpr0_vgpr1
.LBB8_74:
	s_andn2_saveexec_b64 s[8:9], s[8:9]
	s_cbranch_execz .LBB8_76
; %bb.75:
	flat_load_ushort v0, v[0:1]
	s_waitcnt vmcnt(0) lgkmcnt(0)
	v_cvt_f32_f16_e32 v0, v0
	v_cvt_f64_f32_e32 v[4:5], v0
.LBB8_76:
	s_or_b64 exec, exec, s[8:9]
.LBB8_77:
	s_or_b64 exec, exec, s[6:7]
                                        ; implicit-def: $vgpr3
                                        ; implicit-def: $vgpr0_vgpr1
.LBB8_78:
	s_andn2_saveexec_b64 s[2:3], s[2:3]
	s_cbranch_execz .LBB8_96
; %bb.79:
	v_mov_b32_e32 v2, 1
	v_cmp_gt_i16_sdwa s[6:7], v3, v2 src0_sel:BYTE_0 src1_sel:DWORD
                                        ; implicit-def: $vgpr4_vgpr5
	s_and_saveexec_b64 s[8:9], s[6:7]
	s_xor_b64 s[6:7], exec, s[8:9]
	s_cbranch_execz .LBB8_89
; %bb.80:
	v_mov_b32_e32 v2, 2
	v_cmp_gt_i16_sdwa s[8:9], v3, v2 src0_sel:BYTE_0 src1_sel:DWORD
                                        ; implicit-def: $vgpr4_vgpr5
	s_and_saveexec_b64 s[10:11], s[8:9]
	s_xor_b64 s[8:9], exec, s[10:11]
	;; [unrolled: 7-line block ×3, first 2 shown]
	s_cbranch_execz .LBB8_83
; %bb.82:
	flat_load_dwordx2 v[0:1], v[0:1]
	s_waitcnt vmcnt(0) lgkmcnt(0)
	v_cvt_f64_i32_e32 v[2:3], v1
	v_ldexp_f64 v[2:3], v[2:3], 32
	v_cvt_f64_u32_e32 v[0:1], v0
	v_add_f64 v[4:5], v[2:3], v[0:1]
                                        ; implicit-def: $vgpr0_vgpr1
.LBB8_83:
	s_andn2_saveexec_b64 s[10:11], s[10:11]
	s_cbranch_execz .LBB8_85
; %bb.84:
	flat_load_dword v0, v[0:1]
	s_waitcnt vmcnt(0) lgkmcnt(0)
	v_cvt_f64_i32_e32 v[4:5], v0
.LBB8_85:
	s_or_b64 exec, exec, s[10:11]
                                        ; implicit-def: $vgpr0_vgpr1
.LBB8_86:
	s_andn2_saveexec_b64 s[8:9], s[8:9]
	s_cbranch_execz .LBB8_88
; %bb.87:
	flat_load_sshort v0, v[0:1]
	s_waitcnt vmcnt(0) lgkmcnt(0)
	v_cvt_f64_i32_e32 v[4:5], v0
.LBB8_88:
	s_or_b64 exec, exec, s[8:9]
                                        ; implicit-def: $vgpr0_vgpr1
                                        ; implicit-def: $vgpr3
.LBB8_89:
	s_andn2_saveexec_b64 s[6:7], s[6:7]
	s_cbranch_execz .LBB8_95
; %bb.90:
	v_mov_b32_e32 v2, 0
	v_cmp_gt_i16_sdwa s[8:9], v3, v2 src0_sel:BYTE_0 src1_sel:DWORD
                                        ; implicit-def: $vgpr4_vgpr5
	s_and_saveexec_b64 s[10:11], s[8:9]
	s_xor_b64 s[8:9], exec, s[10:11]
	s_cbranch_execz .LBB8_92
; %bb.91:
	flat_load_sbyte v0, v[0:1]
	s_waitcnt vmcnt(0) lgkmcnt(0)
	v_cvt_f64_i32_e32 v[4:5], v0
                                        ; implicit-def: $vgpr0_vgpr1
.LBB8_92:
	s_andn2_saveexec_b64 s[8:9], s[8:9]
	s_cbranch_execz .LBB8_94
; %bb.93:
	flat_load_ubyte v0, v[0:1]
	s_waitcnt vmcnt(0) lgkmcnt(0)
	v_cvt_f64_u32_e32 v[4:5], v0
.LBB8_94:
	s_or_b64 exec, exec, s[8:9]
.LBB8_95:
	s_or_b64 exec, exec, s[6:7]
.LBB8_96:
	s_or_b64 exec, exec, s[2:3]
	s_or_b64 s[4:5], s[4:5], exec
	s_or_b64 exec, exec, s[0:1]
                                        ; implicit-def: $vgpr0_vgpr1
	s_and_saveexec_b64 s[2:3], s[4:5]
	s_cbranch_execnz .LBB8_42
.LBB8_97:
	s_or_b64 exec, exec, s[2:3]
	s_waitcnt vmcnt(0) lgkmcnt(0)
	s_setpc_b64 s[30:31]
.LBB8_98:
	s_andn2_saveexec_b64 s[6:7], s[6:7]
	s_cbranch_execz .LBB8_37
.LBB8_99:
	v_mov_b32_e32 v2, 22
	v_cmp_gt_i16_sdwa s[2:3], v3, v2 src0_sel:BYTE_0 src1_sel:DWORD
	s_mov_b64 s[10:11], s[4:5]
                                        ; implicit-def: $vgpr4_vgpr5
	s_and_saveexec_b64 s[12:13], s[2:3]
	s_xor_b64 s[2:3], exec, s[12:13]
	s_cbranch_execz .LBB8_117
; %bb.100:
	v_mov_b32_e32 v2, 23
	v_cmp_gt_i16_sdwa s[10:11], v3, v2 src0_sel:BYTE_0 src1_sel:DWORD
                                        ; implicit-def: $vgpr4_vgpr5
	s_and_saveexec_b64 s[12:13], s[10:11]
	s_xor_b64 s[10:11], exec, s[12:13]
	s_cbranch_execz .LBB8_114
; %bb.101:
	v_mov_b32_e32 v2, 24
	v_cmp_gt_i16_sdwa s[12:13], v3, v2 src0_sel:BYTE_0 src1_sel:DWORD
                                        ; implicit-def: $vgpr4_vgpr5
	s_and_saveexec_b64 s[14:15], s[12:13]
	s_xor_b64 s[12:13], exec, s[14:15]
	s_cbranch_execz .LBB8_111
; %bb.102:
	flat_load_ubyte v2, v[0:1]
	s_movk_i32 s14, 0x7f
	s_waitcnt vmcnt(0) lgkmcnt(0)
	v_cmp_lt_i16_e32 vcc, s14, v2
	s_mov_b64 s[14:15], 0
	s_and_saveexec_b64 s[16:17], vcc
	s_xor_b64 s[16:17], exec, s[16:17]
	s_cbranch_execz .LBB8_106
; %bb.103:
	s_movk_i32 s14, 0x80
	v_cmp_eq_u16_e32 vcc, s14, v2
	s_mov_b64 s[14:15], -1
	s_and_saveexec_b64 s[18:19], vcc
; %bb.104:
	s_xor_b64 s[14:15], exec, -1
; %bb.105:
	s_or_b64 exec, exec, s[18:19]
	s_and_b64 s[14:15], s[14:15], exec
.LBB8_106:
	s_or_saveexec_b64 s[16:17], s[16:17]
	v_bfrev_b32_e32 v4, 4
	v_mov_b32_e32 v5, 0x7ff80000
	s_xor_b64 exec, exec, s[16:17]
; %bb.107:
	v_cmp_ne_u16_e32 vcc, 0, v2
	s_andn2_b64 s[14:15], s[14:15], exec
	s_and_b64 s[18:19], vcc, exec
	v_mov_b64_e32 v[4:5], 0
	s_or_b64 s[14:15], s[14:15], s[18:19]
; %bb.108:
	s_or_b64 exec, exec, s[16:17]
	s_and_saveexec_b64 s[16:17], s[14:15]
	s_cbranch_execz .LBB8_110
; %bb.109:
	v_lshlrev_b32_e32 v3, 24, v2
	v_and_b32_e32 v2, 0xffff, v2
	v_and_b32_e32 v4, 3, v2
	v_ffbh_u32_e32 v6, v4
	v_min_u32_e32 v6, 32, v6
	v_subrev_u32_e32 v7, 29, v6
	v_bfe_u32 v5, v2, 2, 5
	v_lshlrev_b32_e32 v2, v7, v2
	v_sub_u32_e32 v6, 30, v6
	v_and_b32_e32 v2, 3, v2
	v_cmp_eq_u32_e32 vcc, 0, v5
	v_and_b32_e32 v3, 0x80000000, v3
	s_nop 0
	v_cndmask_b32_e32 v5, v5, v6, vcc
	v_cndmask_b32_e32 v2, v4, v2, vcc
	v_mov_b32_e32 v4, 0x37800000
	v_lshlrev_b32_e32 v2, 21, v2
	v_lshl_add_u32 v4, v5, 23, v4
	v_or3_b32 v2, v3, v4, v2
	v_cvt_f64_f32_e32 v[4:5], v2
.LBB8_110:
	s_or_b64 exec, exec, s[16:17]
.LBB8_111:
	s_andn2_saveexec_b64 s[12:13], s[12:13]
	s_cbranch_execz .LBB8_113
; %bb.112:
	flat_load_ubyte v2, v[0:1]
	s_mov_b32 s14, 0x7f800000
	s_waitcnt vmcnt(0) lgkmcnt(0)
	v_lshlrev_b32_e32 v2, 24, v2
	v_and_b32_e32 v3, 0x7f000000, v2
	v_ffbh_u32_e32 v4, v3
	v_min_u32_e32 v4, 32, v4
	v_sub_u32_e64 v4, v4, 4 clamp
	v_lshlrev_b32_e32 v6, v4, v3
	v_lshlrev_b32_e32 v4, 23, v4
	v_lshrrev_b32_e32 v6, 4, v6
	v_add_u32_e32 v5, 0x1000000, v3
	v_sub_u32_e32 v4, v6, v4
	v_ashrrev_i32_e32 v5, 8, v5
	v_add_u32_e32 v4, 0x3c000000, v4
	v_and_or_b32 v4, v5, s14, v4
	v_cmp_ne_u32_e32 vcc, 0, v3
	s_brev_b32 s14, 1
	s_nop 0
	v_cndmask_b32_e32 v3, 0, v4, vcc
	v_and_or_b32 v2, v2, s14, v3
	v_cvt_f64_f32_e32 v[4:5], v2
.LBB8_113:
	s_or_b64 exec, exec, s[12:13]
.LBB8_114:
	s_andn2_saveexec_b64 s[10:11], s[10:11]
	s_cbranch_execz .LBB8_116
; %bb.115:
	flat_load_ubyte v2, v[0:1]
	s_movk_i32 s12, 0x7f00
	s_brev_b32 s13, 16
	s_waitcnt vmcnt(0) lgkmcnt(0)
	v_lshlrev_b16_e32 v3, 8, v2
	v_lshlrev_b32_e32 v2, 25, v2
	v_lshrrev_b32_e32 v4, 4, v2
	v_and_or_b32 v5, v3, s12, 0.5
	v_or_b32_e32 v4, 0x70000000, v4
	v_add_f32_e32 v5, -0.5, v5
	v_mul_f32_e32 v4, 0x7800000, v4
	v_cmp_gt_u32_e32 vcc, s13, v2
	v_bfe_i32 v3, v3, 0, 16
	s_brev_b32 s12, 1
	v_cndmask_b32_e32 v2, v4, v5, vcc
	v_and_or_b32 v2, v3, s12, v2
	v_cvt_f64_f32_e32 v[4:5], v2
.LBB8_116:
	s_or_b64 exec, exec, s[10:11]
	s_or_b64 s[10:11], s[4:5], exec
                                        ; implicit-def: $vgpr3
.LBB8_117:
	s_or_saveexec_b64 s[2:3], s[2:3]
	s_mov_b64 s[14:15], 0
	s_mov_b64 s[12:13], s[8:9]
	s_xor_b64 exec, exec, s[2:3]
	s_cbranch_execz .LBB8_125
; %bb.118:
	v_mov_b32_e32 v2, 14
	v_cmp_gt_i16_sdwa s[16:17], v3, v2 src0_sel:BYTE_0 src1_sel:DWORD
	s_mov_b64 s[12:13], s[8:9]
	s_mov_b64 s[14:15], s[10:11]
                                        ; implicit-def: $vgpr4_vgpr5
	s_and_saveexec_b64 s[18:19], s[16:17]
	s_xor_b64 s[16:17], exec, s[18:19]
	s_cbranch_execz .LBB8_122
; %bb.119:
	v_mov_b32_e32 v2, 15
	v_cmp_eq_u16_sdwa s[20:21], v3, v2 src0_sel:BYTE_0 src1_sel:DWORD
	s_mov_b64 s[12:13], -1
	s_mov_b64 s[14:15], s[10:11]
                                        ; implicit-def: $vgpr4_vgpr5
	s_and_saveexec_b64 s[18:19], s[20:21]
	s_cbranch_execz .LBB8_121
; %bb.120:
	flat_load_ushort v2, v[0:1]
	s_or_b64 s[14:15], s[10:11], exec
	s_xor_b64 s[12:13], exec, -1
	s_waitcnt vmcnt(0) lgkmcnt(0)
	v_lshlrev_b32_e32 v2, 16, v2
	v_cvt_f64_f32_e32 v[4:5], v2
.LBB8_121:
	s_or_b64 exec, exec, s[18:19]
	s_andn2_b64 s[18:19], s[10:11], exec
	s_and_b64 s[14:15], s[14:15], exec
	s_or_b64 s[14:15], s[18:19], s[14:15]
	s_andn2_b64 s[18:19], s[8:9], exec
	s_and_b64 s[12:13], s[12:13], exec
	s_or_b64 s[12:13], s[18:19], s[12:13]
                                        ; implicit-def: $vgpr3
.LBB8_122:
	s_or_saveexec_b64 s[16:17], s[16:17]
	s_mov_b64 s[18:19], 0
	s_xor_b64 exec, exec, s[16:17]
; %bb.123:
	v_mov_b32_e32 v2, 11
	v_cmp_ne_u16_sdwa s[20:21], v3, v2 src0_sel:BYTE_0 src1_sel:DWORD
	s_andn2_b64 s[12:13], s[12:13], exec
	s_and_b64 s[20:21], s[20:21], exec
	s_mov_b64 s[18:19], exec
	s_or_b64 s[12:13], s[12:13], s[20:21]
; %bb.124:
	s_or_b64 exec, exec, s[16:17]
	s_andn2_b64 s[10:11], s[10:11], exec
	s_and_b64 s[14:15], s[14:15], exec
	s_andn2_b64 s[16:17], s[8:9], exec
	s_and_b64 s[12:13], s[12:13], exec
	s_or_b64 s[10:11], s[10:11], s[14:15]
	s_and_b64 s[14:15], s[18:19], exec
	s_or_b64 s[12:13], s[16:17], s[12:13]
.LBB8_125:
	s_or_b64 exec, exec, s[2:3]
	s_andn2_b64 s[2:3], s[4:5], exec
	s_and_b64 s[4:5], s[10:11], exec
	s_andn2_b64 s[8:9], s[8:9], exec
	s_and_b64 s[10:11], s[12:13], exec
	s_or_b64 s[4:5], s[2:3], s[4:5]
	s_and_b64 s[2:3], s[14:15], exec
	s_or_b64 s[8:9], s[8:9], s[10:11]
	s_or_b64 exec, exec, s[6:7]
	s_and_saveexec_b64 s[6:7], s[8:9]
	s_cbranch_execz .LBB8_38
.LBB8_126:
	s_trap 2
	; divergent unreachable
	s_andn2_b64 s[2:3], s[2:3], exec
	s_or_b64 exec, exec, s[6:7]
	s_and_saveexec_b64 s[6:7], s[2:3]
	s_xor_b64 s[2:3], exec, s[6:7]
	s_cbranch_execnz .LBB8_39
	s_branch .LBB8_40
.LBB8_127:
	s_andn2_saveexec_b64 s[0:1], s[14:15]
	s_cbranch_execz .LBB8_129
.LBB8_128:
	s_mov_b32 s12, 0x6dc9c883
	s_mov_b32 s13, 0x3fe45f30
	v_mul_f64 v[4:5], |v[2:3]|, s[12:13]
	s_mov_b32 s12, 0x54442d18
	v_rndne_f64_e32 v[4:5], v[4:5]
	s_mov_b32 s13, 0xbff921fb
	v_fma_f64 v[6:7], v[4:5], s[12:13], |v[2:3]|
	s_mov_b32 s13, 0xbc91a626
	s_mov_b32 s12, 0x33145c00
	v_mul_f64 v[10:11], v[4:5], s[12:13]
	v_add_f64 v[22:23], v[6:7], v[10:11]
	v_fma_f64 v[12:13], s[12:13], v[4:5], v[6:7]
	s_mov_b32 s13, 0x3c91a626
	v_add_f64 v[6:7], v[6:7], -v[22:23]
	v_fma_f64 v[20:21], s[12:13], v[4:5], v[10:11]
	v_add_f64 v[6:7], v[6:7], v[10:11]
	v_add_f64 v[10:11], v[22:23], -v[12:13]
	v_add_f64 v[6:7], v[10:11], v[6:7]
	s_mov_b32 s12, 0x252049c0
	v_add_f64 v[6:7], v[6:7], -v[20:21]
	s_mov_b32 s13, 0xb97b839a
	v_fmac_f64_e32 v[6:7], s[12:13], v[4:5]
	v_add_f64 v[10:11], v[12:13], v[6:7]
	v_add_f64 v[12:13], v[10:11], -v[12:13]
	v_add_f64 v[12:13], v[6:7], -v[12:13]
	v_cvt_i32_f64_e32 v23, v[4:5]
.LBB8_129:
	s_or_b64 exec, exec, s[0:1]
                                        ; implicit-def: $vgpr22
                                        ; implicit-def: $vgpr4_vgpr5
                                        ; implicit-def: $vgpr6_vgpr7
	s_and_saveexec_b64 s[0:1], s[10:11]
	s_xor_b64 s[10:11], exec, s[0:1]
	s_cbranch_execz .LBB8_131
; %bb.130:
	s_mov_b32 s0, 0
	s_mov_b32 s1, 0x7b000000
	s_movk_i32 s12, 0xff80
	v_and_b32_e32 v6, 0x7fffffff, v3
	v_ldexp_f64 v[4:5], |v[2:3]|, s12
	v_cmp_ge_f64_e64 vcc, |v[2:3]|, s[0:1]
	s_mov_b32 s0, 0
	s_mov_b32 s1, 0x7ff00000
	v_cndmask_b32_e32 v5, v6, v5, vcc
	v_cndmask_b32_e32 v4, v2, v4, vcc
	v_mul_f64 v[20:21], v[18:19], v[4:5]
	v_mul_f64 v[6:7], v[16:17], v[4:5]
	v_fma_f64 v[18:19], v[18:19], v[4:5], -v[20:21]
	v_add_f64 v[24:25], v[6:7], v[18:19]
	v_add_f64 v[32:33], v[24:25], -v[6:7]
	v_add_f64 v[18:19], v[18:19], -v[32:33]
	;; [unrolled: 1-line block ×4, first 2 shown]
	v_fma_f64 v[6:7], v[16:17], v[4:5], -v[6:7]
	v_mul_f64 v[16:17], v[14:15], v[4:5]
	v_add_f64 v[18:19], v[18:19], v[32:33]
	v_add_f64 v[32:33], v[16:17], v[6:7]
	;; [unrolled: 1-line block ×4, first 2 shown]
	v_ldexp_f64 v[28:29], v[26:27], -2
	v_add_f64 v[20:21], v[26:27], -v[20:21]
	v_add_f64 v[26:27], v[34:35], -v[32:33]
	;; [unrolled: 1-line block ×5, first 2 shown]
	v_add_f64 v[18:19], v[18:19], v[26:27]
	v_add_f64 v[26:27], v[32:33], -v[16:17]
	v_add_f64 v[6:7], v[6:7], -v[26:27]
	;; [unrolled: 1-line block ×4, first 2 shown]
	v_add_f64 v[6:7], v[6:7], v[26:27]
	v_fract_f64_e32 v[30:31], v[28:29]
	v_add_f64 v[6:7], v[6:7], v[18:19]
	v_fma_f64 v[4:5], v[14:15], v[4:5], -v[16:17]
	v_add_f64 v[20:21], v[24:25], -v[20:21]
	v_add_f64 v[4:5], v[4:5], v[6:7]
	v_ldexp_f64 v[6:7], v[30:31], 2
	v_cmp_neq_f64_e64 vcc, |v[28:29]|, s[0:1]
	v_add_f64 v[24:25], v[20:21], v[34:35]
	v_mov_b32_e32 v16, 0x40100000
	v_cndmask_b32_e32 v7, 0, v7, vcc
	v_cndmask_b32_e32 v6, 0, v6, vcc
	v_add_f64 v[14:15], v[24:25], v[6:7]
	v_cmp_gt_f64_e32 vcc, 0, v[14:15]
	v_mov_b32_e32 v14, 0
	v_add_f64 v[20:21], v[24:25], -v[20:21]
	v_cndmask_b32_e32 v15, 0, v16, vcc
	v_add_f64 v[6:7], v[6:7], v[14:15]
	v_add_f64 v[16:17], v[24:25], v[6:7]
	v_cvt_i32_f64_e32 v15, v[16:17]
	v_cvt_f64_i32_e32 v[16:17], v15
	v_add_f64 v[6:7], v[6:7], -v[16:17]
	v_add_f64 v[16:17], v[24:25], v[6:7]
	v_add_f64 v[20:21], v[34:35], -v[20:21]
	v_add_f64 v[6:7], v[16:17], -v[6:7]
	v_add_f64 v[4:5], v[20:21], v[4:5]
	v_add_f64 v[6:7], v[24:25], -v[6:7]
	v_add_f64 v[4:5], v[4:5], v[6:7]
	v_cmp_le_f64_e32 vcc, 0.5, v[16:17]
	v_mov_b32_e32 v6, 0x3ff00000
	s_mov_b32 s12, 0x33145c07
	v_addc_co_u32_e64 v22, s[0:1], 0, v15, vcc
	v_cndmask_b32_e32 v15, 0, v6, vcc
	v_add_f64 v[6:7], v[16:17], -v[14:15]
	v_add_f64 v[14:15], v[6:7], v[4:5]
	s_mov_b32 s0, 0x54442d18
	v_add_f64 v[6:7], v[14:15], -v[6:7]
	s_mov_b32 s1, 0x3ff921fb
	v_add_f64 v[4:5], v[4:5], -v[6:7]
	v_mul_f64 v[6:7], v[14:15], s[0:1]
	v_fma_f64 v[16:17], v[14:15], s[0:1], -v[6:7]
	s_mov_b32 s13, 0x3c91a626
	v_fmac_f64_e32 v[16:17], s[12:13], v[14:15]
	v_fmac_f64_e32 v[16:17], s[0:1], v[4:5]
	v_add_f64 v[4:5], v[6:7], v[16:17]
	v_add_f64 v[6:7], v[4:5], -v[6:7]
	v_add_f64 v[6:7], v[16:17], -v[6:7]
	s_andn2_saveexec_b64 s[0:1], s[10:11]
	s_cbranch_execnz .LBB8_132
	s_branch .LBB8_133
.LBB8_131:
	s_andn2_saveexec_b64 s[0:1], s[10:11]
	s_cbranch_execz .LBB8_133
.LBB8_132:
	s_mov_b32 s10, 0x6dc9c883
	s_mov_b32 s11, 0x3fe45f30
	v_mul_f64 v[4:5], |v[2:3]|, s[10:11]
	s_mov_b32 s10, 0x54442d18
	v_rndne_f64_e32 v[14:15], v[4:5]
	s_mov_b32 s11, 0xbff921fb
	v_fma_f64 v[4:5], v[14:15], s[10:11], |v[2:3]|
	s_mov_b32 s11, 0xbc91a626
	s_mov_b32 s10, 0x33145c00
	v_mul_f64 v[16:17], v[14:15], s[10:11]
	v_add_f64 v[20:21], v[4:5], v[16:17]
	v_fma_f64 v[6:7], s[10:11], v[14:15], v[4:5]
	s_mov_b32 s11, 0x3c91a626
	v_add_f64 v[4:5], v[4:5], -v[20:21]
	v_fma_f64 v[18:19], s[10:11], v[14:15], v[16:17]
	v_add_f64 v[4:5], v[4:5], v[16:17]
	v_add_f64 v[16:17], v[20:21], -v[6:7]
	v_add_f64 v[4:5], v[16:17], v[4:5]
	s_mov_b32 s10, 0x252049c0
	v_add_f64 v[16:17], v[4:5], -v[18:19]
	s_mov_b32 s11, 0xb97b839a
	v_fmac_f64_e32 v[16:17], s[10:11], v[14:15]
	v_add_f64 v[4:5], v[6:7], v[16:17]
	v_add_f64 v[6:7], v[4:5], -v[6:7]
	v_add_f64 v[6:7], v[16:17], -v[6:7]
	v_cvt_i32_f64_e32 v22, v[14:15]
.LBB8_133:
	s_or_b64 exec, exec, s[0:1]
	v_div_scale_f64 v[14:15], s[0:1], v[8:9], v[8:9], 1.0
	v_rcp_f64_e32 v[16:17], v[14:15]
	v_div_scale_f64 v[18:19], vcc, 1.0, v[8:9], 1.0
	v_mov_b32_e32 v24, 0xaf76e73b
	v_fma_f64 v[20:21], -v[14:15], v[16:17], 1.0
	v_fmac_f64_e32 v[16:17], v[16:17], v[20:21]
	v_fma_f64 v[20:21], -v[14:15], v[16:17], 1.0
	v_fmac_f64_e32 v[16:17], v[16:17], v[20:21]
	v_mul_f64 v[20:21], v[18:19], v[16:17]
	v_fma_f64 v[14:15], -v[14:15], v[20:21], v[18:19]
	v_div_fmas_f64 v[14:15], v[14:15], v[16:17], v[20:21]
	v_div_fixup_f64 v[8:9], v[14:15], v[8:9], 1.0
	v_mul_f64 v[14:15], v[8:9], v[8:9]
	v_mov_b32_e32 v16, 0xd50ae6fb
	v_mov_b32_e32 v17, 0xbfc0db6c
	v_fmac_f64_e32 v[16:17], 0, v[14:15]
	v_mov_b32_e32 v18, 0x98566852
	v_mov_b32_e32 v19, 0xbfe40bee
	v_fmac_f64_e32 v[18:19], v[14:15], v[16:17]
	;; [unrolled: 3-line block ×15, first 2 shown]
	v_mov_b32_e32 v25, 0x3f13c8d7
	v_fmac_f64_e32 v[24:25], v[14:15], v[16:17]
	v_mov_b32_e32 v20, 0xb99518a7
	v_mov_b32_e32 v21, 0x3e9e52b9
	v_mul_f64 v[26:27], v[10:11], v[10:11]
	v_fmac_f64_e32 v[20:21], v[14:15], v[24:25]
	v_mov_b32_e32 v24, 0xf68ea2d2
	v_mov_b32_e32 v25, 0xbe52041c
	v_mul_f64 v[16:17], v[26:27], 0.5
	v_fmac_f64_e32 v[24:25], v[14:15], v[18:19]
	v_add_f64 v[18:19], -v[16:17], 1.0
	s_mov_b32 s0, 0x9037ab78
	v_add_f64 v[28:29], -v[18:19], 1.0
	s_mov_b32 s1, 0x3e21eeb6
	s_mov_b32 s10, 0x46cc5e42
	v_add_f64 v[28:29], v[28:29], -v[16:17]
	s_mov_b32 s11, 0xbda907db
	v_mov_b64_e32 v[16:17], s[0:1]
	s_mov_b32 s12, 0xa17f65f6
	v_fma_f64 v[32:33], s[10:11], v[26:27], v[16:17]
	s_mov_b32 s13, 0xbe927e4f
	s_mov_b32 s14, 0x19f4ec90
	v_fma_f64 v[32:33], v[26:27], v[32:33], s[12:13]
	s_mov_b32 s15, 0x3efa01a0
	;; [unrolled: 3-line block ×4, first 2 shown]
	v_mul_f64 v[30:31], v[26:27], v[26:27]
	v_fma_f64 v[32:33], v[26:27], v[32:33], s[18:19]
	v_fma_f64 v[28:29], v[10:11], -v[12:13], v[28:29]
	s_mov_b32 s0, 0xb42fdfa7
	v_fmac_f64_e32 v[28:29], v[30:31], v[32:33]
	s_mov_b32 s1, 0xbe5ae600
	s_mov_b32 s20, 0xf9a43bb8
	v_add_f64 v[28:29], v[18:19], v[28:29]
	s_mov_b32 s21, 0x3de5e0b2
	v_mov_b64_e32 v[18:19], s[0:1]
	s_mov_b32 s22, 0x796cde01
	v_fma_f64 v[30:31], s[20:21], v[26:27], v[18:19]
	s_mov_b32 s23, 0x3ec71de3
	s_mov_b32 s24, 0x19e83e5c
	v_fma_f64 v[30:31], v[26:27], v[30:31], s[22:23]
	s_mov_b32 s25, 0xbf2a01a0
	;; [unrolled: 3-line block ×3, first 2 shown]
	v_fma_f64 v[30:31], v[26:27], v[30:31], s[26:27]
	v_mul_f64 v[32:33], v[10:11], -v[26:27]
	v_mul_f64 v[34:35], v[12:13], 0.5
	v_fmac_f64_e32 v[34:35], v[32:33], v[30:31]
	v_fma_f64 v[12:13], v[26:27], v[34:35], -v[12:13]
	s_mov_b32 s29, 0xbfc55555
	s_mov_b32 s28, s18
	v_fmac_f64_e32 v[12:13], s[28:29], v[32:33]
	v_add_f64 v[10:11], v[10:11], -v[12:13]
	v_and_b32_e32 v12, 1, v23
	v_cmp_eq_u32_e32 vcc, 0, v12
	s_brev_b32 s40, 1
	s_movk_i32 s41, 0x1f8
	v_cndmask_b32_e32 v26, v28, v10, vcc
	v_cndmask_b32_e32 v10, v29, v11, vcc
	v_lshlrev_b32_e32 v11, 30, v23
	v_xor_b32_e32 v11, v11, v3
	v_bitop3_b32 v23, v10, v11, s40 bitop3:0x78
	v_mul_f64 v[10:11], v[14:15], v[24:25]
	v_div_scale_f64 v[12:13], s[0:1], v[20:21], v[20:21], v[10:11]
	v_rcp_f64_e32 v[24:25], v[12:13]
	v_cmp_class_f64_e64 s[0:1], v[2:3], s41
	s_mov_b32 s42, 0
	s_brev_b32 s43, 8
	v_cndmask_b32_e64 v2, 0, v26, s[0:1]
	v_fma_f64 v[26:27], -v[12:13], v[24:25], 1.0
	v_fmac_f64_e32 v[24:25], v[24:25], v[26:27]
	v_fma_f64 v[26:27], -v[12:13], v[24:25], 1.0
	v_fmac_f64_e32 v[24:25], v[24:25], v[26:27]
	v_div_scale_f64 v[26:27], vcc, v[10:11], v[20:21], v[10:11]
	v_mul_f64 v[28:29], v[26:27], v[24:25]
	v_fma_f64 v[12:13], -v[12:13], v[28:29], v[26:27]
	v_mov_b32_e32 v26, 0xdb0724e8
	s_nop 0
	v_div_fmas_f64 v[12:13], v[12:13], v[24:25], v[28:29]
	v_div_fixup_f64 v[10:11], v[12:13], v[20:21], v[10:11]
	v_mov_b32_e32 v12, 0xddcfbbde
	v_mov_b32_e32 v13, 0x3f943525
	v_fmac_f64_e32 v[12:13], 0, v[14:15]
	v_mov_b32_e32 v20, 0x6437b7
	v_mov_b32_e32 v21, 0x3fd907d5
	v_fmac_f64_e32 v[20:21], v[14:15], v[12:13]
	;; [unrolled: 3-line block ×19, first 2 shown]
	v_mov_b32_e32 v20, 0x100
	v_cmp_gt_f64_e32 vcc, s[42:43], v[0:1]
	v_mov_b32_e32 v27, 0x3eb3a845
	v_fmac_f64_e32 v[26:27], v[14:15], v[24:25]
	v_cndmask_b32_e32 v20, 0, v20, vcc
	v_ldexp_f64 v[0:1], v[0:1], v20
	v_rsq_f64_e32 v[20:21], v[0:1]
	v_mov_b32_e32 v32, 0x7ff80000
	v_cndmask_b32_e64 v3, v32, v23, s[0:1]
	v_mov_b32_e32 v23, 0x260
	v_mul_f64 v[24:25], v[0:1], v[20:21]
	v_mul_f64 v[20:21], v[20:21], 0.5
	v_fma_f64 v[28:29], -v[20:21], v[24:25], 0.5
	v_fmac_f64_e32 v[24:25], v[24:25], v[28:29]
	v_fma_f64 v[30:31], -v[24:25], v[24:25], v[0:1]
	v_fmac_f64_e32 v[20:21], v[20:21], v[28:29]
	v_fmac_f64_e32 v[24:25], v[30:31], v[20:21]
	v_fma_f64 v[28:29], -v[24:25], v[24:25], v[0:1]
	v_fmac_f64_e32 v[24:25], v[28:29], v[20:21]
	v_mov_b32_e32 v20, 0xffffff80
	v_cndmask_b32_e32 v20, 0, v20, vcc
	v_ldexp_f64 v[20:21], v[24:25], v20
	v_cmp_class_f64_e32 vcc, v[0:1], v23
	s_mov_b32 s42, 0x50429b6d
	s_mov_b32 s43, 0x3fe20dd7
	v_cndmask_b32_e32 v1, v21, v1, vcc
	v_cndmask_b32_e32 v0, v20, v0, vcc
	v_div_scale_f64 v[20:21], s[44:45], v[0:1], v[0:1], s[42:43]
	v_rcp_f64_e32 v[24:25], v[20:21]
	v_mov_b32_e32 v28, 0x3dd589d4
	v_mov_b32_e32 v29, 0x3e351fc7
	v_fmac_f64_e32 v[28:29], v[14:15], v[26:27]
	v_fma_f64 v[14:15], -v[20:21], v[24:25], 1.0
	v_fmac_f64_e32 v[24:25], v[24:25], v[14:15]
	v_fma_f64 v[14:15], -v[20:21], v[24:25], 1.0
	v_fmac_f64_e32 v[24:25], v[24:25], v[14:15]
	v_div_scale_f64 v[14:15], vcc, s[42:43], v[0:1], s[42:43]
	v_mul_f64 v[26:27], v[14:15], v[24:25]
	v_fma_f64 v[14:15], -v[20:21], v[26:27], v[14:15]
	v_add_f64 v[10:11], v[10:11], 1.0
	s_nop 0
	v_div_fmas_f64 v[14:15], v[14:15], v[24:25], v[26:27]
	v_div_fixup_f64 v[0:1], v[14:15], v[0:1], s[42:43]
	v_mul_f64 v[14:15], v[4:5], v[4:5]
	v_mul_f64 v[20:21], v[14:15], 0.5
	v_fmac_f64_e32 v[16:17], s[10:11], v[14:15]
	v_add_f64 v[24:25], -v[20:21], 1.0
	v_fma_f64 v[16:17], v[14:15], v[16:17], s[12:13]
	v_add_f64 v[26:27], -v[24:25], 1.0
	v_fma_f64 v[16:17], v[14:15], v[16:17], s[14:15]
	v_add_f64 v[20:21], v[26:27], -v[20:21]
	v_fma_f64 v[16:17], v[14:15], v[16:17], s[16:17]
	v_fmac_f64_e32 v[18:19], s[20:21], v[14:15]
	v_mul_f64 v[26:27], v[14:15], v[14:15]
	v_fma_f64 v[16:17], v[14:15], v[16:17], s[18:19]
	v_fma_f64 v[20:21], v[4:5], -v[6:7], v[20:21]
	v_fma_f64 v[18:19], v[14:15], v[18:19], s[22:23]
	v_fmac_f64_e32 v[20:21], v[26:27], v[16:17]
	v_fma_f64 v[18:19], v[14:15], v[18:19], s[24:25]
	v_add_f64 v[16:17], v[24:25], v[20:21]
	v_fma_f64 v[18:19], v[14:15], v[18:19], s[26:27]
	v_mul_f64 v[20:21], v[4:5], -v[14:15]
	v_mul_f64 v[24:25], v[6:7], 0.5
	v_fmac_f64_e32 v[24:25], v[20:21], v[18:19]
	v_fma_f64 v[6:7], v[14:15], v[24:25], -v[6:7]
	v_fmac_f64_e32 v[6:7], s[28:29], v[20:21]
	v_add_f64 v[4:5], v[4:5], -v[6:7]
	v_and_b32_e32 v6, 1, v22
	v_xor_b32_e32 v5, 0x80000000, v5
	v_cmp_eq_u32_e32 vcc, 0, v6
	s_nop 1
	v_cndmask_b32_e32 v14, v4, v16, vcc
	v_cndmask_b32_e32 v15, v5, v17, vcc
	v_mul_f64 v[4:5], v[8:9], v[12:13]
	v_div_scale_f64 v[6:7], s[10:11], v[28:29], v[28:29], v[4:5]
	v_rcp_f64_e32 v[8:9], v[6:7]
	v_lshlrev_b32_e32 v16, 30, v22
	v_bitop3_b32 v13, v15, v16, s40 bitop3:0x78
	v_cndmask_b32_e64 v12, 0, v14, s[0:1]
	v_fma_f64 v[14:15], -v[6:7], v[8:9], 1.0
	v_fmac_f64_e32 v[8:9], v[8:9], v[14:15]
	v_fma_f64 v[14:15], -v[6:7], v[8:9], 1.0
	v_fmac_f64_e32 v[8:9], v[8:9], v[14:15]
	v_div_scale_f64 v[14:15], vcc, v[4:5], v[28:29], v[4:5]
	v_mul_f64 v[16:17], v[14:15], v[8:9]
	v_fma_f64 v[6:7], -v[6:7], v[16:17], v[14:15]
	v_cndmask_b32_e64 v13, v32, v13, s[0:1]
	s_nop 0
	v_div_fmas_f64 v[6:7], v[6:7], v[8:9], v[16:17]
	v_div_fixup_f64 v[4:5], v[6:7], v[28:29], v[4:5]
	v_mul_f64 v[4:5], v[4:5], v[12:13]
	v_fma_f64 v[2:3], v[10:11], v[2:3], -v[4:5]
	v_mul_f64 v[0:1], v[0:1], v[2:3]
.LBB8_134:
	s_or_b64 exec, exec, s[8:9]
.LBB8_135:
	s_or_b64 exec, exec, s[6:7]
.LBB8_136:
	s_or_b64 exec, exec, s[4:5]
	s_or_b64 exec, exec, s[2:3]
	s_setpc_b64 s[30:31]
.Lfunc_end8:
	.size	_ZN2at6native6invokeIZZZNS0_12_GLOBAL__N_119airy_ai_kernel_cudaERNS_18TensorIteratorBaseEENKUlvE_clEvENKUlvE_clEvEUldE_i15function_traitsIS7_EEENT1_11result_typeERKT_PrKPcPKT0_PKN3c1010ScalarTypeEi, .Lfunc_end8-_ZN2at6native6invokeIZZZNS0_12_GLOBAL__N_119airy_ai_kernel_cudaERNS_18TensorIteratorBaseEENKUlvE_clEvENKUlvE_clEvEUldE_i15function_traitsIS7_EEENT1_11result_typeERKT_PrKPcPKT0_PKN3c1010ScalarTypeEi
                                        ; -- End function
	.set .L_ZN2at6native6invokeIZZZNS0_12_GLOBAL__N_119airy_ai_kernel_cudaERNS_18TensorIteratorBaseEENKUlvE_clEvENKUlvE_clEvEUldE_i15function_traitsIS7_EEENT1_11result_typeERKT_PrKPcPKT0_PKN3c1010ScalarTypeEi.num_vgpr, 36
	.set .L_ZN2at6native6invokeIZZZNS0_12_GLOBAL__N_119airy_ai_kernel_cudaERNS_18TensorIteratorBaseEENKUlvE_clEvENKUlvE_clEvEUldE_i15function_traitsIS7_EEENT1_11result_typeERKT_PrKPcPKT0_PKN3c1010ScalarTypeEi.num_agpr, 0
	.set .L_ZN2at6native6invokeIZZZNS0_12_GLOBAL__N_119airy_ai_kernel_cudaERNS_18TensorIteratorBaseEENKUlvE_clEvENKUlvE_clEvEUldE_i15function_traitsIS7_EEENT1_11result_typeERKT_PrKPcPKT0_PKN3c1010ScalarTypeEi.numbered_sgpr, 46
	.set .L_ZN2at6native6invokeIZZZNS0_12_GLOBAL__N_119airy_ai_kernel_cudaERNS_18TensorIteratorBaseEENKUlvE_clEvENKUlvE_clEvEUldE_i15function_traitsIS7_EEENT1_11result_typeERKT_PrKPcPKT0_PKN3c1010ScalarTypeEi.num_named_barrier, 0
	.set .L_ZN2at6native6invokeIZZZNS0_12_GLOBAL__N_119airy_ai_kernel_cudaERNS_18TensorIteratorBaseEENKUlvE_clEvENKUlvE_clEvEUldE_i15function_traitsIS7_EEENT1_11result_typeERKT_PrKPcPKT0_PKN3c1010ScalarTypeEi.private_seg_size, 0
	.set .L_ZN2at6native6invokeIZZZNS0_12_GLOBAL__N_119airy_ai_kernel_cudaERNS_18TensorIteratorBaseEENKUlvE_clEvENKUlvE_clEvEUldE_i15function_traitsIS7_EEENT1_11result_typeERKT_PrKPcPKT0_PKN3c1010ScalarTypeEi.uses_vcc, 1
	.set .L_ZN2at6native6invokeIZZZNS0_12_GLOBAL__N_119airy_ai_kernel_cudaERNS_18TensorIteratorBaseEENKUlvE_clEvENKUlvE_clEvEUldE_i15function_traitsIS7_EEENT1_11result_typeERKT_PrKPcPKT0_PKN3c1010ScalarTypeEi.uses_flat_scratch, 0
	.set .L_ZN2at6native6invokeIZZZNS0_12_GLOBAL__N_119airy_ai_kernel_cudaERNS_18TensorIteratorBaseEENKUlvE_clEvENKUlvE_clEvEUldE_i15function_traitsIS7_EEENT1_11result_typeERKT_PrKPcPKT0_PKN3c1010ScalarTypeEi.has_dyn_sized_stack, 0
	.set .L_ZN2at6native6invokeIZZZNS0_12_GLOBAL__N_119airy_ai_kernel_cudaERNS_18TensorIteratorBaseEENKUlvE_clEvENKUlvE_clEvEUldE_i15function_traitsIS7_EEENT1_11result_typeERKT_PrKPcPKT0_PKN3c1010ScalarTypeEi.has_recursion, 0
	.set .L_ZN2at6native6invokeIZZZNS0_12_GLOBAL__N_119airy_ai_kernel_cudaERNS_18TensorIteratorBaseEENKUlvE_clEvENKUlvE_clEvEUldE_i15function_traitsIS7_EEENT1_11result_typeERKT_PrKPcPKT0_PKN3c1010ScalarTypeEi.has_indirect_call, 0
	.section	.AMDGPU.csdata,"",@progbits
; Function info:
; codeLenInByte = 8392
; TotalNumSgprs: 52
; NumVgprs: 36
; NumAgprs: 0
; TotalNumVgprs: 36
; ScratchSize: 0
; MemoryBound: 1
	.section	.text._ZN2at6native32elementwise_kernel_manual_unrollILi128ELi4EZNS0_15gpu_kernel_implIZZZNS0_12_GLOBAL__N_119airy_ai_kernel_cudaERNS_18TensorIteratorBaseEENKUlvE_clEvENKUlvE_clEvEUldE_EEvS5_RKT_EUlibE_EEviT1_,"axG",@progbits,_ZN2at6native32elementwise_kernel_manual_unrollILi128ELi4EZNS0_15gpu_kernel_implIZZZNS0_12_GLOBAL__N_119airy_ai_kernel_cudaERNS_18TensorIteratorBaseEENKUlvE_clEvENKUlvE_clEvEUldE_EEvS5_RKT_EUlibE_EEviT1_,comdat
	.globl	_ZN2at6native32elementwise_kernel_manual_unrollILi128ELi4EZNS0_15gpu_kernel_implIZZZNS0_12_GLOBAL__N_119airy_ai_kernel_cudaERNS_18TensorIteratorBaseEENKUlvE_clEvENKUlvE_clEvEUldE_EEvS5_RKT_EUlibE_EEviT1_ ; -- Begin function _ZN2at6native32elementwise_kernel_manual_unrollILi128ELi4EZNS0_15gpu_kernel_implIZZZNS0_12_GLOBAL__N_119airy_ai_kernel_cudaERNS_18TensorIteratorBaseEENKUlvE_clEvENKUlvE_clEvEUldE_EEvS5_RKT_EUlibE_EEviT1_
	.p2align	8
	.type	_ZN2at6native32elementwise_kernel_manual_unrollILi128ELi4EZNS0_15gpu_kernel_implIZZZNS0_12_GLOBAL__N_119airy_ai_kernel_cudaERNS_18TensorIteratorBaseEENKUlvE_clEvENKUlvE_clEvEUldE_EEvS5_RKT_EUlibE_EEviT1_,@function
_ZN2at6native32elementwise_kernel_manual_unrollILi128ELi4EZNS0_15gpu_kernel_implIZZZNS0_12_GLOBAL__N_119airy_ai_kernel_cudaERNS_18TensorIteratorBaseEENKUlvE_clEvENKUlvE_clEvEUldE_EEvS5_RKT_EUlibE_EEviT1_: ; @_ZN2at6native32elementwise_kernel_manual_unrollILi128ELi4EZNS0_15gpu_kernel_implIZZZNS0_12_GLOBAL__N_119airy_ai_kernel_cudaERNS_18TensorIteratorBaseEENKUlvE_clEvENKUlvE_clEvEUldE_EEvS5_RKT_EUlibE_EEviT1_
; %bb.0:
	v_mov_b32_e32 v1, 0
	global_load_ushort v1, v1, s[0:1] offset:33
	s_load_dword s62, s[0:1], 0x0
	s_load_dwordx2 s[34:35], s[0:1], 0x18
	s_load_dwordx4 s[36:39], s[0:1], 0x8
	v_lshl_or_b32 v42, s2, 9, v0
	v_mov_b32_e32 v2, 8
	v_or_b32_e32 v44, 0x180, v42
	s_mov_b64 s[46:47], 0
	s_waitcnt lgkmcnt(0)
	v_cmp_le_i32_e32 vcc, s62, v44
	s_mov_b64 s[50:51], 0
	s_mov_b32 s32, 0
	s_waitcnt vmcnt(0)
	v_readfirstlane_b32 s33, v1
	v_lshrrev_b32_sdwa v43, v2, v1 dst_sel:DWORD dst_unused:UNUSED_PAD src0_sel:DWORD src1_sel:WORD_0
	s_and_saveexec_b64 s[0:1], vcc
	s_xor_b64 s[48:49], exec, s[0:1]
	s_cbranch_execz .LBB9_508
; %bb.1:
	v_cmp_gt_i32_e32 vcc, s62, v42
	s_mov_b64 s[0:1], -1
	s_mov_b64 s[56:57], 0
	s_and_saveexec_b64 s[52:53], vcc
                                        ; implicit-def: $vgpr2_vgpr3
	s_cbranch_execz .LBB9_124
; %bb.2:
	s_getpc_b64 s[0:1]
	s_add_u32 s0, s0, _ZN2at6native6invokeIZZZNS0_12_GLOBAL__N_119airy_ai_kernel_cudaERNS_18TensorIteratorBaseEENKUlvE_clEvENKUlvE_clEvEUldE_i15function_traitsIS7_EEENT1_11result_typeERKT_PrKPcPKT0_PKN3c1010ScalarTypeEi@rel32@lo+4
	s_addc_u32 s1, s1, _ZN2at6native6invokeIZZZNS0_12_GLOBAL__N_119airy_ai_kernel_cudaERNS_18TensorIteratorBaseEENKUlvE_clEvENKUlvE_clEvEUldE_i15function_traitsIS7_EEENT1_11result_typeERKT_PrKPcPKT0_PKN3c1010ScalarTypeEi@rel32@hi+12
	v_mov_b32_e32 v0, s38
	v_mov_b32_e32 v1, s39
	;; [unrolled: 1-line block ×5, first 2 shown]
	s_swappc_b64 s[30:31], s[0:1]
	v_mul_lo_u32 v2, v42, s34
	v_ashrrev_i32_e32 v3, 31, v2
	s_and_b32 s8, s33, 0xff
	s_cmp_lt_i32 s8, 11
	v_lshl_add_u64 v[4:5], s[36:37], 0, v[2:3]
	s_cbranch_scc1 .LBB9_9
; %bb.3:
	s_and_b32 s9, 0xffff, s8
	s_cmp_gt_i32 s9, 25
	s_cbranch_scc0 .LBB9_12
; %bb.4:
	s_cmp_gt_i32 s9, 28
	s_cbranch_scc0 .LBB9_13
; %bb.5:
	;; [unrolled: 3-line block ×4, first 2 shown]
	s_mov_b64 s[4:5], 0
	s_mov_b64 s[0:1], -1
	s_cmp_eq_u32 s9, 46
	s_mov_b64 s[2:3], 0
	s_cbranch_scc0 .LBB9_16
; %bb.8:
	v_cvt_f32_f64_e32 v2, v[0:1]
	v_bfe_u32 v3, v2, 16, 1
	s_movk_i32 s0, 0x7fff
	v_add3_u32 v3, v2, v3, s0
	v_cmp_o_f32_e32 vcc, v2, v2
	v_mov_b32_e32 v2, 0x7fc0
	s_mov_b64 s[2:3], -1
	v_cndmask_b32_sdwa v2, v2, v3, vcc dst_sel:DWORD dst_unused:UNUSED_PAD src0_sel:DWORD src1_sel:WORD_1
	global_store_dword v[4:5], v2, off
	s_mov_b64 s[0:1], 0
	s_branch .LBB9_16
.LBB9_9:
	s_mov_b64 s[0:1], 0
	s_mov_b64 s[2:3], 0
	s_cbranch_execnz .LBB9_84
.LBB9_10:
	s_andn2_b64 vcc, exec, s[2:3]
	s_cbranch_vccnz .LBB9_122
.LBB9_11:
	v_add_u32_e32 v42, 0x80, v42
	s_mov_b64 s[2:3], -1
	s_branch .LBB9_123
.LBB9_12:
	s_mov_b64 s[0:1], 0
	s_mov_b64 s[2:3], 0
	s_cbranch_execnz .LBB9_43
	s_branch .LBB9_83
.LBB9_13:
	s_mov_b64 s[4:5], -1
	s_mov_b64 s[0:1], 0
	s_mov_b64 s[2:3], 0
	s_branch .LBB9_26
.LBB9_14:
	s_mov_b64 s[4:5], -1
	s_mov_b64 s[0:1], 0
	s_mov_b64 s[2:3], 0
	s_branch .LBB9_22
.LBB9_15:
	s_mov_b64 s[4:5], -1
	s_mov_b64 s[0:1], 0
	s_mov_b64 s[2:3], 0
.LBB9_16:
	s_and_b64 vcc, exec, s[4:5]
	s_cbranch_vccz .LBB9_21
; %bb.17:
	s_cmp_eq_u32 s9, 44
	s_mov_b64 s[0:1], -1
	s_cbranch_scc0 .LBB9_21
; %bb.18:
	v_cvt_f32_f64_e32 v2, v[0:1]
	v_bfe_u32 v3, v2, 23, 8
	s_movk_i32 s0, 0xff
	v_cmp_ne_u32_e32 vcc, s0, v3
	v_mov_b32_e32 v6, 0xff
	s_and_saveexec_b64 s[2:3], vcc
; %bb.19:
	s_mov_b32 s0, 0x3fffff
	v_lshrrev_b32_e32 v6, 23, v2
	v_and_b32_e32 v7, 0x400000, v2
	v_and_or_b32 v2, v2, s0, v3
	v_cmp_ne_u32_e32 vcc, 0, v7
	v_cmp_ne_u32_e64 s[0:1], 0, v2
	s_and_b64 s[0:1], vcc, s[0:1]
	s_nop 0
	v_cndmask_b32_e64 v2, 0, 1, s[0:1]
	v_add_u32_e32 v6, v6, v2
; %bb.20:
	s_or_b64 exec, exec, s[2:3]
	s_mov_b64 s[2:3], -1
	s_mov_b64 s[0:1], 0
	global_store_byte v[4:5], v6, off
.LBB9_21:
	s_mov_b64 s[4:5], 0
.LBB9_22:
	s_and_b64 vcc, exec, s[4:5]
	s_cbranch_vccz .LBB9_25
; %bb.23:
	s_cmp_eq_u32 s9, 29
	s_mov_b64 s[0:1], -1
	s_cbranch_scc0 .LBB9_25
; %bb.24:
	v_trunc_f64_e32 v[2:3], v[0:1]
	s_movk_i32 s0, 0xffe0
	v_ldexp_f64 v[6:7], v[2:3], s0
	v_floor_f64_e32 v[6:7], v[6:7]
	v_fmac_f64_e32 v[2:3], 0xc1f00000, v[6:7]
	v_cvt_u32_f64_e32 v9, v[6:7]
	v_cvt_u32_f64_e32 v8, v[2:3]
	global_store_dwordx2 v[4:5], v[8:9], off
	s_mov_b64 s[2:3], -1
	s_mov_b64 s[0:1], 0
.LBB9_25:
	s_mov_b64 s[4:5], 0
.LBB9_26:
	s_and_b64 vcc, exec, s[4:5]
	s_cbranch_vccz .LBB9_42
; %bb.27:
	s_cmp_lt_i32 s9, 27
	s_mov_b64 s[2:3], -1
	s_cbranch_scc1 .LBB9_33
; %bb.28:
	s_cmp_gt_i32 s9, 27
	v_cvt_u32_f64_e32 v2, v[0:1]
	s_cbranch_scc0 .LBB9_30
; %bb.29:
	s_mov_b64 s[2:3], 0
	global_store_dword v[4:5], v2, off
.LBB9_30:
	s_andn2_b64 vcc, exec, s[2:3]
	s_cbranch_vccnz .LBB9_32
; %bb.31:
	global_store_short v[4:5], v2, off
.LBB9_32:
	s_mov_b64 s[2:3], 0
.LBB9_33:
	s_andn2_b64 vcc, exec, s[2:3]
	s_cbranch_vccnz .LBB9_41
; %bb.34:
	v_cvt_f32_f64_e32 v2, v[0:1]
	v_and_b32_e32 v3, 0x7fffffff, v2
	s_mov_b32 s2, 0x43800000
	v_cmp_gt_u32_e32 vcc, s2, v3
	v_mov_b32_e32 v6, 0x80
	s_and_saveexec_b64 s[2:3], vcc
	s_cbranch_execz .LBB9_40
; %bb.35:
	s_mov_b32 s4, 0x3bffffff
	v_cmp_lt_u32_e32 vcc, s4, v3
	s_mov_b64 s[4:5], 0
                                        ; implicit-def: $vgpr3
	s_and_saveexec_b64 s[6:7], vcc
	s_xor_b64 s[6:7], exec, s[6:7]
	s_cbranch_execz .LBB9_141
; %bb.36:
	v_bfe_u32 v3, v2, 20, 1
	s_mov_b32 s10, 0x487ffff
	v_add3_u32 v3, v2, v3, s10
	s_mov_b64 s[4:5], exec
	v_lshrrev_b32_e32 v3, 20, v3
	s_andn2_saveexec_b64 s[6:7], s[6:7]
	s_cbranch_execnz .LBB9_142
.LBB9_37:
	s_or_b64 exec, exec, s[6:7]
	v_mov_b32_e32 v6, 0
	s_and_saveexec_b64 s[6:7], s[4:5]
.LBB9_38:
	v_lshrrev_b32_e32 v2, 24, v2
	s_movk_i32 s4, 0x80
	v_and_or_b32 v6, v2, s4, v3
.LBB9_39:
	s_or_b64 exec, exec, s[6:7]
.LBB9_40:
	s_or_b64 exec, exec, s[2:3]
	global_store_byte v[4:5], v6, off
.LBB9_41:
	s_mov_b64 s[2:3], -1
.LBB9_42:
	s_branch .LBB9_83
.LBB9_43:
	s_cmp_gt_i32 s9, 22
	s_mov_b64 s[4:5], -1
	s_cbranch_scc0 .LBB9_75
; %bb.44:
	s_cmp_lt_i32 s9, 24
	s_mov_b64 s[2:3], -1
	s_cbranch_scc1 .LBB9_64
; %bb.45:
	s_cmp_gt_i32 s9, 24
	s_cbranch_scc0 .LBB9_53
; %bb.46:
	v_cvt_f32_f64_e32 v2, v[0:1]
	v_and_b32_e32 v3, 0x7fffffff, v2
	s_mov_b32 s2, 0x47800000
	v_cmp_gt_u32_e32 vcc, s2, v3
	v_mov_b32_e32 v6, 0x80
	s_and_saveexec_b64 s[2:3], vcc
	s_cbranch_execz .LBB9_52
; %bb.47:
	s_mov_b32 s4, 0x37ffffff
	v_cmp_lt_u32_e32 vcc, s4, v3
	s_mov_b64 s[4:5], 0
                                        ; implicit-def: $vgpr3
	s_and_saveexec_b64 s[6:7], vcc
	s_xor_b64 s[6:7], exec, s[6:7]
	s_cbranch_execz .LBB9_144
; %bb.48:
	v_bfe_u32 v3, v2, 21, 1
	s_mov_b32 s10, 0x88fffff
	v_add3_u32 v3, v2, v3, s10
	s_mov_b64 s[4:5], exec
	v_lshrrev_b32_e32 v3, 21, v3
	s_andn2_saveexec_b64 s[6:7], s[6:7]
	s_cbranch_execnz .LBB9_145
.LBB9_49:
	s_or_b64 exec, exec, s[6:7]
	v_mov_b32_e32 v6, 0
	s_and_saveexec_b64 s[6:7], s[4:5]
.LBB9_50:
	v_lshrrev_b32_e32 v2, 24, v2
	s_movk_i32 s4, 0x80
	v_and_or_b32 v6, v2, s4, v3
.LBB9_51:
	s_or_b64 exec, exec, s[6:7]
.LBB9_52:
	s_or_b64 exec, exec, s[2:3]
	s_mov_b64 s[2:3], 0
	global_store_byte v[4:5], v6, off
.LBB9_53:
	s_and_b64 vcc, exec, s[2:3]
	s_cbranch_vccz .LBB9_63
; %bb.54:
	v_cvt_f32_f64_e32 v2, v[0:1]
	v_and_b32_e32 v6, 0x7fffffff, v2
	s_mov_b32 s2, 0x43f00000
	v_cmp_gt_u32_e32 vcc, s2, v6
                                        ; implicit-def: $vgpr3
	s_and_saveexec_b64 s[2:3], vcc
	s_xor_b64 s[2:3], exec, s[2:3]
	s_cbranch_execz .LBB9_60
; %bb.55:
	s_mov_b32 s4, 0x3c7fffff
	v_cmp_lt_u32_e32 vcc, s4, v6
                                        ; implicit-def: $vgpr3
	s_and_saveexec_b64 s[4:5], vcc
	s_xor_b64 s[4:5], exec, s[4:5]
; %bb.56:
	v_bfe_u32 v3, v2, 20, 1
	s_mov_b32 s6, 0x407ffff
	v_add3_u32 v3, v2, v3, s6
	v_lshrrev_b32_e32 v6, 20, v3
	v_and_b32_e32 v3, 0xff00000, v3
	s_mov_b32 s6, 0x7f00000
	v_mov_b32_e32 v7, 0x7e
	v_cmp_ne_u32_e32 vcc, s6, v3
	s_nop 1
	v_cndmask_b32_e32 v3, v7, v6, vcc
; %bb.57:
	s_andn2_saveexec_b64 s[4:5], s[4:5]
; %bb.58:
	s_mov_b32 s6, 0x46800000
	v_add_f32_e64 v3, |v2|, s6
; %bb.59:
	s_or_b64 exec, exec, s[4:5]
                                        ; implicit-def: $vgpr6
.LBB9_60:
	s_andn2_saveexec_b64 s[2:3], s[2:3]
; %bb.61:
	s_mov_b32 s4, 0x7f800000
	v_mov_b32_e32 v3, 0x7e
	v_mov_b32_e32 v7, 0x7f
	v_cmp_lt_u32_e32 vcc, s4, v6
	s_nop 1
	v_cndmask_b32_e32 v3, v3, v7, vcc
; %bb.62:
	s_or_b64 exec, exec, s[2:3]
	v_lshrrev_b32_e32 v2, 24, v2
	s_movk_i32 s2, 0x80
	v_and_or_b32 v2, v2, s2, v3
	global_store_byte v[4:5], v2, off
.LBB9_63:
	s_mov_b64 s[2:3], 0
.LBB9_64:
	s_andn2_b64 vcc, exec, s[2:3]
	s_cbranch_vccnz .LBB9_74
; %bb.65:
	v_cvt_f32_f64_e32 v2, v[0:1]
	v_and_b32_e32 v6, 0x7fffffff, v2
	s_mov_b32 s2, 0x47800000
	v_cmp_gt_u32_e32 vcc, s2, v6
                                        ; implicit-def: $vgpr3
	s_and_saveexec_b64 s[2:3], vcc
	s_xor_b64 s[2:3], exec, s[2:3]
	s_cbranch_execz .LBB9_71
; %bb.66:
	s_mov_b32 s4, 0x387fffff
	v_cmp_lt_u32_e32 vcc, s4, v6
                                        ; implicit-def: $vgpr3
	s_and_saveexec_b64 s[4:5], vcc
	s_xor_b64 s[4:5], exec, s[4:5]
; %bb.67:
	v_bfe_u32 v3, v2, 21, 1
	s_mov_b32 s6, 0x80fffff
	v_add3_u32 v3, v2, v3, s6
	v_lshrrev_b32_e32 v3, 21, v3
; %bb.68:
	s_andn2_saveexec_b64 s[4:5], s[4:5]
; %bb.69:
	s_mov_b32 s6, 0x43000000
	v_add_f32_e64 v3, |v2|, s6
; %bb.70:
	s_or_b64 exec, exec, s[4:5]
                                        ; implicit-def: $vgpr6
.LBB9_71:
	s_andn2_saveexec_b64 s[2:3], s[2:3]
; %bb.72:
	s_mov_b32 s4, 0x7f800000
	v_mov_b32_e32 v3, 0x7c
	v_mov_b32_e32 v7, 0x7f
	v_cmp_lt_u32_e32 vcc, s4, v6
	s_nop 1
	v_cndmask_b32_e32 v3, v3, v7, vcc
; %bb.73:
	s_or_b64 exec, exec, s[2:3]
	v_lshrrev_b32_e32 v2, 24, v2
	s_movk_i32 s2, 0x80
	v_and_or_b32 v2, v2, s2, v3
	global_store_byte v[4:5], v2, off
.LBB9_74:
	s_mov_b64 s[4:5], 0
	s_mov_b64 s[2:3], -1
.LBB9_75:
	s_andn2_b64 vcc, exec, s[4:5]
	s_cbranch_vccnz .LBB9_83
; %bb.76:
	s_cmp_gt_i32 s9, 14
	s_mov_b64 s[4:5], -1
	s_cbranch_scc0 .LBB9_80
; %bb.77:
	s_cmp_eq_u32 s9, 15
	s_mov_b64 s[0:1], -1
	s_cbranch_scc0 .LBB9_79
; %bb.78:
	v_cvt_f32_f64_e32 v2, v[0:1]
	v_bfe_u32 v3, v2, 16, 1
	s_movk_i32 s0, 0x7fff
	v_add3_u32 v3, v2, v3, s0
	v_cmp_o_f32_e32 vcc, v2, v2
	v_mov_b32_e32 v2, 0x7fc0
	s_mov_b64 s[2:3], -1
	v_cndmask_b32_sdwa v2, v2, v3, vcc dst_sel:DWORD dst_unused:UNUSED_PAD src0_sel:DWORD src1_sel:WORD_1
	global_store_short v[4:5], v2, off
	s_mov_b64 s[0:1], 0
.LBB9_79:
	s_mov_b64 s[4:5], 0
.LBB9_80:
	s_and_b64 vcc, exec, s[4:5]
	s_cbranch_vccz .LBB9_83
; %bb.81:
	s_cmp_eq_u32 s9, 11
	s_mov_b64 s[0:1], -1
	s_cbranch_scc0 .LBB9_83
; %bb.82:
	v_cmp_neq_f64_e32 vcc, 0, v[0:1]
	s_mov_b64 s[0:1], 0
	s_mov_b64 s[2:3], -1
	v_cndmask_b32_e64 v2, 0, 1, vcc
	global_store_byte v[4:5], v2, off
.LBB9_83:
	s_branch .LBB9_10
.LBB9_84:
	s_and_b32 s4, 0xffff, s8
	s_cmp_lt_i32 s4, 5
	s_mov_b64 s[2:3], -1
	s_cbranch_scc1 .LBB9_105
; %bb.85:
	s_cmp_lt_i32 s4, 8
	s_cbranch_scc1 .LBB9_95
; %bb.86:
	s_cmp_lt_i32 s4, 9
	s_cbranch_scc1 .LBB9_92
; %bb.87:
	s_cmp_gt_i32 s4, 9
	s_cbranch_scc0 .LBB9_89
; %bb.88:
	v_mov_b32_e32 v2, 0
	v_mov_b32_e32 v3, v2
	global_store_dwordx4 v[4:5], v[0:3], off
	s_mov_b64 s[2:3], 0
.LBB9_89:
	s_andn2_b64 vcc, exec, s[2:3]
	s_cbranch_vccnz .LBB9_91
; %bb.90:
	v_cvt_f32_f64_e32 v2, v[0:1]
	v_mov_b32_e32 v3, 0
	global_store_dwordx2 v[4:5], v[2:3], off
.LBB9_91:
	s_mov_b64 s[2:3], 0
.LBB9_92:
	s_andn2_b64 vcc, exec, s[2:3]
	s_cbranch_vccnz .LBB9_94
; %bb.93:
	s_movk_i32 s2, 0x1ff
	v_and_or_b32 v2, v1, s2, v0
	v_cmp_ne_u32_e32 vcc, 0, v2
	v_lshrrev_b32_e32 v3, 8, v1
	s_movk_i32 s2, 0xffe
	v_cndmask_b32_e64 v2, 0, 1, vcc
	v_bfe_u32 v6, v1, 20, 11
	v_and_or_b32 v2, v3, s2, v2
	v_sub_u32_e32 v7, 0x3f1, v6
	v_or_b32_e32 v3, 0x1000, v2
	v_med3_i32 v7, v7, 0, 13
	v_lshrrev_b32_e32 v8, v7, v3
	v_lshlrev_b32_e32 v7, v7, v8
	v_cmp_ne_u32_e32 vcc, v7, v3
	v_add_u32_e32 v6, 0xfffffc10, v6
	v_lshl_or_b32 v7, v6, 12, v2
	v_cndmask_b32_e64 v3, 0, 1, vcc
	v_or_b32_e32 v3, v8, v3
	v_cmp_gt_i32_e32 vcc, 1, v6
	s_movk_i32 s2, 0x40f
	s_nop 0
	v_cndmask_b32_e32 v3, v7, v3, vcc
	v_and_b32_e32 v7, 7, v3
	v_cmp_lt_i32_e32 vcc, 5, v7
	v_lshrrev_b32_e32 v3, 2, v3
	s_nop 0
	v_cndmask_b32_e64 v8, 0, 1, vcc
	v_cmp_eq_u32_e32 vcc, 3, v7
	s_nop 1
	v_cndmask_b32_e64 v7, 0, 1, vcc
	v_or_b32_e32 v7, v7, v8
	v_add_u32_e32 v3, v3, v7
	v_mov_b32_e32 v7, 0x7c00
	v_cmp_gt_i32_e32 vcc, 31, v6
	v_mov_b32_e32 v8, 0x7e00
	s_nop 0
	v_cndmask_b32_e32 v3, v7, v3, vcc
	v_cmp_ne_u32_e32 vcc, 0, v2
	s_nop 1
	v_cndmask_b32_e32 v2, v7, v8, vcc
	v_cmp_eq_u32_e32 vcc, s2, v6
	s_mov_b32 s2, 0x8000
	s_nop 0
	v_cndmask_b32_e32 v2, v3, v2, vcc
	v_and_b32_sdwa v3, v1, s2 dst_sel:DWORD dst_unused:UNUSED_PAD src0_sel:WORD_1 src1_sel:DWORD
	s_mov_b32 s2, 0xffff
	v_bitop3_b32 v2, v3, s2, v2 bitop3:0xc8
	global_store_dword v[4:5], v2, off
.LBB9_94:
	s_mov_b64 s[2:3], 0
.LBB9_95:
	s_andn2_b64 vcc, exec, s[2:3]
	s_cbranch_vccnz .LBB9_104
; %bb.96:
	s_cmp_lt_i32 s4, 6
	s_mov_b64 s[2:3], -1
	s_cbranch_scc1 .LBB9_102
; %bb.97:
	s_cmp_gt_i32 s4, 6
	s_cbranch_scc0 .LBB9_99
; %bb.98:
	global_store_dwordx2 v[4:5], v[0:1], off
	s_mov_b64 s[2:3], 0
.LBB9_99:
	s_andn2_b64 vcc, exec, s[2:3]
	s_cbranch_vccnz .LBB9_101
; %bb.100:
	v_cvt_f32_f64_e32 v2, v[0:1]
	global_store_dword v[4:5], v2, off
.LBB9_101:
	s_mov_b64 s[2:3], 0
.LBB9_102:
	s_andn2_b64 vcc, exec, s[2:3]
	s_cbranch_vccnz .LBB9_104
; %bb.103:
	s_movk_i32 s2, 0x1ff
	v_and_or_b32 v2, v1, s2, v0
	v_cmp_ne_u32_e32 vcc, 0, v2
	v_lshrrev_b32_e32 v3, 8, v1
	s_movk_i32 s2, 0xffe
	v_cndmask_b32_e64 v2, 0, 1, vcc
	v_bfe_u32 v6, v1, 20, 11
	v_and_or_b32 v2, v3, s2, v2
	v_sub_u32_e32 v7, 0x3f1, v6
	v_or_b32_e32 v3, 0x1000, v2
	v_med3_i32 v7, v7, 0, 13
	v_lshrrev_b32_e32 v8, v7, v3
	v_lshlrev_b32_e32 v7, v7, v8
	v_cmp_ne_u32_e32 vcc, v7, v3
	v_add_u32_e32 v6, 0xfffffc10, v6
	v_lshl_or_b32 v7, v6, 12, v2
	v_cndmask_b32_e64 v3, 0, 1, vcc
	v_or_b32_e32 v3, v8, v3
	v_cmp_gt_i32_e32 vcc, 1, v6
	s_movk_i32 s2, 0x40f
	s_nop 0
	v_cndmask_b32_e32 v3, v7, v3, vcc
	v_and_b32_e32 v7, 7, v3
	v_cmp_lt_i32_e32 vcc, 5, v7
	v_lshrrev_b32_e32 v3, 2, v3
	s_nop 0
	v_cndmask_b32_e64 v8, 0, 1, vcc
	v_cmp_eq_u32_e32 vcc, 3, v7
	s_nop 1
	v_cndmask_b32_e64 v7, 0, 1, vcc
	v_or_b32_e32 v7, v7, v8
	v_add_u32_e32 v3, v3, v7
	v_mov_b32_e32 v7, 0x7c00
	v_cmp_gt_i32_e32 vcc, 31, v6
	v_mov_b32_e32 v8, 0x7e00
	s_nop 0
	v_cndmask_b32_e32 v3, v7, v3, vcc
	v_cmp_ne_u32_e32 vcc, 0, v2
	s_nop 1
	v_cndmask_b32_e32 v2, v7, v8, vcc
	v_cmp_eq_u32_e32 vcc, s2, v6
	s_mov_b32 s2, 0x8000
	s_nop 0
	v_cndmask_b32_e32 v2, v3, v2, vcc
	v_lshrrev_b32_e32 v3, 16, v1
	v_and_or_b32 v2, v3, s2, v2
	global_store_short v[4:5], v2, off
.LBB9_104:
	s_mov_b64 s[2:3], 0
.LBB9_105:
	s_andn2_b64 vcc, exec, s[2:3]
	s_cbranch_vccnz .LBB9_121
; %bb.106:
	s_cmp_lt_i32 s4, 2
	s_mov_b64 s[2:3], -1
	s_cbranch_scc1 .LBB9_116
; %bb.107:
	s_cmp_lt_i32 s4, 3
	s_cbranch_scc1 .LBB9_113
; %bb.108:
	s_cmp_gt_i32 s4, 3
	s_cbranch_scc0 .LBB9_110
; %bb.109:
	v_trunc_f64_e32 v[2:3], v[0:1]
	s_movk_i32 s2, 0xffe0
	v_ldexp_f64 v[6:7], v[2:3], s2
	v_floor_f64_e32 v[6:7], v[6:7]
	v_fmac_f64_e32 v[2:3], 0xc1f00000, v[6:7]
	v_cvt_i32_f64_e32 v9, v[6:7]
	v_cvt_u32_f64_e32 v8, v[2:3]
	global_store_dwordx2 v[4:5], v[8:9], off
	s_mov_b64 s[2:3], 0
.LBB9_110:
	s_andn2_b64 vcc, exec, s[2:3]
	s_cbranch_vccnz .LBB9_112
; %bb.111:
	v_cvt_i32_f64_e32 v2, v[0:1]
	global_store_dword v[4:5], v2, off
.LBB9_112:
	s_mov_b64 s[2:3], 0
.LBB9_113:
	s_andn2_b64 vcc, exec, s[2:3]
	s_cbranch_vccnz .LBB9_115
; %bb.114:
	v_cvt_i32_f64_e32 v2, v[0:1]
	global_store_short v[4:5], v2, off
.LBB9_115:
	s_mov_b64 s[2:3], 0
.LBB9_116:
	s_andn2_b64 vcc, exec, s[2:3]
	s_cbranch_vccnz .LBB9_121
; %bb.117:
	s_cmp_gt_i32 s4, 0
	s_mov_b64 s[2:3], -1
	s_cbranch_scc0 .LBB9_119
; %bb.118:
	v_cvt_i32_f64_e32 v2, v[0:1]
	global_store_byte v[4:5], v2, off
	s_mov_b64 s[2:3], 0
.LBB9_119:
	s_andn2_b64 vcc, exec, s[2:3]
	s_cbranch_vccnz .LBB9_121
; %bb.120:
	v_trunc_f64_e32 v[0:1], v[0:1]
	s_movk_i32 s2, 0xffe0
	v_ldexp_f64 v[2:3], v[0:1], s2
	v_floor_f64_e32 v[2:3], v[2:3]
	v_fmac_f64_e32 v[0:1], 0xc1f00000, v[2:3]
	v_cvt_u32_f64_e32 v0, v[0:1]
	global_store_byte v[4:5], v0, off
.LBB9_121:
	s_branch .LBB9_11
.LBB9_122:
	s_mov_b64 s[2:3], 0
                                        ; implicit-def: $vgpr42
.LBB9_123:
	s_and_b64 s[50:51], s[0:1], exec
	s_orn2_b64 s[0:1], s[2:3], exec
.LBB9_124:
	s_or_b64 exec, exec, s[52:53]
	s_mov_b64 s[2:3], 0
                                        ; implicit-def: $sgpr10
                                        ; implicit-def: $vgpr4_vgpr5
                                        ; implicit-def: $vgpr0_vgpr1
	s_and_saveexec_b64 s[52:53], s[0:1]
	s_cbranch_execz .LBB9_133
; %bb.125:
	v_cmp_gt_i32_e32 vcc, s62, v42
	s_mov_b64 s[4:5], -1
	s_mov_b64 s[54:55], s[50:51]
	s_and_saveexec_b64 s[56:57], vcc
	s_cbranch_execz .LBB9_256
; %bb.126:
	s_getpc_b64 s[0:1]
	s_add_u32 s0, s0, _ZN2at6native6invokeIZZZNS0_12_GLOBAL__N_119airy_ai_kernel_cudaERNS_18TensorIteratorBaseEENKUlvE_clEvENKUlvE_clEvEUldE_i15function_traitsIS7_EEENT1_11result_typeERKT_PrKPcPKT0_PKN3c1010ScalarTypeEi@rel32@lo+4
	s_addc_u32 s1, s1, _ZN2at6native6invokeIZZZNS0_12_GLOBAL__N_119airy_ai_kernel_cudaERNS_18TensorIteratorBaseEENKUlvE_clEvENKUlvE_clEvEUldE_i15function_traitsIS7_EEENT1_11result_typeERKT_PrKPcPKT0_PKN3c1010ScalarTypeEi@rel32@hi+12
	v_mov_b32_e32 v0, s38
	v_mov_b32_e32 v1, s39
	;; [unrolled: 1-line block ×5, first 2 shown]
	s_swappc_b64 s[30:31], s[0:1]
	v_mul_lo_u32 v2, v42, s34
	v_ashrrev_i32_e32 v3, 31, v2
	s_and_b32 s8, s33, 0xff
	s_cmp_lt_i32 s8, 11
	v_lshl_add_u64 v[4:5], s[36:37], 0, v[2:3]
	s_cbranch_scc1 .LBB9_136
; %bb.127:
	s_and_b32 s9, 0xffff, s8
	s_cmp_gt_i32 s9, 25
	s_cbranch_scc0 .LBB9_139
; %bb.128:
	s_cmp_gt_i32 s9, 28
	s_cbranch_scc0 .LBB9_140
; %bb.129:
	;; [unrolled: 3-line block ×4, first 2 shown]
	s_mov_b64 s[4:5], 0
	s_mov_b64 s[0:1], -1
	s_cmp_eq_u32 s9, 46
	s_mov_b64 s[2:3], 0
	s_cbranch_scc0 .LBB9_147
; %bb.132:
	v_cvt_f32_f64_e32 v2, v[0:1]
	v_bfe_u32 v3, v2, 16, 1
	s_movk_i32 s0, 0x7fff
	v_add3_u32 v3, v2, v3, s0
	v_cmp_o_f32_e32 vcc, v2, v2
	v_mov_b32_e32 v2, 0x7fc0
	s_mov_b64 s[2:3], -1
	v_cndmask_b32_sdwa v2, v2, v3, vcc dst_sel:DWORD dst_unused:UNUSED_PAD src0_sel:DWORD src1_sel:WORD_1
	global_store_dword v[4:5], v2, off
	s_mov_b64 s[0:1], 0
	s_branch .LBB9_147
.LBB9_133:
	s_or_b64 exec, exec, s[52:53]
	s_mov_b64 s[0:1], 0
	s_and_saveexec_b64 s[4:5], s[50:51]
	s_cbranch_execnz .LBB9_468
.LBB9_134:
	s_or_b64 exec, exec, s[4:5]
	s_and_saveexec_b64 s[4:5], s[56:57]
	s_xor_b64 s[4:5], exec, s[4:5]
	s_cbranch_execz .LBB9_469
.LBB9_135:
	v_cmp_neq_f64_e32 vcc, 0, v[0:1]
	s_nop 1
	v_cndmask_b32_e64 v2, 0, 1, vcc
	global_store_byte v[4:5], v2, off
	s_or_b64 exec, exec, s[4:5]
	s_and_saveexec_b64 s[4:5], s[2:3]
	s_xor_b64 s[2:3], exec, s[4:5]
	s_cbranch_execz .LBB9_507
	s_branch .LBB9_470
.LBB9_136:
	s_mov_b64 s[2:3], 0
	s_mov_b64 s[0:1], s[50:51]
	s_cbranch_execnz .LBB9_216
.LBB9_137:
	s_andn2_b64 vcc, exec, s[2:3]
	s_cbranch_vccnz .LBB9_254
.LBB9_138:
	v_add_u32_e32 v42, 0x80, v42
	s_mov_b64 s[2:3], -1
	s_branch .LBB9_255
.LBB9_139:
	s_mov_b64 s[4:5], -1
	s_mov_b64 s[2:3], 0
	s_mov_b64 s[0:1], s[50:51]
	s_branch .LBB9_174
.LBB9_140:
	s_mov_b64 s[4:5], -1
	s_mov_b64 s[2:3], 0
	s_mov_b64 s[0:1], s[50:51]
	s_branch .LBB9_157
.LBB9_141:
	s_andn2_saveexec_b64 s[6:7], s[6:7]
	s_cbranch_execz .LBB9_37
.LBB9_142:
	s_mov_b32 s10, 0x46000000
	v_add_f32_e64 v3, |v2|, s10
	v_and_b32_e32 v3, 0xff, v3
	v_cmp_ne_u32_e32 vcc, 0, v3
	s_andn2_b64 s[4:5], s[4:5], exec
	s_and_b64 s[10:11], vcc, exec
	s_or_b64 s[4:5], s[4:5], s[10:11]
	s_or_b64 exec, exec, s[6:7]
	v_mov_b32_e32 v6, 0
	s_and_saveexec_b64 s[6:7], s[4:5]
	s_cbranch_execnz .LBB9_38
	s_branch .LBB9_39
.LBB9_143:
	s_mov_b64 s[4:5], -1
	s_mov_b64 s[2:3], 0
	s_mov_b64 s[0:1], s[50:51]
	s_branch .LBB9_153
.LBB9_144:
	s_andn2_saveexec_b64 s[6:7], s[6:7]
	s_cbranch_execz .LBB9_49
.LBB9_145:
	s_mov_b32 s10, 0x42800000
	v_add_f32_e64 v3, |v2|, s10
	v_and_b32_e32 v3, 0xff, v3
	v_cmp_ne_u32_e32 vcc, 0, v3
	s_andn2_b64 s[4:5], s[4:5], exec
	s_and_b64 s[10:11], vcc, exec
	s_or_b64 s[4:5], s[4:5], s[10:11]
	s_or_b64 exec, exec, s[6:7]
	v_mov_b32_e32 v6, 0
	s_and_saveexec_b64 s[6:7], s[4:5]
	s_cbranch_execnz .LBB9_50
	s_branch .LBB9_51
.LBB9_146:
	s_mov_b64 s[4:5], -1
	s_mov_b64 s[2:3], 0
	s_mov_b64 s[0:1], s[50:51]
.LBB9_147:
	s_and_b64 vcc, exec, s[4:5]
	s_cbranch_vccz .LBB9_152
; %bb.148:
	s_cmp_eq_u32 s9, 44
	s_mov_b64 s[0:1], -1
	s_cbranch_scc0 .LBB9_152
; %bb.149:
	v_cvt_f32_f64_e32 v2, v[0:1]
	v_bfe_u32 v3, v2, 23, 8
	s_movk_i32 s0, 0xff
	v_cmp_ne_u32_e32 vcc, s0, v3
	v_mov_b32_e32 v6, 0xff
	s_and_saveexec_b64 s[2:3], vcc
; %bb.150:
	s_mov_b32 s0, 0x3fffff
	v_lshrrev_b32_e32 v6, 23, v2
	v_and_b32_e32 v7, 0x400000, v2
	v_and_or_b32 v2, v2, s0, v3
	v_cmp_ne_u32_e32 vcc, 0, v7
	v_cmp_ne_u32_e64 s[0:1], 0, v2
	s_and_b64 s[0:1], vcc, s[0:1]
	s_nop 0
	v_cndmask_b32_e64 v2, 0, 1, s[0:1]
	v_add_u32_e32 v6, v6, v2
; %bb.151:
	s_or_b64 exec, exec, s[2:3]
	s_mov_b64 s[2:3], -1
	s_mov_b64 s[0:1], 0
	global_store_byte v[4:5], v6, off
.LBB9_152:
	s_mov_b64 s[4:5], 0
.LBB9_153:
	s_and_b64 vcc, exec, s[4:5]
	s_cbranch_vccz .LBB9_156
; %bb.154:
	s_cmp_eq_u32 s9, 29
	s_mov_b64 s[0:1], -1
	s_cbranch_scc0 .LBB9_156
; %bb.155:
	v_trunc_f64_e32 v[2:3], v[0:1]
	s_movk_i32 s0, 0xffe0
	v_ldexp_f64 v[6:7], v[2:3], s0
	v_floor_f64_e32 v[6:7], v[6:7]
	v_fmac_f64_e32 v[2:3], 0xc1f00000, v[6:7]
	v_cvt_u32_f64_e32 v9, v[6:7]
	v_cvt_u32_f64_e32 v8, v[2:3]
	global_store_dwordx2 v[4:5], v[8:9], off
	s_mov_b64 s[2:3], -1
	s_mov_b64 s[0:1], 0
.LBB9_156:
	s_mov_b64 s[4:5], 0
.LBB9_157:
	s_and_b64 vcc, exec, s[4:5]
	s_cbranch_vccz .LBB9_173
; %bb.158:
	s_cmp_lt_i32 s9, 27
	s_mov_b64 s[2:3], -1
	s_cbranch_scc1 .LBB9_164
; %bb.159:
	s_cmp_gt_i32 s9, 27
	v_cvt_u32_f64_e32 v2, v[0:1]
	s_cbranch_scc0 .LBB9_161
; %bb.160:
	s_mov_b64 s[2:3], 0
	global_store_dword v[4:5], v2, off
.LBB9_161:
	s_andn2_b64 vcc, exec, s[2:3]
	s_cbranch_vccnz .LBB9_163
; %bb.162:
	global_store_short v[4:5], v2, off
.LBB9_163:
	s_mov_b64 s[2:3], 0
.LBB9_164:
	s_andn2_b64 vcc, exec, s[2:3]
	s_cbranch_vccnz .LBB9_172
; %bb.165:
	v_cvt_f32_f64_e32 v2, v[0:1]
	v_and_b32_e32 v3, 0x7fffffff, v2
	s_mov_b32 s2, 0x43800000
	v_cmp_gt_u32_e32 vcc, s2, v3
	v_mov_b32_e32 v6, 0x80
	s_and_saveexec_b64 s[2:3], vcc
	s_cbranch_execz .LBB9_171
; %bb.166:
	s_mov_b32 s4, 0x3bffffff
	v_cmp_lt_u32_e32 vcc, s4, v3
	s_mov_b64 s[4:5], 0
                                        ; implicit-def: $vgpr3
	s_and_saveexec_b64 s[6:7], vcc
	s_xor_b64 s[6:7], exec, s[6:7]
	s_cbranch_execz .LBB9_268
; %bb.167:
	v_bfe_u32 v3, v2, 20, 1
	s_mov_b32 s10, 0x487ffff
	v_add3_u32 v3, v2, v3, s10
	s_mov_b64 s[4:5], exec
	v_lshrrev_b32_e32 v3, 20, v3
	s_andn2_saveexec_b64 s[6:7], s[6:7]
	s_cbranch_execnz .LBB9_269
.LBB9_168:
	s_or_b64 exec, exec, s[6:7]
	v_mov_b32_e32 v6, 0
	s_and_saveexec_b64 s[6:7], s[4:5]
.LBB9_169:
	v_lshrrev_b32_e32 v2, 24, v2
	s_movk_i32 s4, 0x80
	v_and_or_b32 v6, v2, s4, v3
.LBB9_170:
	s_or_b64 exec, exec, s[6:7]
.LBB9_171:
	s_or_b64 exec, exec, s[2:3]
	global_store_byte v[4:5], v6, off
.LBB9_172:
	s_mov_b64 s[2:3], -1
.LBB9_173:
	s_mov_b64 s[4:5], 0
.LBB9_174:
	s_and_b64 vcc, exec, s[4:5]
	s_cbranch_vccz .LBB9_215
; %bb.175:
	s_cmp_gt_i32 s9, 22
	s_mov_b64 s[4:5], -1
	s_cbranch_scc0 .LBB9_207
; %bb.176:
	s_cmp_lt_i32 s9, 24
	s_mov_b64 s[2:3], -1
	s_cbranch_scc1 .LBB9_196
; %bb.177:
	s_cmp_gt_i32 s9, 24
	s_cbranch_scc0 .LBB9_185
; %bb.178:
	v_cvt_f32_f64_e32 v2, v[0:1]
	v_and_b32_e32 v3, 0x7fffffff, v2
	s_mov_b32 s2, 0x47800000
	v_cmp_gt_u32_e32 vcc, s2, v3
	v_mov_b32_e32 v6, 0x80
	s_and_saveexec_b64 s[2:3], vcc
	s_cbranch_execz .LBB9_184
; %bb.179:
	s_mov_b32 s4, 0x37ffffff
	v_cmp_lt_u32_e32 vcc, s4, v3
	s_mov_b64 s[4:5], 0
                                        ; implicit-def: $vgpr3
	s_and_saveexec_b64 s[6:7], vcc
	s_xor_b64 s[6:7], exec, s[6:7]
	s_cbranch_execz .LBB9_271
; %bb.180:
	v_bfe_u32 v3, v2, 21, 1
	s_mov_b32 s10, 0x88fffff
	v_add3_u32 v3, v2, v3, s10
	s_mov_b64 s[4:5], exec
	v_lshrrev_b32_e32 v3, 21, v3
	s_andn2_saveexec_b64 s[6:7], s[6:7]
	s_cbranch_execnz .LBB9_272
.LBB9_181:
	s_or_b64 exec, exec, s[6:7]
	v_mov_b32_e32 v6, 0
	s_and_saveexec_b64 s[6:7], s[4:5]
.LBB9_182:
	v_lshrrev_b32_e32 v2, 24, v2
	s_movk_i32 s4, 0x80
	v_and_or_b32 v6, v2, s4, v3
.LBB9_183:
	s_or_b64 exec, exec, s[6:7]
.LBB9_184:
	s_or_b64 exec, exec, s[2:3]
	s_mov_b64 s[2:3], 0
	global_store_byte v[4:5], v6, off
.LBB9_185:
	s_and_b64 vcc, exec, s[2:3]
	s_cbranch_vccz .LBB9_195
; %bb.186:
	v_cvt_f32_f64_e32 v2, v[0:1]
	v_and_b32_e32 v6, 0x7fffffff, v2
	s_mov_b32 s2, 0x43f00000
	v_cmp_gt_u32_e32 vcc, s2, v6
                                        ; implicit-def: $vgpr3
	s_and_saveexec_b64 s[2:3], vcc
	s_xor_b64 s[2:3], exec, s[2:3]
	s_cbranch_execz .LBB9_192
; %bb.187:
	s_mov_b32 s4, 0x3c7fffff
	v_cmp_lt_u32_e32 vcc, s4, v6
                                        ; implicit-def: $vgpr3
	s_and_saveexec_b64 s[4:5], vcc
	s_xor_b64 s[4:5], exec, s[4:5]
; %bb.188:
	v_bfe_u32 v3, v2, 20, 1
	s_mov_b32 s6, 0x407ffff
	v_add3_u32 v3, v2, v3, s6
	v_lshrrev_b32_e32 v6, 20, v3
	v_and_b32_e32 v3, 0xff00000, v3
	s_mov_b32 s6, 0x7f00000
	v_mov_b32_e32 v7, 0x7e
	v_cmp_ne_u32_e32 vcc, s6, v3
	s_nop 1
	v_cndmask_b32_e32 v3, v7, v6, vcc
; %bb.189:
	s_andn2_saveexec_b64 s[4:5], s[4:5]
; %bb.190:
	s_mov_b32 s6, 0x46800000
	v_add_f32_e64 v3, |v2|, s6
; %bb.191:
	s_or_b64 exec, exec, s[4:5]
                                        ; implicit-def: $vgpr6
.LBB9_192:
	s_andn2_saveexec_b64 s[2:3], s[2:3]
; %bb.193:
	s_mov_b32 s4, 0x7f800000
	v_mov_b32_e32 v3, 0x7e
	v_mov_b32_e32 v7, 0x7f
	v_cmp_lt_u32_e32 vcc, s4, v6
	s_nop 1
	v_cndmask_b32_e32 v3, v3, v7, vcc
; %bb.194:
	s_or_b64 exec, exec, s[2:3]
	v_lshrrev_b32_e32 v2, 24, v2
	s_movk_i32 s2, 0x80
	v_and_or_b32 v2, v2, s2, v3
	global_store_byte v[4:5], v2, off
.LBB9_195:
	s_mov_b64 s[2:3], 0
.LBB9_196:
	s_andn2_b64 vcc, exec, s[2:3]
	s_cbranch_vccnz .LBB9_206
; %bb.197:
	v_cvt_f32_f64_e32 v2, v[0:1]
	v_and_b32_e32 v6, 0x7fffffff, v2
	s_mov_b32 s2, 0x47800000
	v_cmp_gt_u32_e32 vcc, s2, v6
                                        ; implicit-def: $vgpr3
	s_and_saveexec_b64 s[2:3], vcc
	s_xor_b64 s[2:3], exec, s[2:3]
	s_cbranch_execz .LBB9_203
; %bb.198:
	s_mov_b32 s4, 0x387fffff
	v_cmp_lt_u32_e32 vcc, s4, v6
                                        ; implicit-def: $vgpr3
	s_and_saveexec_b64 s[4:5], vcc
	s_xor_b64 s[4:5], exec, s[4:5]
; %bb.199:
	v_bfe_u32 v3, v2, 21, 1
	s_mov_b32 s6, 0x80fffff
	v_add3_u32 v3, v2, v3, s6
	v_lshrrev_b32_e32 v3, 21, v3
; %bb.200:
	s_andn2_saveexec_b64 s[4:5], s[4:5]
; %bb.201:
	s_mov_b32 s6, 0x43000000
	v_add_f32_e64 v3, |v2|, s6
; %bb.202:
	s_or_b64 exec, exec, s[4:5]
                                        ; implicit-def: $vgpr6
.LBB9_203:
	s_andn2_saveexec_b64 s[2:3], s[2:3]
; %bb.204:
	s_mov_b32 s4, 0x7f800000
	v_mov_b32_e32 v3, 0x7c
	v_mov_b32_e32 v7, 0x7f
	v_cmp_lt_u32_e32 vcc, s4, v6
	s_nop 1
	v_cndmask_b32_e32 v3, v3, v7, vcc
; %bb.205:
	s_or_b64 exec, exec, s[2:3]
	v_lshrrev_b32_e32 v2, 24, v2
	s_movk_i32 s2, 0x80
	v_and_or_b32 v2, v2, s2, v3
	global_store_byte v[4:5], v2, off
.LBB9_206:
	s_mov_b64 s[4:5], 0
	s_mov_b64 s[2:3], -1
.LBB9_207:
	s_andn2_b64 vcc, exec, s[4:5]
	s_cbranch_vccnz .LBB9_215
; %bb.208:
	s_cmp_gt_i32 s9, 14
	s_mov_b64 s[4:5], -1
	s_cbranch_scc0 .LBB9_212
; %bb.209:
	s_cmp_eq_u32 s9, 15
	s_mov_b64 s[0:1], -1
	s_cbranch_scc0 .LBB9_211
; %bb.210:
	v_cvt_f32_f64_e32 v2, v[0:1]
	v_bfe_u32 v3, v2, 16, 1
	s_movk_i32 s0, 0x7fff
	v_add3_u32 v3, v2, v3, s0
	v_cmp_o_f32_e32 vcc, v2, v2
	v_mov_b32_e32 v2, 0x7fc0
	s_mov_b64 s[2:3], -1
	v_cndmask_b32_sdwa v2, v2, v3, vcc dst_sel:DWORD dst_unused:UNUSED_PAD src0_sel:DWORD src1_sel:WORD_1
	global_store_short v[4:5], v2, off
	s_mov_b64 s[0:1], 0
.LBB9_211:
	s_mov_b64 s[4:5], 0
.LBB9_212:
	s_and_b64 vcc, exec, s[4:5]
	s_cbranch_vccz .LBB9_215
; %bb.213:
	s_cmp_eq_u32 s9, 11
	s_mov_b64 s[0:1], -1
	s_cbranch_scc0 .LBB9_215
; %bb.214:
	v_cmp_neq_f64_e32 vcc, 0, v[0:1]
	s_mov_b64 s[0:1], 0
	s_mov_b64 s[2:3], -1
	v_cndmask_b32_e64 v2, 0, 1, vcc
	global_store_byte v[4:5], v2, off
.LBB9_215:
	s_branch .LBB9_137
.LBB9_216:
	s_and_b32 s4, 0xffff, s8
	s_cmp_lt_i32 s4, 5
	s_mov_b64 s[2:3], -1
	s_cbranch_scc1 .LBB9_237
; %bb.217:
	s_cmp_lt_i32 s4, 8
	s_cbranch_scc1 .LBB9_227
; %bb.218:
	s_cmp_lt_i32 s4, 9
	s_cbranch_scc1 .LBB9_224
; %bb.219:
	s_cmp_gt_i32 s4, 9
	s_cbranch_scc0 .LBB9_221
; %bb.220:
	v_mov_b32_e32 v2, 0
	v_mov_b32_e32 v3, v2
	s_mov_b64 s[2:3], 0
	global_store_dwordx4 v[4:5], v[0:3], off
.LBB9_221:
	s_andn2_b64 vcc, exec, s[2:3]
	s_cbranch_vccnz .LBB9_223
; %bb.222:
	v_cvt_f32_f64_e32 v2, v[0:1]
	v_mov_b32_e32 v3, 0
	global_store_dwordx2 v[4:5], v[2:3], off
.LBB9_223:
	s_mov_b64 s[2:3], 0
.LBB9_224:
	s_andn2_b64 vcc, exec, s[2:3]
	s_cbranch_vccnz .LBB9_226
; %bb.225:
	s_movk_i32 s2, 0x1ff
	v_and_or_b32 v2, v1, s2, v0
	v_cmp_ne_u32_e32 vcc, 0, v2
	v_lshrrev_b32_e32 v3, 8, v1
	s_movk_i32 s2, 0xffe
	v_cndmask_b32_e64 v2, 0, 1, vcc
	v_bfe_u32 v6, v1, 20, 11
	v_and_or_b32 v2, v3, s2, v2
	v_sub_u32_e32 v7, 0x3f1, v6
	v_or_b32_e32 v3, 0x1000, v2
	v_med3_i32 v7, v7, 0, 13
	v_lshrrev_b32_e32 v8, v7, v3
	v_lshlrev_b32_e32 v7, v7, v8
	v_cmp_ne_u32_e32 vcc, v7, v3
	v_add_u32_e32 v6, 0xfffffc10, v6
	v_lshl_or_b32 v7, v6, 12, v2
	v_cndmask_b32_e64 v3, 0, 1, vcc
	v_or_b32_e32 v3, v8, v3
	v_cmp_gt_i32_e32 vcc, 1, v6
	s_movk_i32 s2, 0x40f
	s_nop 0
	v_cndmask_b32_e32 v3, v7, v3, vcc
	v_and_b32_e32 v7, 7, v3
	v_cmp_lt_i32_e32 vcc, 5, v7
	v_lshrrev_b32_e32 v3, 2, v3
	s_nop 0
	v_cndmask_b32_e64 v8, 0, 1, vcc
	v_cmp_eq_u32_e32 vcc, 3, v7
	s_nop 1
	v_cndmask_b32_e64 v7, 0, 1, vcc
	v_or_b32_e32 v7, v7, v8
	v_add_u32_e32 v3, v3, v7
	v_mov_b32_e32 v7, 0x7c00
	v_cmp_gt_i32_e32 vcc, 31, v6
	v_mov_b32_e32 v8, 0x7e00
	s_nop 0
	v_cndmask_b32_e32 v3, v7, v3, vcc
	v_cmp_ne_u32_e32 vcc, 0, v2
	s_nop 1
	v_cndmask_b32_e32 v2, v7, v8, vcc
	v_cmp_eq_u32_e32 vcc, s2, v6
	s_mov_b32 s2, 0x8000
	s_nop 0
	v_cndmask_b32_e32 v2, v3, v2, vcc
	v_and_b32_sdwa v3, v1, s2 dst_sel:DWORD dst_unused:UNUSED_PAD src0_sel:WORD_1 src1_sel:DWORD
	s_mov_b32 s2, 0xffff
	v_bitop3_b32 v2, v3, s2, v2 bitop3:0xc8
	global_store_dword v[4:5], v2, off
.LBB9_226:
	s_mov_b64 s[2:3], 0
.LBB9_227:
	s_andn2_b64 vcc, exec, s[2:3]
	s_cbranch_vccnz .LBB9_236
; %bb.228:
	s_cmp_lt_i32 s4, 6
	s_mov_b64 s[2:3], -1
	s_cbranch_scc1 .LBB9_234
; %bb.229:
	s_cmp_gt_i32 s4, 6
	s_cbranch_scc0 .LBB9_231
; %bb.230:
	s_mov_b64 s[2:3], 0
	global_store_dwordx2 v[4:5], v[0:1], off
.LBB9_231:
	s_andn2_b64 vcc, exec, s[2:3]
	s_cbranch_vccnz .LBB9_233
; %bb.232:
	v_cvt_f32_f64_e32 v2, v[0:1]
	global_store_dword v[4:5], v2, off
.LBB9_233:
	s_mov_b64 s[2:3], 0
.LBB9_234:
	s_andn2_b64 vcc, exec, s[2:3]
	s_cbranch_vccnz .LBB9_236
; %bb.235:
	s_movk_i32 s2, 0x1ff
	v_and_or_b32 v2, v1, s2, v0
	v_cmp_ne_u32_e32 vcc, 0, v2
	v_lshrrev_b32_e32 v3, 8, v1
	s_movk_i32 s2, 0xffe
	v_cndmask_b32_e64 v2, 0, 1, vcc
	v_bfe_u32 v6, v1, 20, 11
	v_and_or_b32 v2, v3, s2, v2
	v_sub_u32_e32 v7, 0x3f1, v6
	v_or_b32_e32 v3, 0x1000, v2
	v_med3_i32 v7, v7, 0, 13
	v_lshrrev_b32_e32 v8, v7, v3
	v_lshlrev_b32_e32 v7, v7, v8
	v_cmp_ne_u32_e32 vcc, v7, v3
	v_add_u32_e32 v6, 0xfffffc10, v6
	v_lshl_or_b32 v7, v6, 12, v2
	v_cndmask_b32_e64 v3, 0, 1, vcc
	v_or_b32_e32 v3, v8, v3
	v_cmp_gt_i32_e32 vcc, 1, v6
	s_movk_i32 s2, 0x40f
	s_nop 0
	v_cndmask_b32_e32 v3, v7, v3, vcc
	v_and_b32_e32 v7, 7, v3
	v_cmp_lt_i32_e32 vcc, 5, v7
	v_lshrrev_b32_e32 v3, 2, v3
	s_nop 0
	v_cndmask_b32_e64 v8, 0, 1, vcc
	v_cmp_eq_u32_e32 vcc, 3, v7
	s_nop 1
	v_cndmask_b32_e64 v7, 0, 1, vcc
	v_or_b32_e32 v7, v7, v8
	v_add_u32_e32 v3, v3, v7
	v_mov_b32_e32 v7, 0x7c00
	v_cmp_gt_i32_e32 vcc, 31, v6
	v_mov_b32_e32 v8, 0x7e00
	s_nop 0
	v_cndmask_b32_e32 v3, v7, v3, vcc
	v_cmp_ne_u32_e32 vcc, 0, v2
	s_nop 1
	v_cndmask_b32_e32 v2, v7, v8, vcc
	v_cmp_eq_u32_e32 vcc, s2, v6
	s_mov_b32 s2, 0x8000
	s_nop 0
	v_cndmask_b32_e32 v2, v3, v2, vcc
	v_lshrrev_b32_e32 v3, 16, v1
	v_and_or_b32 v2, v3, s2, v2
	global_store_short v[4:5], v2, off
.LBB9_236:
	s_mov_b64 s[2:3], 0
.LBB9_237:
	s_andn2_b64 vcc, exec, s[2:3]
	s_cbranch_vccnz .LBB9_253
; %bb.238:
	s_cmp_lt_i32 s4, 2
	s_mov_b64 s[2:3], -1
	s_cbranch_scc1 .LBB9_248
; %bb.239:
	s_cmp_lt_i32 s4, 3
	s_cbranch_scc1 .LBB9_245
; %bb.240:
	s_cmp_gt_i32 s4, 3
	s_cbranch_scc0 .LBB9_242
; %bb.241:
	v_trunc_f64_e32 v[2:3], v[0:1]
	s_movk_i32 s2, 0xffe0
	v_ldexp_f64 v[6:7], v[2:3], s2
	v_floor_f64_e32 v[6:7], v[6:7]
	v_fmac_f64_e32 v[2:3], 0xc1f00000, v[6:7]
	v_cvt_i32_f64_e32 v9, v[6:7]
	v_cvt_u32_f64_e32 v8, v[2:3]
	s_mov_b64 s[2:3], 0
	global_store_dwordx2 v[4:5], v[8:9], off
.LBB9_242:
	s_andn2_b64 vcc, exec, s[2:3]
	s_cbranch_vccnz .LBB9_244
; %bb.243:
	v_cvt_i32_f64_e32 v2, v[0:1]
	global_store_dword v[4:5], v2, off
.LBB9_244:
	s_mov_b64 s[2:3], 0
.LBB9_245:
	s_andn2_b64 vcc, exec, s[2:3]
	s_cbranch_vccnz .LBB9_247
; %bb.246:
	v_cvt_i32_f64_e32 v2, v[0:1]
	global_store_short v[4:5], v2, off
.LBB9_247:
	s_mov_b64 s[2:3], 0
.LBB9_248:
	s_andn2_b64 vcc, exec, s[2:3]
	s_cbranch_vccnz .LBB9_253
; %bb.249:
	s_cmp_gt_i32 s4, 0
	s_mov_b64 s[2:3], -1
	s_cbranch_scc0 .LBB9_251
; %bb.250:
	v_cvt_i32_f64_e32 v2, v[0:1]
	s_mov_b64 s[2:3], 0
	global_store_byte v[4:5], v2, off
.LBB9_251:
	s_andn2_b64 vcc, exec, s[2:3]
	s_cbranch_vccnz .LBB9_253
; %bb.252:
	v_trunc_f64_e32 v[0:1], v[0:1]
	s_movk_i32 s2, 0xffe0
	v_ldexp_f64 v[2:3], v[0:1], s2
	v_floor_f64_e32 v[2:3], v[2:3]
	v_fmac_f64_e32 v[0:1], 0xc1f00000, v[2:3]
	v_cvt_u32_f64_e32 v0, v[0:1]
	global_store_byte v[4:5], v0, off
.LBB9_253:
	s_branch .LBB9_138
.LBB9_254:
	s_mov_b64 s[2:3], 0
                                        ; implicit-def: $vgpr42
.LBB9_255:
	s_andn2_b64 s[4:5], s[50:51], exec
	s_and_b64 s[0:1], s[0:1], exec
	s_or_b64 s[54:55], s[4:5], s[0:1]
	s_orn2_b64 s[4:5], s[2:3], exec
.LBB9_256:
	s_or_b64 exec, exec, s[56:57]
	s_mov_b64 s[0:1], 0
	s_mov_b64 s[2:3], 0
                                        ; implicit-def: $sgpr10
                                        ; implicit-def: $vgpr4_vgpr5
                                        ; implicit-def: $vgpr0_vgpr1
	s_and_saveexec_b64 s[56:57], s[4:5]
	s_cbranch_execz .LBB9_467
; %bb.257:
	v_cmp_gt_i32_e32 vcc, s62, v42
	s_mov_b64 s[2:3], -1
	s_mov_b64 s[60:61], s[54:55]
	s_and_saveexec_b64 s[58:59], vcc
	s_cbranch_execz .LBB9_386
; %bb.258:
	s_getpc_b64 s[0:1]
	s_add_u32 s0, s0, _ZN2at6native6invokeIZZZNS0_12_GLOBAL__N_119airy_ai_kernel_cudaERNS_18TensorIteratorBaseEENKUlvE_clEvENKUlvE_clEvEUldE_i15function_traitsIS7_EEENT1_11result_typeERKT_PrKPcPKT0_PKN3c1010ScalarTypeEi@rel32@lo+4
	s_addc_u32 s1, s1, _ZN2at6native6invokeIZZZNS0_12_GLOBAL__N_119airy_ai_kernel_cudaERNS_18TensorIteratorBaseEENKUlvE_clEvENKUlvE_clEvEUldE_i15function_traitsIS7_EEENT1_11result_typeERKT_PrKPcPKT0_PKN3c1010ScalarTypeEi@rel32@hi+12
	v_mov_b32_e32 v0, s38
	v_mov_b32_e32 v1, s39
	;; [unrolled: 1-line block ×5, first 2 shown]
	s_swappc_b64 s[30:31], s[0:1]
	v_mul_lo_u32 v2, v42, s34
	v_ashrrev_i32_e32 v3, 31, v2
	s_and_b32 s8, s33, 0xff
	s_cmp_lt_i32 s8, 11
	v_lshl_add_u64 v[4:5], s[36:37], 0, v[2:3]
	s_cbranch_scc1 .LBB9_265
; %bb.259:
	s_and_b32 s9, 0xffff, s8
	s_cmp_gt_i32 s9, 25
	s_cbranch_scc0 .LBB9_266
; %bb.260:
	s_cmp_gt_i32 s9, 28
	s_cbranch_scc0 .LBB9_267
; %bb.261:
	s_cmp_gt_i32 s9, 43
	s_cbranch_scc0 .LBB9_270
; %bb.262:
	s_cmp_gt_i32 s9, 45
	s_cbranch_scc0 .LBB9_273
; %bb.263:
	s_mov_b64 s[4:5], 0
	s_mov_b64 s[0:1], -1
	s_cmp_eq_u32 s9, 46
	s_mov_b64 s[2:3], 0
	s_cbranch_scc0 .LBB9_274
; %bb.264:
	v_cvt_f32_f64_e32 v2, v[0:1]
	v_bfe_u32 v3, v2, 16, 1
	s_movk_i32 s0, 0x7fff
	v_add3_u32 v3, v2, v3, s0
	v_cmp_o_f32_e32 vcc, v2, v2
	v_mov_b32_e32 v2, 0x7fc0
	s_mov_b64 s[2:3], -1
	v_cndmask_b32_sdwa v2, v2, v3, vcc dst_sel:DWORD dst_unused:UNUSED_PAD src0_sel:DWORD src1_sel:WORD_1
	global_store_dword v[4:5], v2, off
	s_mov_b64 s[0:1], 0
	s_branch .LBB9_274
.LBB9_265:
	s_mov_b64 s[4:5], -1
	s_mov_b64 s[2:3], 0
	s_mov_b64 s[0:1], s[54:55]
	s_branch .LBB9_343
.LBB9_266:
	s_mov_b64 s[4:5], -1
	s_mov_b64 s[2:3], 0
	s_mov_b64 s[0:1], s[54:55]
	s_branch .LBB9_301
.LBB9_267:
	s_mov_b64 s[4:5], -1
	s_mov_b64 s[2:3], 0
	s_mov_b64 s[0:1], s[54:55]
	s_branch .LBB9_284
.LBB9_268:
	s_andn2_saveexec_b64 s[6:7], s[6:7]
	s_cbranch_execz .LBB9_168
.LBB9_269:
	s_mov_b32 s10, 0x46000000
	v_add_f32_e64 v3, |v2|, s10
	v_and_b32_e32 v3, 0xff, v3
	v_cmp_ne_u32_e32 vcc, 0, v3
	s_andn2_b64 s[4:5], s[4:5], exec
	s_and_b64 s[10:11], vcc, exec
	s_or_b64 s[4:5], s[4:5], s[10:11]
	s_or_b64 exec, exec, s[6:7]
	v_mov_b32_e32 v6, 0
	s_and_saveexec_b64 s[6:7], s[4:5]
	s_cbranch_execnz .LBB9_169
	s_branch .LBB9_170
.LBB9_270:
	s_mov_b64 s[4:5], -1
	s_mov_b64 s[2:3], 0
	s_mov_b64 s[0:1], s[54:55]
	s_branch .LBB9_280
.LBB9_271:
	s_andn2_saveexec_b64 s[6:7], s[6:7]
	s_cbranch_execz .LBB9_181
.LBB9_272:
	s_mov_b32 s10, 0x42800000
	v_add_f32_e64 v3, |v2|, s10
	v_and_b32_e32 v3, 0xff, v3
	v_cmp_ne_u32_e32 vcc, 0, v3
	s_andn2_b64 s[4:5], s[4:5], exec
	s_and_b64 s[10:11], vcc, exec
	s_or_b64 s[4:5], s[4:5], s[10:11]
	s_or_b64 exec, exec, s[6:7]
	v_mov_b32_e32 v6, 0
	s_and_saveexec_b64 s[6:7], s[4:5]
	s_cbranch_execnz .LBB9_182
	s_branch .LBB9_183
.LBB9_273:
	s_mov_b64 s[4:5], -1
	s_mov_b64 s[2:3], 0
	s_mov_b64 s[0:1], s[54:55]
.LBB9_274:
	s_and_b64 vcc, exec, s[4:5]
	s_cbranch_vccz .LBB9_279
; %bb.275:
	s_cmp_eq_u32 s9, 44
	s_mov_b64 s[0:1], -1
	s_cbranch_scc0 .LBB9_279
; %bb.276:
	v_cvt_f32_f64_e32 v2, v[0:1]
	v_bfe_u32 v3, v2, 23, 8
	s_movk_i32 s0, 0xff
	v_cmp_ne_u32_e32 vcc, s0, v3
	v_mov_b32_e32 v6, 0xff
	s_and_saveexec_b64 s[2:3], vcc
; %bb.277:
	s_mov_b32 s0, 0x3fffff
	v_lshrrev_b32_e32 v6, 23, v2
	v_and_b32_e32 v7, 0x400000, v2
	v_and_or_b32 v2, v2, s0, v3
	v_cmp_ne_u32_e32 vcc, 0, v7
	v_cmp_ne_u32_e64 s[0:1], 0, v2
	s_and_b64 s[0:1], vcc, s[0:1]
	s_nop 0
	v_cndmask_b32_e64 v2, 0, 1, s[0:1]
	v_add_u32_e32 v6, v6, v2
; %bb.278:
	s_or_b64 exec, exec, s[2:3]
	s_mov_b64 s[2:3], -1
	s_mov_b64 s[0:1], 0
	global_store_byte v[4:5], v6, off
.LBB9_279:
	s_mov_b64 s[4:5], 0
.LBB9_280:
	s_and_b64 vcc, exec, s[4:5]
	s_cbranch_vccz .LBB9_283
; %bb.281:
	s_cmp_eq_u32 s9, 29
	s_mov_b64 s[0:1], -1
	s_cbranch_scc0 .LBB9_283
; %bb.282:
	v_trunc_f64_e32 v[2:3], v[0:1]
	s_movk_i32 s0, 0xffe0
	v_ldexp_f64 v[6:7], v[2:3], s0
	v_floor_f64_e32 v[6:7], v[6:7]
	v_fmac_f64_e32 v[2:3], 0xc1f00000, v[6:7]
	v_cvt_u32_f64_e32 v9, v[6:7]
	v_cvt_u32_f64_e32 v8, v[2:3]
	global_store_dwordx2 v[4:5], v[8:9], off
	s_mov_b64 s[2:3], -1
	s_mov_b64 s[0:1], 0
.LBB9_283:
	s_mov_b64 s[4:5], 0
.LBB9_284:
	s_and_b64 vcc, exec, s[4:5]
	s_cbranch_vccz .LBB9_300
; %bb.285:
	s_cmp_lt_i32 s9, 27
	s_mov_b64 s[2:3], -1
	s_cbranch_scc1 .LBB9_291
; %bb.286:
	s_cmp_gt_i32 s9, 27
	v_cvt_u32_f64_e32 v2, v[0:1]
	s_cbranch_scc0 .LBB9_288
; %bb.287:
	s_mov_b64 s[2:3], 0
	global_store_dword v[4:5], v2, off
.LBB9_288:
	s_andn2_b64 vcc, exec, s[2:3]
	s_cbranch_vccnz .LBB9_290
; %bb.289:
	global_store_short v[4:5], v2, off
.LBB9_290:
	s_mov_b64 s[2:3], 0
.LBB9_291:
	s_andn2_b64 vcc, exec, s[2:3]
	s_cbranch_vccnz .LBB9_299
; %bb.292:
	v_cvt_f32_f64_e32 v2, v[0:1]
	v_and_b32_e32 v3, 0x7fffffff, v2
	s_mov_b32 s2, 0x43800000
	v_cmp_gt_u32_e32 vcc, s2, v3
	v_mov_b32_e32 v6, 0x80
	s_and_saveexec_b64 s[2:3], vcc
	s_cbranch_execz .LBB9_298
; %bb.293:
	s_mov_b32 s4, 0x3bffffff
	v_cmp_lt_u32_e32 vcc, s4, v3
	s_mov_b64 s[4:5], 0
                                        ; implicit-def: $vgpr3
	s_and_saveexec_b64 s[6:7], vcc
	s_xor_b64 s[6:7], exec, s[6:7]
	s_cbranch_execz .LBB9_998
; %bb.294:
	v_bfe_u32 v3, v2, 20, 1
	s_mov_b32 s10, 0x487ffff
	v_add3_u32 v3, v2, v3, s10
	s_mov_b64 s[4:5], exec
	v_lshrrev_b32_e32 v3, 20, v3
	s_andn2_saveexec_b64 s[6:7], s[6:7]
	s_cbranch_execnz .LBB9_999
.LBB9_295:
	s_or_b64 exec, exec, s[6:7]
	v_mov_b32_e32 v6, 0
	s_and_saveexec_b64 s[6:7], s[4:5]
.LBB9_296:
	v_lshrrev_b32_e32 v2, 24, v2
	s_movk_i32 s4, 0x80
	v_and_or_b32 v6, v2, s4, v3
.LBB9_297:
	s_or_b64 exec, exec, s[6:7]
.LBB9_298:
	s_or_b64 exec, exec, s[2:3]
	global_store_byte v[4:5], v6, off
.LBB9_299:
	s_mov_b64 s[2:3], -1
.LBB9_300:
	s_mov_b64 s[4:5], 0
.LBB9_301:
	s_and_b64 vcc, exec, s[4:5]
	s_cbranch_vccz .LBB9_342
; %bb.302:
	s_cmp_gt_i32 s9, 22
	s_mov_b64 s[4:5], -1
	s_cbranch_scc0 .LBB9_334
; %bb.303:
	s_cmp_lt_i32 s9, 24
	s_mov_b64 s[2:3], -1
	s_cbranch_scc1 .LBB9_323
; %bb.304:
	s_cmp_gt_i32 s9, 24
	s_cbranch_scc0 .LBB9_312
; %bb.305:
	v_cvt_f32_f64_e32 v2, v[0:1]
	v_and_b32_e32 v3, 0x7fffffff, v2
	s_mov_b32 s2, 0x47800000
	v_cmp_gt_u32_e32 vcc, s2, v3
	v_mov_b32_e32 v6, 0x80
	s_and_saveexec_b64 s[2:3], vcc
	s_cbranch_execz .LBB9_311
; %bb.306:
	s_mov_b32 s4, 0x37ffffff
	v_cmp_lt_u32_e32 vcc, s4, v3
	s_mov_b64 s[4:5], 0
                                        ; implicit-def: $vgpr3
	s_and_saveexec_b64 s[6:7], vcc
	s_xor_b64 s[6:7], exec, s[6:7]
	s_cbranch_execz .LBB9_1005
; %bb.307:
	v_bfe_u32 v3, v2, 21, 1
	s_mov_b32 s10, 0x88fffff
	v_add3_u32 v3, v2, v3, s10
	s_mov_b64 s[4:5], exec
	v_lshrrev_b32_e32 v3, 21, v3
	s_andn2_saveexec_b64 s[6:7], s[6:7]
	s_cbranch_execnz .LBB9_1006
.LBB9_308:
	s_or_b64 exec, exec, s[6:7]
	v_mov_b32_e32 v6, 0
	s_and_saveexec_b64 s[6:7], s[4:5]
.LBB9_309:
	v_lshrrev_b32_e32 v2, 24, v2
	s_movk_i32 s4, 0x80
	v_and_or_b32 v6, v2, s4, v3
.LBB9_310:
	s_or_b64 exec, exec, s[6:7]
.LBB9_311:
	s_or_b64 exec, exec, s[2:3]
	s_mov_b64 s[2:3], 0
	global_store_byte v[4:5], v6, off
.LBB9_312:
	s_and_b64 vcc, exec, s[2:3]
	s_cbranch_vccz .LBB9_322
; %bb.313:
	v_cvt_f32_f64_e32 v2, v[0:1]
	v_and_b32_e32 v6, 0x7fffffff, v2
	s_mov_b32 s2, 0x43f00000
	v_cmp_gt_u32_e32 vcc, s2, v6
                                        ; implicit-def: $vgpr3
	s_and_saveexec_b64 s[2:3], vcc
	s_xor_b64 s[2:3], exec, s[2:3]
	s_cbranch_execz .LBB9_319
; %bb.314:
	s_mov_b32 s4, 0x3c7fffff
	v_cmp_lt_u32_e32 vcc, s4, v6
                                        ; implicit-def: $vgpr3
	s_and_saveexec_b64 s[4:5], vcc
	s_xor_b64 s[4:5], exec, s[4:5]
; %bb.315:
	v_bfe_u32 v3, v2, 20, 1
	s_mov_b32 s6, 0x407ffff
	v_add3_u32 v3, v2, v3, s6
	v_lshrrev_b32_e32 v6, 20, v3
	v_and_b32_e32 v3, 0xff00000, v3
	s_mov_b32 s6, 0x7f00000
	v_mov_b32_e32 v7, 0x7e
	v_cmp_ne_u32_e32 vcc, s6, v3
	s_nop 1
	v_cndmask_b32_e32 v3, v7, v6, vcc
; %bb.316:
	s_andn2_saveexec_b64 s[4:5], s[4:5]
; %bb.317:
	s_mov_b32 s6, 0x46800000
	v_add_f32_e64 v3, |v2|, s6
; %bb.318:
	s_or_b64 exec, exec, s[4:5]
                                        ; implicit-def: $vgpr6
.LBB9_319:
	s_andn2_saveexec_b64 s[2:3], s[2:3]
; %bb.320:
	s_mov_b32 s4, 0x7f800000
	v_mov_b32_e32 v3, 0x7e
	v_mov_b32_e32 v7, 0x7f
	v_cmp_lt_u32_e32 vcc, s4, v6
	s_nop 1
	v_cndmask_b32_e32 v3, v3, v7, vcc
; %bb.321:
	s_or_b64 exec, exec, s[2:3]
	v_lshrrev_b32_e32 v2, 24, v2
	s_movk_i32 s2, 0x80
	v_and_or_b32 v2, v2, s2, v3
	global_store_byte v[4:5], v2, off
.LBB9_322:
	s_mov_b64 s[2:3], 0
.LBB9_323:
	s_andn2_b64 vcc, exec, s[2:3]
	s_cbranch_vccnz .LBB9_333
; %bb.324:
	v_cvt_f32_f64_e32 v2, v[0:1]
	v_and_b32_e32 v6, 0x7fffffff, v2
	s_mov_b32 s2, 0x47800000
	v_cmp_gt_u32_e32 vcc, s2, v6
                                        ; implicit-def: $vgpr3
	s_and_saveexec_b64 s[2:3], vcc
	s_xor_b64 s[2:3], exec, s[2:3]
	s_cbranch_execz .LBB9_330
; %bb.325:
	s_mov_b32 s4, 0x387fffff
	v_cmp_lt_u32_e32 vcc, s4, v6
                                        ; implicit-def: $vgpr3
	s_and_saveexec_b64 s[4:5], vcc
	s_xor_b64 s[4:5], exec, s[4:5]
; %bb.326:
	v_bfe_u32 v3, v2, 21, 1
	s_mov_b32 s6, 0x80fffff
	v_add3_u32 v3, v2, v3, s6
	v_lshrrev_b32_e32 v3, 21, v3
; %bb.327:
	s_andn2_saveexec_b64 s[4:5], s[4:5]
; %bb.328:
	s_mov_b32 s6, 0x43000000
	v_add_f32_e64 v3, |v2|, s6
; %bb.329:
	s_or_b64 exec, exec, s[4:5]
                                        ; implicit-def: $vgpr6
.LBB9_330:
	s_andn2_saveexec_b64 s[2:3], s[2:3]
; %bb.331:
	s_mov_b32 s4, 0x7f800000
	v_mov_b32_e32 v3, 0x7c
	v_mov_b32_e32 v7, 0x7f
	v_cmp_lt_u32_e32 vcc, s4, v6
	s_nop 1
	v_cndmask_b32_e32 v3, v3, v7, vcc
; %bb.332:
	s_or_b64 exec, exec, s[2:3]
	v_lshrrev_b32_e32 v2, 24, v2
	s_movk_i32 s2, 0x80
	v_and_or_b32 v2, v2, s2, v3
	global_store_byte v[4:5], v2, off
.LBB9_333:
	s_mov_b64 s[4:5], 0
	s_mov_b64 s[2:3], -1
.LBB9_334:
	s_andn2_b64 vcc, exec, s[4:5]
	s_cbranch_vccnz .LBB9_342
; %bb.335:
	s_cmp_gt_i32 s9, 14
	s_mov_b64 s[4:5], -1
	s_cbranch_scc0 .LBB9_339
; %bb.336:
	s_cmp_eq_u32 s9, 15
	s_mov_b64 s[0:1], -1
	s_cbranch_scc0 .LBB9_338
; %bb.337:
	v_cvt_f32_f64_e32 v2, v[0:1]
	v_bfe_u32 v3, v2, 16, 1
	s_movk_i32 s0, 0x7fff
	v_add3_u32 v3, v2, v3, s0
	v_cmp_o_f32_e32 vcc, v2, v2
	v_mov_b32_e32 v2, 0x7fc0
	s_mov_b64 s[2:3], -1
	v_cndmask_b32_sdwa v2, v2, v3, vcc dst_sel:DWORD dst_unused:UNUSED_PAD src0_sel:DWORD src1_sel:WORD_1
	global_store_short v[4:5], v2, off
	s_mov_b64 s[0:1], 0
.LBB9_338:
	s_mov_b64 s[4:5], 0
.LBB9_339:
	s_and_b64 vcc, exec, s[4:5]
	s_cbranch_vccz .LBB9_342
; %bb.340:
	s_cmp_eq_u32 s9, 11
	s_mov_b64 s[0:1], -1
	s_cbranch_scc0 .LBB9_342
; %bb.341:
	v_cmp_neq_f64_e32 vcc, 0, v[0:1]
	s_mov_b64 s[0:1], 0
	s_mov_b64 s[2:3], -1
	v_cndmask_b32_e64 v2, 0, 1, vcc
	global_store_byte v[4:5], v2, off
.LBB9_342:
	s_mov_b64 s[4:5], 0
.LBB9_343:
	s_and_b64 vcc, exec, s[4:5]
	s_cbranch_vccz .LBB9_382
; %bb.344:
	s_and_b32 s4, 0xffff, s8
	s_cmp_lt_i32 s4, 5
	s_mov_b64 s[2:3], -1
	s_cbranch_scc1 .LBB9_365
; %bb.345:
	s_cmp_lt_i32 s4, 8
	s_cbranch_scc1 .LBB9_355
; %bb.346:
	s_cmp_lt_i32 s4, 9
	s_cbranch_scc1 .LBB9_352
; %bb.347:
	s_cmp_gt_i32 s4, 9
	s_cbranch_scc0 .LBB9_349
; %bb.348:
	v_mov_b32_e32 v2, 0
	v_mov_b32_e32 v3, v2
	s_mov_b64 s[2:3], 0
	global_store_dwordx4 v[4:5], v[0:3], off
.LBB9_349:
	s_andn2_b64 vcc, exec, s[2:3]
	s_cbranch_vccnz .LBB9_351
; %bb.350:
	v_cvt_f32_f64_e32 v2, v[0:1]
	v_mov_b32_e32 v3, 0
	global_store_dwordx2 v[4:5], v[2:3], off
.LBB9_351:
	s_mov_b64 s[2:3], 0
.LBB9_352:
	s_andn2_b64 vcc, exec, s[2:3]
	s_cbranch_vccnz .LBB9_354
; %bb.353:
	s_movk_i32 s2, 0x1ff
	v_and_or_b32 v2, v1, s2, v0
	v_cmp_ne_u32_e32 vcc, 0, v2
	v_lshrrev_b32_e32 v3, 8, v1
	s_movk_i32 s2, 0xffe
	v_cndmask_b32_e64 v2, 0, 1, vcc
	v_bfe_u32 v6, v1, 20, 11
	v_and_or_b32 v2, v3, s2, v2
	v_sub_u32_e32 v7, 0x3f1, v6
	v_or_b32_e32 v3, 0x1000, v2
	v_med3_i32 v7, v7, 0, 13
	v_lshrrev_b32_e32 v8, v7, v3
	v_lshlrev_b32_e32 v7, v7, v8
	v_cmp_ne_u32_e32 vcc, v7, v3
	v_add_u32_e32 v6, 0xfffffc10, v6
	v_lshl_or_b32 v7, v6, 12, v2
	v_cndmask_b32_e64 v3, 0, 1, vcc
	v_or_b32_e32 v3, v8, v3
	v_cmp_gt_i32_e32 vcc, 1, v6
	s_movk_i32 s2, 0x40f
	s_nop 0
	v_cndmask_b32_e32 v3, v7, v3, vcc
	v_and_b32_e32 v7, 7, v3
	v_cmp_lt_i32_e32 vcc, 5, v7
	v_lshrrev_b32_e32 v3, 2, v3
	s_nop 0
	v_cndmask_b32_e64 v8, 0, 1, vcc
	v_cmp_eq_u32_e32 vcc, 3, v7
	s_nop 1
	v_cndmask_b32_e64 v7, 0, 1, vcc
	v_or_b32_e32 v7, v7, v8
	v_add_u32_e32 v3, v3, v7
	v_mov_b32_e32 v7, 0x7c00
	v_cmp_gt_i32_e32 vcc, 31, v6
	v_mov_b32_e32 v8, 0x7e00
	s_nop 0
	v_cndmask_b32_e32 v3, v7, v3, vcc
	v_cmp_ne_u32_e32 vcc, 0, v2
	s_nop 1
	v_cndmask_b32_e32 v2, v7, v8, vcc
	v_cmp_eq_u32_e32 vcc, s2, v6
	s_mov_b32 s2, 0x8000
	s_nop 0
	v_cndmask_b32_e32 v2, v3, v2, vcc
	v_and_b32_sdwa v3, v1, s2 dst_sel:DWORD dst_unused:UNUSED_PAD src0_sel:WORD_1 src1_sel:DWORD
	s_mov_b32 s2, 0xffff
	v_bitop3_b32 v2, v3, s2, v2 bitop3:0xc8
	global_store_dword v[4:5], v2, off
.LBB9_354:
	s_mov_b64 s[2:3], 0
.LBB9_355:
	s_andn2_b64 vcc, exec, s[2:3]
	s_cbranch_vccnz .LBB9_364
; %bb.356:
	s_cmp_lt_i32 s4, 6
	s_mov_b64 s[2:3], -1
	s_cbranch_scc1 .LBB9_362
; %bb.357:
	s_cmp_gt_i32 s4, 6
	s_cbranch_scc0 .LBB9_359
; %bb.358:
	s_mov_b64 s[2:3], 0
	global_store_dwordx2 v[4:5], v[0:1], off
.LBB9_359:
	s_andn2_b64 vcc, exec, s[2:3]
	s_cbranch_vccnz .LBB9_361
; %bb.360:
	v_cvt_f32_f64_e32 v2, v[0:1]
	global_store_dword v[4:5], v2, off
.LBB9_361:
	s_mov_b64 s[2:3], 0
.LBB9_362:
	s_andn2_b64 vcc, exec, s[2:3]
	s_cbranch_vccnz .LBB9_364
; %bb.363:
	s_movk_i32 s2, 0x1ff
	v_and_or_b32 v2, v1, s2, v0
	v_cmp_ne_u32_e32 vcc, 0, v2
	v_lshrrev_b32_e32 v3, 8, v1
	s_movk_i32 s2, 0xffe
	v_cndmask_b32_e64 v2, 0, 1, vcc
	v_bfe_u32 v6, v1, 20, 11
	v_and_or_b32 v2, v3, s2, v2
	v_sub_u32_e32 v7, 0x3f1, v6
	v_or_b32_e32 v3, 0x1000, v2
	v_med3_i32 v7, v7, 0, 13
	v_lshrrev_b32_e32 v8, v7, v3
	v_lshlrev_b32_e32 v7, v7, v8
	v_cmp_ne_u32_e32 vcc, v7, v3
	v_add_u32_e32 v6, 0xfffffc10, v6
	v_lshl_or_b32 v7, v6, 12, v2
	v_cndmask_b32_e64 v3, 0, 1, vcc
	v_or_b32_e32 v3, v8, v3
	v_cmp_gt_i32_e32 vcc, 1, v6
	s_movk_i32 s2, 0x40f
	s_nop 0
	v_cndmask_b32_e32 v3, v7, v3, vcc
	v_and_b32_e32 v7, 7, v3
	v_cmp_lt_i32_e32 vcc, 5, v7
	v_lshrrev_b32_e32 v3, 2, v3
	s_nop 0
	v_cndmask_b32_e64 v8, 0, 1, vcc
	v_cmp_eq_u32_e32 vcc, 3, v7
	s_nop 1
	v_cndmask_b32_e64 v7, 0, 1, vcc
	v_or_b32_e32 v7, v7, v8
	v_add_u32_e32 v3, v3, v7
	v_mov_b32_e32 v7, 0x7c00
	v_cmp_gt_i32_e32 vcc, 31, v6
	v_mov_b32_e32 v8, 0x7e00
	s_nop 0
	v_cndmask_b32_e32 v3, v7, v3, vcc
	v_cmp_ne_u32_e32 vcc, 0, v2
	s_nop 1
	v_cndmask_b32_e32 v2, v7, v8, vcc
	v_cmp_eq_u32_e32 vcc, s2, v6
	s_mov_b32 s2, 0x8000
	s_nop 0
	v_cndmask_b32_e32 v2, v3, v2, vcc
	v_lshrrev_b32_e32 v3, 16, v1
	v_and_or_b32 v2, v3, s2, v2
	global_store_short v[4:5], v2, off
.LBB9_364:
	s_mov_b64 s[2:3], 0
.LBB9_365:
	s_andn2_b64 vcc, exec, s[2:3]
	s_cbranch_vccnz .LBB9_381
; %bb.366:
	s_cmp_lt_i32 s4, 2
	s_mov_b64 s[2:3], -1
	s_cbranch_scc1 .LBB9_376
; %bb.367:
	s_cmp_lt_i32 s4, 3
	s_cbranch_scc1 .LBB9_373
; %bb.368:
	s_cmp_gt_i32 s4, 3
	s_cbranch_scc0 .LBB9_370
; %bb.369:
	v_trunc_f64_e32 v[2:3], v[0:1]
	s_movk_i32 s2, 0xffe0
	v_ldexp_f64 v[6:7], v[2:3], s2
	v_floor_f64_e32 v[6:7], v[6:7]
	v_fmac_f64_e32 v[2:3], 0xc1f00000, v[6:7]
	v_cvt_i32_f64_e32 v9, v[6:7]
	v_cvt_u32_f64_e32 v8, v[2:3]
	s_mov_b64 s[2:3], 0
	global_store_dwordx2 v[4:5], v[8:9], off
.LBB9_370:
	s_andn2_b64 vcc, exec, s[2:3]
	s_cbranch_vccnz .LBB9_372
; %bb.371:
	v_cvt_i32_f64_e32 v2, v[0:1]
	global_store_dword v[4:5], v2, off
.LBB9_372:
	s_mov_b64 s[2:3], 0
.LBB9_373:
	s_andn2_b64 vcc, exec, s[2:3]
	s_cbranch_vccnz .LBB9_375
; %bb.374:
	v_cvt_i32_f64_e32 v2, v[0:1]
	global_store_short v[4:5], v2, off
.LBB9_375:
	s_mov_b64 s[2:3], 0
.LBB9_376:
	s_andn2_b64 vcc, exec, s[2:3]
	s_cbranch_vccnz .LBB9_381
; %bb.377:
	s_cmp_gt_i32 s4, 0
	s_mov_b64 s[2:3], -1
	s_cbranch_scc0 .LBB9_379
; %bb.378:
	v_cvt_i32_f64_e32 v2, v[0:1]
	s_mov_b64 s[2:3], 0
	global_store_byte v[4:5], v2, off
.LBB9_379:
	s_andn2_b64 vcc, exec, s[2:3]
	s_cbranch_vccnz .LBB9_381
; %bb.380:
	v_trunc_f64_e32 v[0:1], v[0:1]
	s_movk_i32 s2, 0xffe0
	v_ldexp_f64 v[2:3], v[0:1], s2
	v_floor_f64_e32 v[2:3], v[2:3]
	v_fmac_f64_e32 v[0:1], 0xc1f00000, v[2:3]
	v_cvt_u32_f64_e32 v0, v[0:1]
	global_store_byte v[4:5], v0, off
.LBB9_381:
	s_mov_b64 s[2:3], -1
.LBB9_382:
	s_andn2_b64 vcc, exec, s[2:3]
	s_cbranch_vccnz .LBB9_384
; %bb.383:
	v_add_u32_e32 v42, 0x80, v42
	s_mov_b64 s[2:3], -1
	s_branch .LBB9_385
.LBB9_384:
	s_mov_b64 s[2:3], 0
                                        ; implicit-def: $vgpr42
.LBB9_385:
	s_andn2_b64 s[4:5], s[54:55], exec
	s_and_b64 s[0:1], s[0:1], exec
	s_or_b64 s[60:61], s[4:5], s[0:1]
	s_orn2_b64 s[2:3], s[2:3], exec
.LBB9_386:
	s_or_b64 exec, exec, s[58:59]
	s_mov_b64 s[0:1], 0
	s_mov_b64 s[6:7], 0
                                        ; implicit-def: $sgpr10
                                        ; implicit-def: $vgpr4_vgpr5
                                        ; implicit-def: $vgpr0_vgpr1
	s_and_saveexec_b64 s[58:59], s[2:3]
	s_cbranch_execz .LBB9_466
; %bb.387:
	v_cmp_gt_i32_e32 vcc, s62, v42
	s_mov_b64 s[2:3], 0
	s_mov_b64 s[4:5], s[60:61]
                                        ; implicit-def: $sgpr10
                                        ; implicit-def: $vgpr4_vgpr5
                                        ; implicit-def: $vgpr0_vgpr1
	s_and_saveexec_b64 s[62:63], vcc
	s_cbranch_execz .LBB9_465
; %bb.388:
	s_getpc_b64 s[0:1]
	s_add_u32 s0, s0, _ZN2at6native6invokeIZZZNS0_12_GLOBAL__N_119airy_ai_kernel_cudaERNS_18TensorIteratorBaseEENKUlvE_clEvENKUlvE_clEvEUldE_i15function_traitsIS7_EEENT1_11result_typeERKT_PrKPcPKT0_PKN3c1010ScalarTypeEi@rel32@lo+4
	s_addc_u32 s1, s1, _ZN2at6native6invokeIZZZNS0_12_GLOBAL__N_119airy_ai_kernel_cudaERNS_18TensorIteratorBaseEENKUlvE_clEvENKUlvE_clEvEUldE_i15function_traitsIS7_EEENT1_11result_typeERKT_PrKPcPKT0_PKN3c1010ScalarTypeEi@rel32@hi+12
	v_mov_b32_e32 v0, s38
	v_mov_b32_e32 v1, s39
	;; [unrolled: 1-line block ×5, first 2 shown]
	s_swappc_b64 s[30:31], s[0:1]
	v_mul_lo_u32 v2, v42, s34
	v_ashrrev_i32_e32 v3, 31, v2
	s_and_b32 s10, s33, 0xff
	s_cmp_lt_i32 s10, 11
	v_lshl_add_u64 v[4:5], s[36:37], 0, v[2:3]
	s_cbranch_scc1 .LBB9_462
; %bb.389:
	s_and_b32 s11, 0xffff, s10
	s_mov_b64 s[4:5], -1
	s_cmp_gt_i32 s11, 25
	s_mov_b64 s[0:1], s[60:61]
	s_cbranch_scc0 .LBB9_422
; %bb.390:
	s_mov_b64 s[2:3], -1
	s_cmp_gt_i32 s11, 28
	s_mov_b64 s[0:1], s[60:61]
	s_cbranch_scc0 .LBB9_406
; %bb.391:
	s_cmp_gt_i32 s11, 43
	s_mov_b64 s[0:1], s[60:61]
	s_cbranch_scc0 .LBB9_402
; %bb.392:
	;; [unrolled: 4-line block ×3, first 2 shown]
	s_cmp_eq_u32 s11, 46
	s_mov_b64 s[0:1], -1
	s_cbranch_scc0 .LBB9_395
; %bb.394:
	v_cvt_f32_f64_e32 v2, v[0:1]
	v_bfe_u32 v3, v2, 16, 1
	s_movk_i32 s0, 0x7fff
	v_add3_u32 v3, v2, v3, s0
	v_cmp_o_f32_e32 vcc, v2, v2
	v_mov_b32_e32 v2, 0x7fc0
	s_mov_b64 s[0:1], 0
	v_cndmask_b32_sdwa v2, v2, v3, vcc dst_sel:DWORD dst_unused:UNUSED_PAD src0_sel:DWORD src1_sel:WORD_1
	global_store_dword v[4:5], v2, off
.LBB9_395:
	s_mov_b64 s[2:3], 0
.LBB9_396:
	s_and_b64 vcc, exec, s[2:3]
	s_cbranch_vccz .LBB9_401
; %bb.397:
	s_cmp_eq_u32 s11, 44
	s_mov_b64 s[0:1], -1
	s_cbranch_scc0 .LBB9_401
; %bb.398:
	v_cvt_f32_f64_e32 v2, v[0:1]
	v_bfe_u32 v3, v2, 23, 8
	s_movk_i32 s0, 0xff
	v_cmp_ne_u32_e32 vcc, s0, v3
	v_mov_b32_e32 v6, 0xff
	s_and_saveexec_b64 s[2:3], vcc
; %bb.399:
	s_mov_b32 s0, 0x3fffff
	v_lshrrev_b32_e32 v6, 23, v2
	v_and_b32_e32 v7, 0x400000, v2
	v_and_or_b32 v2, v2, s0, v3
	v_cmp_ne_u32_e32 vcc, 0, v7
	v_cmp_ne_u32_e64 s[0:1], 0, v2
	s_and_b64 s[0:1], vcc, s[0:1]
	s_nop 0
	v_cndmask_b32_e64 v2, 0, 1, s[0:1]
	v_add_u32_e32 v6, v6, v2
; %bb.400:
	s_or_b64 exec, exec, s[2:3]
	s_mov_b64 s[0:1], 0
	global_store_byte v[4:5], v6, off
.LBB9_401:
	s_mov_b64 s[2:3], 0
.LBB9_402:
	s_and_b64 vcc, exec, s[2:3]
	s_cbranch_vccz .LBB9_405
; %bb.403:
	s_cmp_eq_u32 s11, 29
	s_mov_b64 s[0:1], -1
	s_cbranch_scc0 .LBB9_405
; %bb.404:
	v_trunc_f64_e32 v[2:3], v[0:1]
	s_movk_i32 s0, 0xffe0
	v_ldexp_f64 v[6:7], v[2:3], s0
	v_floor_f64_e32 v[6:7], v[6:7]
	v_fmac_f64_e32 v[2:3], 0xc1f00000, v[6:7]
	v_cvt_u32_f64_e32 v9, v[6:7]
	v_cvt_u32_f64_e32 v8, v[2:3]
	global_store_dwordx2 v[4:5], v[8:9], off
	s_mov_b64 s[0:1], 0
.LBB9_405:
	s_mov_b64 s[2:3], 0
.LBB9_406:
	s_and_b64 vcc, exec, s[2:3]
	s_cbranch_vccz .LBB9_421
; %bb.407:
	s_cmp_lt_i32 s11, 27
	s_mov_b64 s[2:3], -1
	s_cbranch_scc1 .LBB9_413
; %bb.408:
	s_cmp_gt_i32 s11, 27
	v_cvt_u32_f64_e32 v2, v[0:1]
	s_cbranch_scc0 .LBB9_410
; %bb.409:
	s_mov_b64 s[2:3], 0
	global_store_dword v[4:5], v2, off
.LBB9_410:
	s_andn2_b64 vcc, exec, s[2:3]
	s_cbranch_vccnz .LBB9_412
; %bb.411:
	global_store_short v[4:5], v2, off
.LBB9_412:
	s_mov_b64 s[2:3], 0
.LBB9_413:
	s_andn2_b64 vcc, exec, s[2:3]
	s_cbranch_vccnz .LBB9_421
; %bb.414:
	v_cvt_f32_f64_e32 v2, v[0:1]
	v_and_b32_e32 v3, 0x7fffffff, v2
	s_mov_b32 s2, 0x43800000
	v_cmp_gt_u32_e32 vcc, s2, v3
	v_mov_b32_e32 v6, 0x80
	s_and_saveexec_b64 s[2:3], vcc
	s_cbranch_execz .LBB9_420
; %bb.415:
	s_mov_b32 s4, 0x3bffffff
	v_cmp_lt_u32_e32 vcc, s4, v3
	s_mov_b64 s[4:5], 0
                                        ; implicit-def: $vgpr3
	s_and_saveexec_b64 s[6:7], vcc
	s_xor_b64 s[6:7], exec, s[6:7]
	s_cbranch_execz .LBB9_1007
; %bb.416:
	v_bfe_u32 v3, v2, 20, 1
	s_mov_b32 s8, 0x487ffff
	v_add3_u32 v3, v2, v3, s8
	s_mov_b64 s[4:5], exec
	v_lshrrev_b32_e32 v3, 20, v3
	s_andn2_saveexec_b64 s[6:7], s[6:7]
	s_cbranch_execnz .LBB9_1008
.LBB9_417:
	s_or_b64 exec, exec, s[6:7]
	v_mov_b32_e32 v6, 0
	s_and_saveexec_b64 s[6:7], s[4:5]
.LBB9_418:
	v_lshrrev_b32_e32 v2, 24, v2
	s_movk_i32 s4, 0x80
	v_and_or_b32 v6, v2, s4, v3
.LBB9_419:
	s_or_b64 exec, exec, s[6:7]
.LBB9_420:
	s_or_b64 exec, exec, s[2:3]
	global_store_byte v[4:5], v6, off
.LBB9_421:
	s_mov_b64 s[4:5], 0
.LBB9_422:
	s_mov_b64 s[2:3], 0
	s_and_b64 vcc, exec, s[4:5]
	s_cbranch_vccz .LBB9_463
; %bb.423:
	s_cmp_gt_i32 s11, 22
	s_mov_b64 s[4:5], -1
	s_cbranch_scc0 .LBB9_455
; %bb.424:
	s_cmp_lt_i32 s11, 24
	s_cbranch_scc1 .LBB9_444
; %bb.425:
	s_cmp_gt_i32 s11, 24
	s_cbranch_scc0 .LBB9_433
; %bb.426:
	v_cvt_f32_f64_e32 v2, v[0:1]
	v_and_b32_e32 v3, 0x7fffffff, v2
	s_mov_b32 s4, 0x47800000
	v_cmp_gt_u32_e32 vcc, s4, v3
	v_mov_b32_e32 v6, 0x80
	s_and_saveexec_b64 s[4:5], vcc
	s_cbranch_execz .LBB9_432
; %bb.427:
	s_mov_b32 s6, 0x37ffffff
	v_cmp_lt_u32_e32 vcc, s6, v3
	s_mov_b64 s[6:7], 0
                                        ; implicit-def: $vgpr3
	s_and_saveexec_b64 s[8:9], vcc
	s_xor_b64 s[8:9], exec, s[8:9]
	s_cbranch_execz .LBB9_1011
; %bb.428:
	v_bfe_u32 v3, v2, 21, 1
	s_mov_b32 s12, 0x88fffff
	v_add3_u32 v3, v2, v3, s12
	s_mov_b64 s[6:7], exec
	v_lshrrev_b32_e32 v3, 21, v3
	s_andn2_saveexec_b64 s[8:9], s[8:9]
	s_cbranch_execnz .LBB9_1012
.LBB9_429:
	s_or_b64 exec, exec, s[8:9]
	v_mov_b32_e32 v6, 0
	s_and_saveexec_b64 s[8:9], s[6:7]
.LBB9_430:
	v_lshrrev_b32_e32 v2, 24, v2
	s_movk_i32 s6, 0x80
	v_and_or_b32 v6, v2, s6, v3
.LBB9_431:
	s_or_b64 exec, exec, s[8:9]
.LBB9_432:
	s_or_b64 exec, exec, s[4:5]
	s_mov_b64 s[4:5], 0
	global_store_byte v[4:5], v6, off
.LBB9_433:
	s_and_b64 vcc, exec, s[4:5]
	s_cbranch_vccz .LBB9_443
; %bb.434:
	v_cvt_f32_f64_e32 v2, v[0:1]
	v_and_b32_e32 v6, 0x7fffffff, v2
	s_mov_b32 s4, 0x43f00000
	v_cmp_gt_u32_e32 vcc, s4, v6
                                        ; implicit-def: $vgpr3
	s_and_saveexec_b64 s[4:5], vcc
	s_xor_b64 s[4:5], exec, s[4:5]
	s_cbranch_execz .LBB9_440
; %bb.435:
	s_mov_b32 s6, 0x3c7fffff
	v_cmp_lt_u32_e32 vcc, s6, v6
                                        ; implicit-def: $vgpr3
	s_and_saveexec_b64 s[6:7], vcc
	s_xor_b64 s[6:7], exec, s[6:7]
; %bb.436:
	v_bfe_u32 v3, v2, 20, 1
	s_mov_b32 s8, 0x407ffff
	v_add3_u32 v3, v2, v3, s8
	v_lshrrev_b32_e32 v6, 20, v3
	v_and_b32_e32 v3, 0xff00000, v3
	s_mov_b32 s8, 0x7f00000
	v_mov_b32_e32 v7, 0x7e
	v_cmp_ne_u32_e32 vcc, s8, v3
	s_nop 1
	v_cndmask_b32_e32 v3, v7, v6, vcc
; %bb.437:
	s_andn2_saveexec_b64 s[6:7], s[6:7]
; %bb.438:
	s_mov_b32 s8, 0x46800000
	v_add_f32_e64 v3, |v2|, s8
; %bb.439:
	s_or_b64 exec, exec, s[6:7]
                                        ; implicit-def: $vgpr6
.LBB9_440:
	s_andn2_saveexec_b64 s[4:5], s[4:5]
; %bb.441:
	s_mov_b32 s6, 0x7f800000
	v_mov_b32_e32 v3, 0x7e
	v_mov_b32_e32 v7, 0x7f
	v_cmp_lt_u32_e32 vcc, s6, v6
	s_nop 1
	v_cndmask_b32_e32 v3, v3, v7, vcc
; %bb.442:
	s_or_b64 exec, exec, s[4:5]
	v_lshrrev_b32_e32 v2, 24, v2
	s_movk_i32 s4, 0x80
	v_and_or_b32 v2, v2, s4, v3
	global_store_byte v[4:5], v2, off
.LBB9_443:
	s_mov_b64 s[4:5], 0
.LBB9_444:
	s_andn2_b64 vcc, exec, s[4:5]
	s_cbranch_vccnz .LBB9_454
; %bb.445:
	v_cvt_f32_f64_e32 v2, v[0:1]
	v_and_b32_e32 v6, 0x7fffffff, v2
	s_mov_b32 s4, 0x47800000
	v_cmp_gt_u32_e32 vcc, s4, v6
                                        ; implicit-def: $vgpr3
	s_and_saveexec_b64 s[4:5], vcc
	s_xor_b64 s[4:5], exec, s[4:5]
	s_cbranch_execz .LBB9_451
; %bb.446:
	s_mov_b32 s6, 0x387fffff
	v_cmp_lt_u32_e32 vcc, s6, v6
                                        ; implicit-def: $vgpr3
	s_and_saveexec_b64 s[6:7], vcc
	s_xor_b64 s[6:7], exec, s[6:7]
; %bb.447:
	v_bfe_u32 v3, v2, 21, 1
	s_mov_b32 s8, 0x80fffff
	v_add3_u32 v3, v2, v3, s8
	v_lshrrev_b32_e32 v3, 21, v3
; %bb.448:
	s_andn2_saveexec_b64 s[6:7], s[6:7]
; %bb.449:
	s_mov_b32 s8, 0x43000000
	v_add_f32_e64 v3, |v2|, s8
; %bb.450:
	s_or_b64 exec, exec, s[6:7]
                                        ; implicit-def: $vgpr6
.LBB9_451:
	s_andn2_saveexec_b64 s[4:5], s[4:5]
; %bb.452:
	s_mov_b32 s6, 0x7f800000
	v_mov_b32_e32 v3, 0x7c
	v_mov_b32_e32 v7, 0x7f
	v_cmp_lt_u32_e32 vcc, s6, v6
	s_nop 1
	v_cndmask_b32_e32 v3, v3, v7, vcc
; %bb.453:
	s_or_b64 exec, exec, s[4:5]
	v_lshrrev_b32_e32 v2, 24, v2
	s_movk_i32 s4, 0x80
	v_and_or_b32 v2, v2, s4, v3
	global_store_byte v[4:5], v2, off
.LBB9_454:
	s_mov_b64 s[4:5], 0
.LBB9_455:
	s_andn2_b64 vcc, exec, s[4:5]
	s_mov_b64 s[4:5], 0
	s_cbranch_vccnz .LBB9_464
; %bb.456:
	s_cmp_gt_i32 s11, 14
	s_mov_b64 s[6:7], -1
	s_cbranch_scc0 .LBB9_460
; %bb.457:
	s_cmp_eq_u32 s11, 15
	s_mov_b64 s[0:1], -1
	s_cbranch_scc0 .LBB9_459
; %bb.458:
	v_cvt_f32_f64_e32 v2, v[0:1]
	v_bfe_u32 v3, v2, 16, 1
	s_movk_i32 s0, 0x7fff
	v_add3_u32 v3, v2, v3, s0
	v_cmp_o_f32_e32 vcc, v2, v2
	v_mov_b32_e32 v2, 0x7fc0
	s_mov_b64 s[0:1], 0
	v_cndmask_b32_sdwa v2, v2, v3, vcc dst_sel:DWORD dst_unused:UNUSED_PAD src0_sel:DWORD src1_sel:WORD_1
	global_store_short v[4:5], v2, off
.LBB9_459:
	s_mov_b64 s[6:7], 0
.LBB9_460:
	s_and_b64 vcc, exec, s[6:7]
	s_cbranch_vccz .LBB9_464
; %bb.461:
	s_cmp_lg_u32 s11, 11
	s_cselect_b64 s[6:7], -1, 0
	s_andn2_b64 s[0:1], s[0:1], exec
	s_and_b64 s[6:7], s[6:7], exec
	s_mov_b64 s[4:5], -1
	s_or_b64 s[0:1], s[0:1], s[6:7]
	s_branch .LBB9_464
.LBB9_462:
	s_mov_b64 s[4:5], 0
	s_mov_b64 s[2:3], -1
	s_mov_b64 s[0:1], s[60:61]
	s_branch .LBB9_464
.LBB9_463:
	s_mov_b64 s[4:5], 0
.LBB9_464:
	s_and_b64 s[6:7], s[2:3], exec
	s_and_b64 s[2:3], s[4:5], exec
	s_andn2_b64 s[4:5], s[60:61], exec
	s_and_b64 s[0:1], s[0:1], exec
	s_or_b64 s[4:5], s[4:5], s[0:1]
.LBB9_465:
	s_or_b64 exec, exec, s[62:63]
	s_and_b64 s[0:1], s[2:3], exec
	s_andn2_b64 s[2:3], s[60:61], exec
	s_and_b64 s[4:5], s[4:5], exec
	s_and_b64 s[6:7], s[6:7], exec
	s_or_b64 s[60:61], s[2:3], s[4:5]
.LBB9_466:
	s_or_b64 exec, exec, s[58:59]
	s_and_b64 s[2:3], s[6:7], exec
	s_andn2_b64 s[4:5], s[54:55], exec
	s_and_b64 s[6:7], s[60:61], exec
	s_and_b64 s[0:1], s[0:1], exec
	s_or_b64 s[54:55], s[4:5], s[6:7]
.LBB9_467:
	s_or_b64 exec, exec, s[56:57]
	s_and_b64 s[56:57], s[0:1], exec
	s_andn2_b64 s[0:1], s[50:51], exec
	s_and_b64 s[4:5], s[54:55], exec
	s_and_b64 s[2:3], s[2:3], exec
	s_or_b64 s[50:51], s[0:1], s[4:5]
	s_or_b64 exec, exec, s[52:53]
	s_mov_b64 s[0:1], 0
	s_and_saveexec_b64 s[4:5], s[50:51]
	s_cbranch_execz .LBB9_134
.LBB9_468:
	s_mov_b64 s[0:1], exec
	s_andn2_b64 s[56:57], s[56:57], exec
	s_trap 2
	s_or_b64 exec, exec, s[4:5]
	s_and_saveexec_b64 s[4:5], s[56:57]
	s_xor_b64 s[4:5], exec, s[4:5]
	s_cbranch_execnz .LBB9_135
.LBB9_469:
	s_or_b64 exec, exec, s[4:5]
	s_and_saveexec_b64 s[4:5], s[2:3]
	s_xor_b64 s[2:3], exec, s[4:5]
	s_cbranch_execz .LBB9_507
.LBB9_470:
	s_sext_i32_i16 s6, s10
	s_cmp_lt_i32 s6, 5
	s_mov_b64 s[4:5], -1
	s_cbranch_scc1 .LBB9_491
; %bb.471:
	s_cmp_lt_i32 s6, 8
	s_cbranch_scc1 .LBB9_481
; %bb.472:
	s_cmp_lt_i32 s6, 9
	s_cbranch_scc1 .LBB9_478
; %bb.473:
	s_cmp_gt_i32 s6, 9
	s_cbranch_scc0 .LBB9_475
; %bb.474:
	v_mov_b32_e32 v2, 0
	v_mov_b32_e32 v3, v2
	s_mov_b64 s[4:5], 0
	global_store_dwordx4 v[4:5], v[0:3], off
.LBB9_475:
	s_andn2_b64 vcc, exec, s[4:5]
	s_cbranch_vccnz .LBB9_477
; %bb.476:
	v_cvt_f32_f64_e32 v2, v[0:1]
	v_mov_b32_e32 v3, 0
	global_store_dwordx2 v[4:5], v[2:3], off
.LBB9_477:
	s_mov_b64 s[4:5], 0
.LBB9_478:
	s_andn2_b64 vcc, exec, s[4:5]
	s_cbranch_vccnz .LBB9_480
; %bb.479:
	s_movk_i32 s4, 0x1ff
	v_and_or_b32 v2, v1, s4, v0
	v_cmp_ne_u32_e32 vcc, 0, v2
	v_lshrrev_b32_e32 v3, 8, v1
	s_movk_i32 s4, 0xffe
	v_cndmask_b32_e64 v2, 0, 1, vcc
	v_bfe_u32 v6, v1, 20, 11
	v_and_or_b32 v2, v3, s4, v2
	v_sub_u32_e32 v7, 0x3f1, v6
	v_or_b32_e32 v3, 0x1000, v2
	v_med3_i32 v7, v7, 0, 13
	v_lshrrev_b32_e32 v8, v7, v3
	v_lshlrev_b32_e32 v7, v7, v8
	v_cmp_ne_u32_e32 vcc, v7, v3
	v_add_u32_e32 v6, 0xfffffc10, v6
	v_lshl_or_b32 v7, v6, 12, v2
	v_cndmask_b32_e64 v3, 0, 1, vcc
	v_or_b32_e32 v3, v8, v3
	v_cmp_gt_i32_e32 vcc, 1, v6
	s_movk_i32 s4, 0x40f
	s_nop 0
	v_cndmask_b32_e32 v3, v7, v3, vcc
	v_and_b32_e32 v7, 7, v3
	v_cmp_lt_i32_e32 vcc, 5, v7
	v_lshrrev_b32_e32 v3, 2, v3
	s_nop 0
	v_cndmask_b32_e64 v8, 0, 1, vcc
	v_cmp_eq_u32_e32 vcc, 3, v7
	s_nop 1
	v_cndmask_b32_e64 v7, 0, 1, vcc
	v_or_b32_e32 v7, v7, v8
	v_add_u32_e32 v3, v3, v7
	v_mov_b32_e32 v7, 0x7c00
	v_cmp_gt_i32_e32 vcc, 31, v6
	v_mov_b32_e32 v8, 0x7e00
	s_nop 0
	v_cndmask_b32_e32 v3, v7, v3, vcc
	v_cmp_ne_u32_e32 vcc, 0, v2
	s_nop 1
	v_cndmask_b32_e32 v2, v7, v8, vcc
	v_cmp_eq_u32_e32 vcc, s4, v6
	s_mov_b32 s4, 0x8000
	s_nop 0
	v_cndmask_b32_e32 v2, v3, v2, vcc
	v_and_b32_sdwa v3, v1, s4 dst_sel:DWORD dst_unused:UNUSED_PAD src0_sel:WORD_1 src1_sel:DWORD
	s_mov_b32 s4, 0xffff
	v_bitop3_b32 v2, v3, s4, v2 bitop3:0xc8
	global_store_dword v[4:5], v2, off
.LBB9_480:
	s_mov_b64 s[4:5], 0
.LBB9_481:
	s_andn2_b64 vcc, exec, s[4:5]
	s_cbranch_vccnz .LBB9_490
; %bb.482:
	s_sext_i32_i16 s6, s10
	s_cmp_lt_i32 s6, 6
	s_mov_b64 s[4:5], -1
	s_cbranch_scc1 .LBB9_488
; %bb.483:
	s_cmp_gt_i32 s6, 6
	s_cbranch_scc0 .LBB9_485
; %bb.484:
	s_mov_b64 s[4:5], 0
	global_store_dwordx2 v[4:5], v[0:1], off
.LBB9_485:
	s_andn2_b64 vcc, exec, s[4:5]
	s_cbranch_vccnz .LBB9_487
; %bb.486:
	v_cvt_f32_f64_e32 v2, v[0:1]
	global_store_dword v[4:5], v2, off
.LBB9_487:
	s_mov_b64 s[4:5], 0
.LBB9_488:
	s_andn2_b64 vcc, exec, s[4:5]
	s_cbranch_vccnz .LBB9_490
; %bb.489:
	s_movk_i32 s4, 0x1ff
	v_and_or_b32 v2, v1, s4, v0
	v_cmp_ne_u32_e32 vcc, 0, v2
	v_lshrrev_b32_e32 v3, 8, v1
	s_movk_i32 s4, 0xffe
	v_cndmask_b32_e64 v2, 0, 1, vcc
	v_bfe_u32 v6, v1, 20, 11
	v_and_or_b32 v2, v3, s4, v2
	v_sub_u32_e32 v7, 0x3f1, v6
	v_or_b32_e32 v3, 0x1000, v2
	v_med3_i32 v7, v7, 0, 13
	v_lshrrev_b32_e32 v8, v7, v3
	v_lshlrev_b32_e32 v7, v7, v8
	v_cmp_ne_u32_e32 vcc, v7, v3
	v_add_u32_e32 v6, 0xfffffc10, v6
	v_lshl_or_b32 v7, v6, 12, v2
	v_cndmask_b32_e64 v3, 0, 1, vcc
	v_or_b32_e32 v3, v8, v3
	v_cmp_gt_i32_e32 vcc, 1, v6
	s_movk_i32 s4, 0x40f
	s_nop 0
	v_cndmask_b32_e32 v3, v7, v3, vcc
	v_and_b32_e32 v7, 7, v3
	v_cmp_lt_i32_e32 vcc, 5, v7
	v_lshrrev_b32_e32 v3, 2, v3
	s_nop 0
	v_cndmask_b32_e64 v8, 0, 1, vcc
	v_cmp_eq_u32_e32 vcc, 3, v7
	s_nop 1
	v_cndmask_b32_e64 v7, 0, 1, vcc
	v_or_b32_e32 v7, v7, v8
	v_add_u32_e32 v3, v3, v7
	v_mov_b32_e32 v7, 0x7c00
	v_cmp_gt_i32_e32 vcc, 31, v6
	v_mov_b32_e32 v8, 0x7e00
	s_nop 0
	v_cndmask_b32_e32 v3, v7, v3, vcc
	v_cmp_ne_u32_e32 vcc, 0, v2
	s_nop 1
	v_cndmask_b32_e32 v2, v7, v8, vcc
	v_cmp_eq_u32_e32 vcc, s4, v6
	s_mov_b32 s4, 0x8000
	s_nop 0
	v_cndmask_b32_e32 v2, v3, v2, vcc
	v_lshrrev_b32_e32 v3, 16, v1
	v_and_or_b32 v2, v3, s4, v2
	global_store_short v[4:5], v2, off
.LBB9_490:
	s_mov_b64 s[4:5], 0
.LBB9_491:
	s_andn2_b64 vcc, exec, s[4:5]
	s_cbranch_vccnz .LBB9_507
; %bb.492:
	s_sext_i32_i16 s6, s10
	s_cmp_lt_i32 s6, 2
	s_mov_b64 s[4:5], -1
	s_cbranch_scc1 .LBB9_502
; %bb.493:
	s_cmp_lt_i32 s6, 3
	s_cbranch_scc1 .LBB9_499
; %bb.494:
	s_cmp_gt_i32 s6, 3
	s_cbranch_scc0 .LBB9_496
; %bb.495:
	v_trunc_f64_e32 v[2:3], v[0:1]
	s_movk_i32 s4, 0xffe0
	v_ldexp_f64 v[6:7], v[2:3], s4
	v_floor_f64_e32 v[6:7], v[6:7]
	v_fmac_f64_e32 v[2:3], 0xc1f00000, v[6:7]
	v_cvt_i32_f64_e32 v9, v[6:7]
	v_cvt_u32_f64_e32 v8, v[2:3]
	s_mov_b64 s[4:5], 0
	global_store_dwordx2 v[4:5], v[8:9], off
.LBB9_496:
	s_andn2_b64 vcc, exec, s[4:5]
	s_cbranch_vccnz .LBB9_498
; %bb.497:
	v_cvt_i32_f64_e32 v2, v[0:1]
	global_store_dword v[4:5], v2, off
.LBB9_498:
	s_mov_b64 s[4:5], 0
.LBB9_499:
	s_andn2_b64 vcc, exec, s[4:5]
	s_cbranch_vccnz .LBB9_501
; %bb.500:
	v_cvt_i32_f64_e32 v2, v[0:1]
	global_store_short v[4:5], v2, off
.LBB9_501:
	s_mov_b64 s[4:5], 0
.LBB9_502:
	s_andn2_b64 vcc, exec, s[4:5]
	s_cbranch_vccnz .LBB9_507
; %bb.503:
	s_sext_i32_i16 s4, s10
	s_cmp_gt_i32 s4, 0
	s_mov_b64 s[4:5], -1
	s_cbranch_scc0 .LBB9_505
; %bb.504:
	v_cvt_i32_f64_e32 v2, v[0:1]
	s_mov_b64 s[4:5], 0
	global_store_byte v[4:5], v2, off
.LBB9_505:
	s_andn2_b64 vcc, exec, s[4:5]
	s_cbranch_vccnz .LBB9_507
; %bb.506:
	v_trunc_f64_e32 v[0:1], v[0:1]
	s_movk_i32 s4, 0xffe0
	v_ldexp_f64 v[2:3], v[0:1], s4
	v_floor_f64_e32 v[2:3], v[2:3]
	v_fmac_f64_e32 v[0:1], 0xc1f00000, v[2:3]
	v_cvt_u32_f64_e32 v0, v[0:1]
	global_store_byte v[4:5], v0, off
.LBB9_507:
	s_or_b64 exec, exec, s[2:3]
	s_and_b64 s[50:51], s[0:1], exec
                                        ; implicit-def: $vgpr42
                                        ; implicit-def: $vgpr43
                                        ; implicit-def: $vgpr44
.LBB9_508:
	s_or_saveexec_b64 s[48:49], s[48:49]
	s_mov_b64 s[0:1], 0
                                        ; implicit-def: $sgpr12
                                        ; implicit-def: $vgpr4_vgpr5
                                        ; implicit-def: $vgpr0_vgpr1
	s_xor_b64 exec, exec, s[48:49]
	s_cbranch_execz .LBB9_941
; %bb.509:
	s_getpc_b64 s[46:47]
	s_add_u32 s46, s46, _ZN2at6native6invokeIZZZNS0_12_GLOBAL__N_119airy_ai_kernel_cudaERNS_18TensorIteratorBaseEENKUlvE_clEvENKUlvE_clEvEUldE_i15function_traitsIS7_EEENT1_11result_typeERKT_PrKPcPKT0_PKN3c1010ScalarTypeEi@rel32@lo+4
	s_addc_u32 s47, s47, _ZN2at6native6invokeIZZZNS0_12_GLOBAL__N_119airy_ai_kernel_cudaERNS_18TensorIteratorBaseEENKUlvE_clEvENKUlvE_clEvEUldE_i15function_traitsIS7_EEENT1_11result_typeERKT_PrKPcPKT0_PKN3c1010ScalarTypeEi@rel32@hi+12
	v_mov_b32_e32 v0, s38
	v_mov_b32_e32 v1, s39
	;; [unrolled: 1-line block ×5, first 2 shown]
	v_add_u32_e32 v36, 0x80, v42
	v_add_u32_e32 v37, 0x100, v42
	s_swappc_b64 s[30:31], s[46:47]
	v_mov_b32_e32 v40, v0
	v_mov_b32_e32 v41, v1
	v_mov_b32_e32 v0, s38
	v_mov_b32_e32 v1, s39
	v_mov_b32_e32 v2, s35
	v_mov_b32_e32 v3, v43
	v_mov_b32_e32 v4, v36
	s_swappc_b64 s[30:31], s[46:47]
	v_mov_b32_e32 v38, v0
	v_mov_b32_e32 v39, v1
	v_mov_b32_e32 v0, s38
	v_mov_b32_e32 v1, s39
	v_mov_b32_e32 v2, s35
	v_mov_b32_e32 v3, v43
	v_mov_b32_e32 v4, v37
	;; [unrolled: 8-line block ×3, first 2 shown]
	s_swappc_b64 s[30:31], s[46:47]
	v_mul_lo_u32 v2, s34, v42
	v_ashrrev_i32_e32 v3, 31, v2
	s_and_b32 s12, s33, 0xff
	s_cmp_lt_i32 s12, 11
	v_lshl_add_u64 v[4:5], s[36:37], 0, v[2:3]
	s_cbranch_scc1 .LBB9_588
; %bb.510:
	s_and_b32 s10, 0xffff, s12
	s_mov_b64 s[2:3], -1
	s_mov_b64 s[4:5], 0
	s_cmp_gt_i32 s10, 25
	s_mov_b64 s[6:7], 0
	s_mov_b64 s[0:1], 0
	s_cbranch_scc0 .LBB9_543
; %bb.511:
	s_cmp_gt_i32 s10, 28
	s_cbranch_scc0 .LBB9_526
; %bb.512:
	s_cmp_gt_i32 s10, 43
	;; [unrolled: 3-line block ×3, first 2 shown]
	s_cbranch_scc0 .LBB9_516
; %bb.514:
	s_mov_b64 s[0:1], -1
	s_mov_b64 s[2:3], 0
	s_cmp_eq_u32 s10, 46
	s_cbranch_scc0 .LBB9_516
; %bb.515:
	v_cvt_f32_f64_e32 v3, v[40:41]
	v_bfe_u32 v6, v3, 16, 1
	s_movk_i32 s0, 0x7fff
	v_add3_u32 v6, v3, v6, s0
	v_cmp_o_f32_e32 vcc, v3, v3
	v_mov_b32_e32 v3, 0x7fc0
	s_mov_b64 s[0:1], 0
	v_cndmask_b32_sdwa v3, v3, v6, vcc dst_sel:DWORD dst_unused:UNUSED_PAD src0_sel:DWORD src1_sel:WORD_1
	global_store_dword v[4:5], v3, off
	s_mov_b64 s[6:7], -1
.LBB9_516:
	s_and_b64 vcc, exec, s[2:3]
	s_cbranch_vccz .LBB9_521
; %bb.517:
	s_cmp_eq_u32 s10, 44
	s_mov_b64 s[0:1], -1
	s_cbranch_scc0 .LBB9_521
; %bb.518:
	v_cvt_f32_f64_e32 v3, v[40:41]
	v_bfe_u32 v6, v3, 23, 8
	s_movk_i32 s0, 0xff
	v_cmp_ne_u32_e32 vcc, s0, v6
	v_mov_b32_e32 v7, 0xff
	s_and_saveexec_b64 s[2:3], vcc
; %bb.519:
	s_mov_b32 s0, 0x3fffff
	v_lshrrev_b32_e32 v7, 23, v3
	v_and_b32_e32 v8, 0x400000, v3
	v_and_or_b32 v3, v3, s0, v6
	v_cmp_ne_u32_e32 vcc, 0, v8
	v_cmp_ne_u32_e64 s[0:1], 0, v3
	s_and_b64 s[0:1], vcc, s[0:1]
	s_nop 0
	v_cndmask_b32_e64 v3, 0, 1, s[0:1]
	v_add_u32_e32 v7, v7, v3
; %bb.520:
	s_or_b64 exec, exec, s[2:3]
	s_mov_b64 s[0:1], 0
	s_mov_b64 s[6:7], -1
	global_store_byte v[4:5], v7, off
.LBB9_521:
	s_mov_b64 s[2:3], 0
.LBB9_522:
	s_and_b64 vcc, exec, s[2:3]
	s_cbranch_vccz .LBB9_525
; %bb.523:
	s_cmp_eq_u32 s10, 29
	s_mov_b64 s[0:1], -1
	s_cbranch_scc0 .LBB9_525
; %bb.524:
	v_trunc_f64_e32 v[6:7], v[40:41]
	s_movk_i32 s0, 0xffe0
	v_ldexp_f64 v[8:9], v[6:7], s0
	v_floor_f64_e32 v[8:9], v[8:9]
	v_fmac_f64_e32 v[6:7], 0xc1f00000, v[8:9]
	v_cvt_u32_f64_e32 v11, v[8:9]
	v_cvt_u32_f64_e32 v10, v[6:7]
	global_store_dwordx2 v[4:5], v[10:11], off
	s_mov_b64 s[0:1], 0
	s_mov_b64 s[6:7], -1
.LBB9_525:
	s_mov_b64 s[2:3], 0
.LBB9_526:
	s_and_b64 vcc, exec, s[2:3]
	s_cbranch_vccz .LBB9_542
; %bb.527:
	s_cmp_lt_i32 s10, 27
	s_mov_b64 s[2:3], -1
	s_cbranch_scc1 .LBB9_533
; %bb.528:
	s_cmp_gt_i32 s10, 27
	v_cvt_u32_f64_e32 v3, v[40:41]
	s_cbranch_scc0 .LBB9_530
; %bb.529:
	s_mov_b64 s[2:3], 0
	global_store_dword v[4:5], v3, off
.LBB9_530:
	s_andn2_b64 vcc, exec, s[2:3]
	s_cbranch_vccnz .LBB9_532
; %bb.531:
	global_store_short v[4:5], v3, off
.LBB9_532:
	s_mov_b64 s[2:3], 0
.LBB9_533:
	s_andn2_b64 vcc, exec, s[2:3]
	s_cbranch_vccnz .LBB9_541
; %bb.534:
	v_cvt_f32_f64_e32 v3, v[40:41]
	v_and_b32_e32 v6, 0x7fffffff, v3
	s_mov_b32 s2, 0x43800000
	v_cmp_gt_u32_e32 vcc, s2, v6
	v_mov_b32_e32 v7, 0x80
	s_and_saveexec_b64 s[2:3], vcc
	s_cbranch_execz .LBB9_540
; %bb.535:
	s_mov_b32 s6, 0x3bffffff
	v_cmp_lt_u32_e32 vcc, s6, v6
	s_mov_b64 s[6:7], 0
                                        ; implicit-def: $vgpr6
	s_and_saveexec_b64 s[8:9], vcc
	s_xor_b64 s[8:9], exec, s[8:9]
	s_cbranch_execz .LBB9_985
; %bb.536:
	v_bfe_u32 v6, v3, 20, 1
	s_mov_b32 s11, 0x487ffff
	v_add3_u32 v6, v3, v6, s11
	s_mov_b64 s[6:7], exec
	v_lshrrev_b32_e32 v6, 20, v6
	s_andn2_saveexec_b64 s[8:9], s[8:9]
	s_cbranch_execnz .LBB9_986
.LBB9_537:
	s_or_b64 exec, exec, s[8:9]
	v_mov_b32_e32 v7, 0
	s_and_saveexec_b64 s[8:9], s[6:7]
.LBB9_538:
	v_lshrrev_b32_e32 v3, 24, v3
	s_movk_i32 s6, 0x80
	v_and_or_b32 v7, v3, s6, v6
.LBB9_539:
	s_or_b64 exec, exec, s[8:9]
.LBB9_540:
	s_or_b64 exec, exec, s[2:3]
	global_store_byte v[4:5], v7, off
.LBB9_541:
	s_mov_b64 s[6:7], -1
.LBB9_542:
	s_mov_b64 s[2:3], 0
.LBB9_543:
	s_and_b64 vcc, exec, s[2:3]
	s_cbranch_vccz .LBB9_583
; %bb.544:
	s_cmp_gt_i32 s10, 22
	s_mov_b64 s[2:3], -1
	s_cbranch_scc0 .LBB9_576
; %bb.545:
	s_cmp_lt_i32 s10, 24
	s_cbranch_scc1 .LBB9_565
; %bb.546:
	s_cmp_gt_i32 s10, 24
	s_cbranch_scc0 .LBB9_554
; %bb.547:
	v_cvt_f32_f64_e32 v3, v[40:41]
	v_and_b32_e32 v6, 0x7fffffff, v3
	s_mov_b32 s2, 0x47800000
	v_cmp_gt_u32_e32 vcc, s2, v6
	v_mov_b32_e32 v7, 0x80
	s_and_saveexec_b64 s[2:3], vcc
	s_cbranch_execz .LBB9_553
; %bb.548:
	s_mov_b32 s4, 0x37ffffff
	v_cmp_lt_u32_e32 vcc, s4, v6
	s_mov_b64 s[4:5], 0
                                        ; implicit-def: $vgpr6
	s_and_saveexec_b64 s[6:7], vcc
	s_xor_b64 s[6:7], exec, s[6:7]
	s_cbranch_execz .LBB9_988
; %bb.549:
	v_bfe_u32 v6, v3, 21, 1
	s_mov_b32 s8, 0x88fffff
	v_add3_u32 v6, v3, v6, s8
	s_mov_b64 s[4:5], exec
	v_lshrrev_b32_e32 v6, 21, v6
	s_andn2_saveexec_b64 s[6:7], s[6:7]
	s_cbranch_execnz .LBB9_989
.LBB9_550:
	s_or_b64 exec, exec, s[6:7]
	v_mov_b32_e32 v7, 0
	s_and_saveexec_b64 s[6:7], s[4:5]
.LBB9_551:
	v_lshrrev_b32_e32 v3, 24, v3
	s_movk_i32 s4, 0x80
	v_and_or_b32 v7, v3, s4, v6
.LBB9_552:
	s_or_b64 exec, exec, s[6:7]
.LBB9_553:
	s_or_b64 exec, exec, s[2:3]
	s_mov_b64 s[2:3], 0
	global_store_byte v[4:5], v7, off
.LBB9_554:
	s_and_b64 vcc, exec, s[2:3]
	s_cbranch_vccz .LBB9_564
; %bb.555:
	v_cvt_f32_f64_e32 v3, v[40:41]
	v_and_b32_e32 v7, 0x7fffffff, v3
	s_mov_b32 s2, 0x43f00000
	v_cmp_gt_u32_e32 vcc, s2, v7
                                        ; implicit-def: $vgpr6
	s_and_saveexec_b64 s[2:3], vcc
	s_xor_b64 s[2:3], exec, s[2:3]
	s_cbranch_execz .LBB9_561
; %bb.556:
	s_mov_b32 s4, 0x3c7fffff
	v_cmp_lt_u32_e32 vcc, s4, v7
                                        ; implicit-def: $vgpr6
	s_and_saveexec_b64 s[4:5], vcc
	s_xor_b64 s[4:5], exec, s[4:5]
; %bb.557:
	v_bfe_u32 v6, v3, 20, 1
	s_mov_b32 s6, 0x407ffff
	v_add3_u32 v6, v3, v6, s6
	v_lshrrev_b32_e32 v7, 20, v6
	v_and_b32_e32 v6, 0xff00000, v6
	s_mov_b32 s6, 0x7f00000
	v_mov_b32_e32 v8, 0x7e
	v_cmp_ne_u32_e32 vcc, s6, v6
	s_nop 1
	v_cndmask_b32_e32 v6, v8, v7, vcc
; %bb.558:
	s_andn2_saveexec_b64 s[4:5], s[4:5]
; %bb.559:
	s_mov_b32 s6, 0x46800000
	v_add_f32_e64 v6, |v3|, s6
; %bb.560:
	s_or_b64 exec, exec, s[4:5]
                                        ; implicit-def: $vgpr7
.LBB9_561:
	s_andn2_saveexec_b64 s[2:3], s[2:3]
; %bb.562:
	s_mov_b32 s4, 0x7f800000
	v_mov_b32_e32 v6, 0x7e
	v_mov_b32_e32 v8, 0x7f
	v_cmp_lt_u32_e32 vcc, s4, v7
	s_nop 1
	v_cndmask_b32_e32 v6, v6, v8, vcc
; %bb.563:
	s_or_b64 exec, exec, s[2:3]
	v_lshrrev_b32_e32 v3, 24, v3
	s_movk_i32 s2, 0x80
	v_and_or_b32 v3, v3, s2, v6
	global_store_byte v[4:5], v3, off
.LBB9_564:
	s_mov_b64 s[2:3], 0
.LBB9_565:
	s_andn2_b64 vcc, exec, s[2:3]
	s_cbranch_vccnz .LBB9_575
; %bb.566:
	v_cvt_f32_f64_e32 v3, v[40:41]
	v_and_b32_e32 v7, 0x7fffffff, v3
	s_mov_b32 s2, 0x47800000
	v_cmp_gt_u32_e32 vcc, s2, v7
                                        ; implicit-def: $vgpr6
	s_and_saveexec_b64 s[2:3], vcc
	s_xor_b64 s[2:3], exec, s[2:3]
	s_cbranch_execz .LBB9_572
; %bb.567:
	s_mov_b32 s4, 0x387fffff
	v_cmp_lt_u32_e32 vcc, s4, v7
                                        ; implicit-def: $vgpr6
	s_and_saveexec_b64 s[4:5], vcc
	s_xor_b64 s[4:5], exec, s[4:5]
; %bb.568:
	v_bfe_u32 v6, v3, 21, 1
	s_mov_b32 s6, 0x80fffff
	v_add3_u32 v6, v3, v6, s6
	v_lshrrev_b32_e32 v6, 21, v6
; %bb.569:
	s_andn2_saveexec_b64 s[4:5], s[4:5]
; %bb.570:
	s_mov_b32 s6, 0x43000000
	v_add_f32_e64 v6, |v3|, s6
; %bb.571:
	s_or_b64 exec, exec, s[4:5]
                                        ; implicit-def: $vgpr7
.LBB9_572:
	s_andn2_saveexec_b64 s[2:3], s[2:3]
; %bb.573:
	s_mov_b32 s4, 0x7f800000
	v_mov_b32_e32 v6, 0x7c
	v_mov_b32_e32 v8, 0x7f
	v_cmp_lt_u32_e32 vcc, s4, v7
	s_nop 1
	v_cndmask_b32_e32 v6, v6, v8, vcc
; %bb.574:
	s_or_b64 exec, exec, s[2:3]
	v_lshrrev_b32_e32 v3, 24, v3
	s_movk_i32 s2, 0x80
	v_and_or_b32 v3, v3, s2, v6
	global_store_byte v[4:5], v3, off
.LBB9_575:
	s_mov_b64 s[2:3], 0
	s_mov_b64 s[6:7], -1
.LBB9_576:
	s_andn2_b64 vcc, exec, s[2:3]
	s_mov_b64 s[4:5], 0
	s_cbranch_vccnz .LBB9_583
; %bb.577:
	s_cmp_gt_i32 s10, 14
	s_mov_b64 s[2:3], -1
	s_cbranch_scc0 .LBB9_581
; %bb.578:
	s_cmp_eq_u32 s10, 15
	s_mov_b64 s[0:1], -1
	s_cbranch_scc0 .LBB9_580
; %bb.579:
	v_cvt_f32_f64_e32 v3, v[40:41]
	v_bfe_u32 v6, v3, 16, 1
	s_movk_i32 s0, 0x7fff
	v_add3_u32 v6, v3, v6, s0
	v_cmp_o_f32_e32 vcc, v3, v3
	v_mov_b32_e32 v3, 0x7fc0
	s_mov_b64 s[0:1], 0
	v_cndmask_b32_sdwa v3, v3, v6, vcc dst_sel:DWORD dst_unused:UNUSED_PAD src0_sel:DWORD src1_sel:WORD_1
	global_store_short v[4:5], v3, off
	s_mov_b64 s[6:7], -1
.LBB9_580:
	s_mov_b64 s[2:3], 0
.LBB9_581:
	s_and_b64 vcc, exec, s[2:3]
	s_cbranch_vccz .LBB9_583
; %bb.582:
	s_cmp_lg_u32 s10, 11
	s_mov_b64 s[4:5], -1
	s_cselect_b64 s[0:1], -1, 0
.LBB9_583:
	s_and_b64 vcc, exec, s[0:1]
	s_mov_b64 s[2:3], s[50:51]
	s_cbranch_vccnz .LBB9_987
; %bb.584:
	s_andn2_b64 vcc, exec, s[4:5]
	s_cbranch_vccnz .LBB9_586
.LBB9_585:
	v_cmp_neq_f64_e32 vcc, 0, v[40:41]
	s_mov_b64 s[6:7], -1
	s_nop 0
	v_cndmask_b32_e64 v3, 0, 1, vcc
	global_store_byte v[4:5], v3, off
.LBB9_586:
.LBB9_587:
	s_andn2_b64 vcc, exec, s[6:7]
	s_cbranch_vccz .LBB9_627
	s_branch .LBB9_939
.LBB9_588:
	s_mov_b64 s[6:7], 0
	s_mov_b64 s[2:3], s[50:51]
	s_cbranch_execz .LBB9_587
; %bb.589:
	s_and_b32 s4, 0xffff, s12
	s_cmp_lt_i32 s4, 5
	s_mov_b64 s[0:1], -1
	s_cbranch_scc1 .LBB9_610
; %bb.590:
	s_cmp_lt_i32 s4, 8
	s_cbranch_scc1 .LBB9_600
; %bb.591:
	s_cmp_lt_i32 s4, 9
	s_cbranch_scc1 .LBB9_597
; %bb.592:
	s_cmp_gt_i32 s4, 9
	s_cbranch_scc0 .LBB9_594
; %bb.593:
	v_mov_b32_e32 v42, 0
	v_mov_b32_e32 v43, v42
	global_store_dwordx4 v[4:5], v[40:43], off
	s_mov_b64 s[0:1], 0
.LBB9_594:
	s_andn2_b64 vcc, exec, s[0:1]
	s_cbranch_vccnz .LBB9_596
; %bb.595:
	v_cvt_f32_f64_e32 v6, v[40:41]
	v_mov_b32_e32 v7, 0
	global_store_dwordx2 v[4:5], v[6:7], off
.LBB9_596:
	s_mov_b64 s[0:1], 0
.LBB9_597:
	s_andn2_b64 vcc, exec, s[0:1]
	s_cbranch_vccnz .LBB9_599
; %bb.598:
	s_movk_i32 s0, 0x1ff
	v_and_or_b32 v3, v41, s0, v40
	v_cmp_ne_u32_e32 vcc, 0, v3
	v_lshrrev_b32_e32 v6, 8, v41
	s_movk_i32 s0, 0xffe
	v_cndmask_b32_e64 v3, 0, 1, vcc
	v_bfe_u32 v7, v41, 20, 11
	v_and_or_b32 v3, v6, s0, v3
	v_sub_u32_e32 v8, 0x3f1, v7
	v_or_b32_e32 v6, 0x1000, v3
	v_med3_i32 v8, v8, 0, 13
	v_lshrrev_b32_e32 v9, v8, v6
	v_lshlrev_b32_e32 v8, v8, v9
	v_cmp_ne_u32_e32 vcc, v8, v6
	v_add_u32_e32 v7, 0xfffffc10, v7
	v_lshl_or_b32 v8, v7, 12, v3
	v_cndmask_b32_e64 v6, 0, 1, vcc
	v_or_b32_e32 v6, v9, v6
	v_cmp_gt_i32_e32 vcc, 1, v7
	s_movk_i32 s0, 0x40f
	s_nop 0
	v_cndmask_b32_e32 v6, v8, v6, vcc
	v_and_b32_e32 v8, 7, v6
	v_cmp_lt_i32_e32 vcc, 5, v8
	v_lshrrev_b32_e32 v6, 2, v6
	s_nop 0
	v_cndmask_b32_e64 v9, 0, 1, vcc
	v_cmp_eq_u32_e32 vcc, 3, v8
	s_nop 1
	v_cndmask_b32_e64 v8, 0, 1, vcc
	v_or_b32_e32 v8, v8, v9
	v_add_u32_e32 v6, v6, v8
	v_mov_b32_e32 v8, 0x7c00
	v_cmp_gt_i32_e32 vcc, 31, v7
	v_mov_b32_e32 v9, 0x7e00
	s_nop 0
	v_cndmask_b32_e32 v6, v8, v6, vcc
	v_cmp_ne_u32_e32 vcc, 0, v3
	s_nop 1
	v_cndmask_b32_e32 v3, v8, v9, vcc
	v_cmp_eq_u32_e32 vcc, s0, v7
	s_mov_b32 s0, 0x8000
	s_nop 0
	v_cndmask_b32_e32 v3, v6, v3, vcc
	v_and_b32_sdwa v6, v41, s0 dst_sel:DWORD dst_unused:UNUSED_PAD src0_sel:WORD_1 src1_sel:DWORD
	s_mov_b32 s0, 0xffff
	v_bitop3_b32 v3, v6, s0, v3 bitop3:0xc8
	global_store_dword v[4:5], v3, off
.LBB9_599:
	s_mov_b64 s[0:1], 0
.LBB9_600:
	s_andn2_b64 vcc, exec, s[0:1]
	s_cbranch_vccnz .LBB9_609
; %bb.601:
	s_cmp_lt_i32 s4, 6
	s_mov_b64 s[0:1], -1
	s_cbranch_scc1 .LBB9_607
; %bb.602:
	s_cmp_gt_i32 s4, 6
	s_cbranch_scc0 .LBB9_604
; %bb.603:
	global_store_dwordx2 v[4:5], v[40:41], off
	s_mov_b64 s[0:1], 0
.LBB9_604:
	s_andn2_b64 vcc, exec, s[0:1]
	s_cbranch_vccnz .LBB9_606
; %bb.605:
	v_cvt_f32_f64_e32 v3, v[40:41]
	global_store_dword v[4:5], v3, off
.LBB9_606:
	s_mov_b64 s[0:1], 0
.LBB9_607:
	s_andn2_b64 vcc, exec, s[0:1]
	s_cbranch_vccnz .LBB9_609
; %bb.608:
	s_movk_i32 s0, 0x1ff
	v_and_or_b32 v3, v41, s0, v40
	v_cmp_ne_u32_e32 vcc, 0, v3
	v_lshrrev_b32_e32 v6, 8, v41
	s_movk_i32 s0, 0xffe
	v_cndmask_b32_e64 v3, 0, 1, vcc
	v_bfe_u32 v7, v41, 20, 11
	v_and_or_b32 v3, v6, s0, v3
	v_sub_u32_e32 v8, 0x3f1, v7
	v_or_b32_e32 v6, 0x1000, v3
	v_med3_i32 v8, v8, 0, 13
	v_lshrrev_b32_e32 v9, v8, v6
	v_lshlrev_b32_e32 v8, v8, v9
	v_cmp_ne_u32_e32 vcc, v8, v6
	v_add_u32_e32 v7, 0xfffffc10, v7
	v_lshl_or_b32 v8, v7, 12, v3
	v_cndmask_b32_e64 v6, 0, 1, vcc
	v_or_b32_e32 v6, v9, v6
	v_cmp_gt_i32_e32 vcc, 1, v7
	s_movk_i32 s0, 0x40f
	s_nop 0
	v_cndmask_b32_e32 v6, v8, v6, vcc
	v_and_b32_e32 v8, 7, v6
	v_cmp_lt_i32_e32 vcc, 5, v8
	v_lshrrev_b32_e32 v6, 2, v6
	s_nop 0
	v_cndmask_b32_e64 v9, 0, 1, vcc
	v_cmp_eq_u32_e32 vcc, 3, v8
	s_nop 1
	v_cndmask_b32_e64 v8, 0, 1, vcc
	v_or_b32_e32 v8, v8, v9
	v_add_u32_e32 v6, v6, v8
	v_mov_b32_e32 v8, 0x7c00
	v_cmp_gt_i32_e32 vcc, 31, v7
	v_mov_b32_e32 v9, 0x7e00
	s_nop 0
	v_cndmask_b32_e32 v6, v8, v6, vcc
	v_cmp_ne_u32_e32 vcc, 0, v3
	s_nop 1
	v_cndmask_b32_e32 v3, v8, v9, vcc
	v_cmp_eq_u32_e32 vcc, s0, v7
	s_mov_b32 s0, 0x8000
	s_nop 0
	v_cndmask_b32_e32 v3, v6, v3, vcc
	v_lshrrev_b32_e32 v6, 16, v41
	v_and_or_b32 v3, v6, s0, v3
	global_store_short v[4:5], v3, off
.LBB9_609:
	s_mov_b64 s[0:1], 0
.LBB9_610:
	s_andn2_b64 vcc, exec, s[0:1]
	s_cbranch_vccnz .LBB9_626
; %bb.611:
	s_cmp_lt_i32 s4, 2
	s_mov_b64 s[0:1], -1
	s_cbranch_scc1 .LBB9_621
; %bb.612:
	s_cmp_lt_i32 s4, 3
	s_cbranch_scc1 .LBB9_618
; %bb.613:
	s_cmp_gt_i32 s4, 3
	s_cbranch_scc0 .LBB9_615
; %bb.614:
	v_trunc_f64_e32 v[6:7], v[40:41]
	s_movk_i32 s0, 0xffe0
	v_ldexp_f64 v[8:9], v[6:7], s0
	v_floor_f64_e32 v[8:9], v[8:9]
	v_fmac_f64_e32 v[6:7], 0xc1f00000, v[8:9]
	v_cvt_i32_f64_e32 v11, v[8:9]
	v_cvt_u32_f64_e32 v10, v[6:7]
	global_store_dwordx2 v[4:5], v[10:11], off
	s_mov_b64 s[0:1], 0
.LBB9_615:
	s_andn2_b64 vcc, exec, s[0:1]
	s_cbranch_vccnz .LBB9_617
; %bb.616:
	v_cvt_i32_f64_e32 v3, v[40:41]
	global_store_dword v[4:5], v3, off
.LBB9_617:
	s_mov_b64 s[0:1], 0
.LBB9_618:
	s_andn2_b64 vcc, exec, s[0:1]
	s_cbranch_vccnz .LBB9_620
; %bb.619:
	v_cvt_i32_f64_e32 v3, v[40:41]
	global_store_short v[4:5], v3, off
.LBB9_620:
	s_mov_b64 s[0:1], 0
.LBB9_621:
	s_andn2_b64 vcc, exec, s[0:1]
	s_cbranch_vccnz .LBB9_626
; %bb.622:
	s_cmp_gt_i32 s4, 0
	s_mov_b64 s[0:1], -1
	s_cbranch_scc0 .LBB9_624
; %bb.623:
	v_cvt_i32_f64_e32 v3, v[40:41]
	global_store_byte v[4:5], v3, off
	s_mov_b64 s[0:1], 0
.LBB9_624:
	s_andn2_b64 vcc, exec, s[0:1]
	s_cbranch_vccnz .LBB9_626
; %bb.625:
	v_trunc_f64_e32 v[6:7], v[40:41]
	s_movk_i32 s0, 0xffe0
	v_ldexp_f64 v[8:9], v[6:7], s0
	v_floor_f64_e32 v[8:9], v[8:9]
	v_fmac_f64_e32 v[6:7], 0xc1f00000, v[8:9]
	v_cvt_u32_f64_e32 v3, v[6:7]
	global_store_byte v[4:5], v3, off
.LBB9_626:
.LBB9_627:
	s_lshl_b32 s13, s34, 7
	v_add_u32_e32 v2, s13, v2
	v_ashrrev_i32_e32 v3, 31, v2
	s_cmp_lt_i32 s12, 11
	v_lshl_add_u64 v[4:5], s[36:37], 0, v[2:3]
	s_cbranch_scc1 .LBB9_706
; %bb.628:
	s_and_b32 s14, 0xffff, s12
	s_mov_b64 s[8:9], -1
	s_mov_b64 s[4:5], 0
	s_cmp_gt_i32 s14, 25
	s_mov_b64 s[6:7], 0
	s_mov_b64 s[0:1], 0
	s_cbranch_scc0 .LBB9_661
; %bb.629:
	s_cmp_gt_i32 s14, 28
	s_cbranch_scc0 .LBB9_644
; %bb.630:
	s_cmp_gt_i32 s14, 43
	;; [unrolled: 3-line block ×3, first 2 shown]
	s_cbranch_scc0 .LBB9_634
; %bb.632:
	s_mov_b64 s[0:1], -1
	s_mov_b64 s[8:9], 0
	s_cmp_eq_u32 s14, 46
	s_cbranch_scc0 .LBB9_634
; %bb.633:
	v_cvt_f32_f64_e32 v3, v[38:39]
	v_bfe_u32 v6, v3, 16, 1
	s_movk_i32 s0, 0x7fff
	v_add3_u32 v6, v3, v6, s0
	v_cmp_o_f32_e32 vcc, v3, v3
	v_mov_b32_e32 v3, 0x7fc0
	s_mov_b64 s[0:1], 0
	v_cndmask_b32_sdwa v3, v3, v6, vcc dst_sel:DWORD dst_unused:UNUSED_PAD src0_sel:DWORD src1_sel:WORD_1
	global_store_dword v[4:5], v3, off
	s_mov_b64 s[6:7], -1
.LBB9_634:
	s_and_b64 vcc, exec, s[8:9]
	s_cbranch_vccz .LBB9_639
; %bb.635:
	s_cmp_eq_u32 s14, 44
	s_mov_b64 s[0:1], -1
	s_cbranch_scc0 .LBB9_639
; %bb.636:
	v_cvt_f32_f64_e32 v3, v[38:39]
	v_bfe_u32 v6, v3, 23, 8
	s_movk_i32 s0, 0xff
	v_cmp_ne_u32_e32 vcc, s0, v6
	v_mov_b32_e32 v7, 0xff
	s_and_saveexec_b64 s[6:7], vcc
; %bb.637:
	s_mov_b32 s0, 0x3fffff
	v_lshrrev_b32_e32 v7, 23, v3
	v_and_b32_e32 v8, 0x400000, v3
	v_and_or_b32 v3, v3, s0, v6
	v_cmp_ne_u32_e32 vcc, 0, v8
	v_cmp_ne_u32_e64 s[0:1], 0, v3
	s_and_b64 s[0:1], vcc, s[0:1]
	s_nop 0
	v_cndmask_b32_e64 v3, 0, 1, s[0:1]
	v_add_u32_e32 v7, v7, v3
; %bb.638:
	s_or_b64 exec, exec, s[6:7]
	s_mov_b64 s[0:1], 0
	s_mov_b64 s[6:7], -1
	global_store_byte v[4:5], v7, off
.LBB9_639:
	s_mov_b64 s[8:9], 0
.LBB9_640:
	s_and_b64 vcc, exec, s[8:9]
	s_cbranch_vccz .LBB9_643
; %bb.641:
	s_cmp_eq_u32 s14, 29
	s_mov_b64 s[0:1], -1
	s_cbranch_scc0 .LBB9_643
; %bb.642:
	v_trunc_f64_e32 v[6:7], v[38:39]
	s_movk_i32 s0, 0xffe0
	v_ldexp_f64 v[8:9], v[6:7], s0
	v_floor_f64_e32 v[8:9], v[8:9]
	v_fmac_f64_e32 v[6:7], 0xc1f00000, v[8:9]
	v_cvt_u32_f64_e32 v11, v[8:9]
	v_cvt_u32_f64_e32 v10, v[6:7]
	global_store_dwordx2 v[4:5], v[10:11], off
	s_mov_b64 s[0:1], 0
	s_mov_b64 s[6:7], -1
.LBB9_643:
	s_mov_b64 s[8:9], 0
.LBB9_644:
	s_and_b64 vcc, exec, s[8:9]
	s_cbranch_vccz .LBB9_660
; %bb.645:
	s_cmp_lt_i32 s14, 27
	s_mov_b64 s[6:7], -1
	s_cbranch_scc1 .LBB9_651
; %bb.646:
	s_cmp_gt_i32 s14, 27
	v_cvt_u32_f64_e32 v3, v[38:39]
	s_cbranch_scc0 .LBB9_648
; %bb.647:
	s_mov_b64 s[6:7], 0
	global_store_dword v[4:5], v3, off
.LBB9_648:
	s_andn2_b64 vcc, exec, s[6:7]
	s_cbranch_vccnz .LBB9_650
; %bb.649:
	global_store_short v[4:5], v3, off
.LBB9_650:
	s_mov_b64 s[6:7], 0
.LBB9_651:
	s_andn2_b64 vcc, exec, s[6:7]
	s_cbranch_vccnz .LBB9_659
; %bb.652:
	v_cvt_f32_f64_e32 v3, v[38:39]
	v_and_b32_e32 v6, 0x7fffffff, v3
	s_mov_b32 s6, 0x43800000
	v_cmp_gt_u32_e32 vcc, s6, v6
	v_mov_b32_e32 v7, 0x80
	s_and_saveexec_b64 s[6:7], vcc
	s_cbranch_execz .LBB9_658
; %bb.653:
	s_mov_b32 s8, 0x3bffffff
	v_cmp_lt_u32_e32 vcc, s8, v6
	s_mov_b64 s[8:9], 0
                                        ; implicit-def: $vgpr6
	s_and_saveexec_b64 s[10:11], vcc
	s_xor_b64 s[10:11], exec, s[10:11]
	s_cbranch_execz .LBB9_990
; %bb.654:
	v_bfe_u32 v6, v3, 20, 1
	s_mov_b32 s15, 0x487ffff
	v_add3_u32 v6, v3, v6, s15
	s_mov_b64 s[8:9], exec
	v_lshrrev_b32_e32 v6, 20, v6
	s_andn2_saveexec_b64 s[10:11], s[10:11]
	s_cbranch_execnz .LBB9_991
.LBB9_655:
	s_or_b64 exec, exec, s[10:11]
	v_mov_b32_e32 v7, 0
	s_and_saveexec_b64 s[10:11], s[8:9]
.LBB9_656:
	v_lshrrev_b32_e32 v3, 24, v3
	s_movk_i32 s8, 0x80
	v_and_or_b32 v7, v3, s8, v6
.LBB9_657:
	s_or_b64 exec, exec, s[10:11]
.LBB9_658:
	s_or_b64 exec, exec, s[6:7]
	global_store_byte v[4:5], v7, off
.LBB9_659:
	s_mov_b64 s[6:7], -1
.LBB9_660:
	s_mov_b64 s[8:9], 0
.LBB9_661:
	s_and_b64 vcc, exec, s[8:9]
	s_cbranch_vccz .LBB9_701
; %bb.662:
	s_cmp_gt_i32 s14, 22
	s_mov_b64 s[4:5], -1
	s_cbranch_scc0 .LBB9_694
; %bb.663:
	s_cmp_lt_i32 s14, 24
	s_cbranch_scc1 .LBB9_683
; %bb.664:
	s_cmp_gt_i32 s14, 24
	s_cbranch_scc0 .LBB9_672
; %bb.665:
	v_cvt_f32_f64_e32 v3, v[38:39]
	v_and_b32_e32 v6, 0x7fffffff, v3
	s_mov_b32 s4, 0x47800000
	v_cmp_gt_u32_e32 vcc, s4, v6
	v_mov_b32_e32 v7, 0x80
	s_and_saveexec_b64 s[4:5], vcc
	s_cbranch_execz .LBB9_671
; %bb.666:
	s_mov_b32 s6, 0x37ffffff
	v_cmp_lt_u32_e32 vcc, s6, v6
	s_mov_b64 s[6:7], 0
                                        ; implicit-def: $vgpr6
	s_and_saveexec_b64 s[8:9], vcc
	s_xor_b64 s[8:9], exec, s[8:9]
	s_cbranch_execz .LBB9_993
; %bb.667:
	v_bfe_u32 v6, v3, 21, 1
	s_mov_b32 s10, 0x88fffff
	v_add3_u32 v6, v3, v6, s10
	s_mov_b64 s[6:7], exec
	v_lshrrev_b32_e32 v6, 21, v6
	s_andn2_saveexec_b64 s[8:9], s[8:9]
	s_cbranch_execnz .LBB9_994
.LBB9_668:
	s_or_b64 exec, exec, s[8:9]
	v_mov_b32_e32 v7, 0
	s_and_saveexec_b64 s[8:9], s[6:7]
.LBB9_669:
	v_lshrrev_b32_e32 v3, 24, v3
	s_movk_i32 s6, 0x80
	v_and_or_b32 v7, v3, s6, v6
.LBB9_670:
	s_or_b64 exec, exec, s[8:9]
.LBB9_671:
	s_or_b64 exec, exec, s[4:5]
	s_mov_b64 s[4:5], 0
	global_store_byte v[4:5], v7, off
.LBB9_672:
	s_and_b64 vcc, exec, s[4:5]
	s_cbranch_vccz .LBB9_682
; %bb.673:
	v_cvt_f32_f64_e32 v3, v[38:39]
	v_and_b32_e32 v7, 0x7fffffff, v3
	s_mov_b32 s4, 0x43f00000
	v_cmp_gt_u32_e32 vcc, s4, v7
                                        ; implicit-def: $vgpr6
	s_and_saveexec_b64 s[4:5], vcc
	s_xor_b64 s[4:5], exec, s[4:5]
	s_cbranch_execz .LBB9_679
; %bb.674:
	s_mov_b32 s6, 0x3c7fffff
	v_cmp_lt_u32_e32 vcc, s6, v7
                                        ; implicit-def: $vgpr6
	s_and_saveexec_b64 s[6:7], vcc
	s_xor_b64 s[6:7], exec, s[6:7]
; %bb.675:
	v_bfe_u32 v6, v3, 20, 1
	s_mov_b32 s8, 0x407ffff
	v_add3_u32 v6, v3, v6, s8
	v_lshrrev_b32_e32 v7, 20, v6
	v_and_b32_e32 v6, 0xff00000, v6
	s_mov_b32 s8, 0x7f00000
	v_mov_b32_e32 v8, 0x7e
	v_cmp_ne_u32_e32 vcc, s8, v6
	s_nop 1
	v_cndmask_b32_e32 v6, v8, v7, vcc
; %bb.676:
	s_andn2_saveexec_b64 s[6:7], s[6:7]
; %bb.677:
	s_mov_b32 s8, 0x46800000
	v_add_f32_e64 v6, |v3|, s8
; %bb.678:
	s_or_b64 exec, exec, s[6:7]
                                        ; implicit-def: $vgpr7
.LBB9_679:
	s_andn2_saveexec_b64 s[4:5], s[4:5]
; %bb.680:
	s_mov_b32 s6, 0x7f800000
	v_mov_b32_e32 v6, 0x7e
	v_mov_b32_e32 v8, 0x7f
	v_cmp_lt_u32_e32 vcc, s6, v7
	s_nop 1
	v_cndmask_b32_e32 v6, v6, v8, vcc
; %bb.681:
	s_or_b64 exec, exec, s[4:5]
	v_lshrrev_b32_e32 v3, 24, v3
	s_movk_i32 s4, 0x80
	v_and_or_b32 v3, v3, s4, v6
	global_store_byte v[4:5], v3, off
.LBB9_682:
	s_mov_b64 s[4:5], 0
.LBB9_683:
	s_andn2_b64 vcc, exec, s[4:5]
	s_cbranch_vccnz .LBB9_693
; %bb.684:
	v_cvt_f32_f64_e32 v3, v[38:39]
	v_and_b32_e32 v7, 0x7fffffff, v3
	s_mov_b32 s4, 0x47800000
	v_cmp_gt_u32_e32 vcc, s4, v7
                                        ; implicit-def: $vgpr6
	s_and_saveexec_b64 s[4:5], vcc
	s_xor_b64 s[4:5], exec, s[4:5]
	s_cbranch_execz .LBB9_690
; %bb.685:
	s_mov_b32 s6, 0x387fffff
	v_cmp_lt_u32_e32 vcc, s6, v7
                                        ; implicit-def: $vgpr6
	s_and_saveexec_b64 s[6:7], vcc
	s_xor_b64 s[6:7], exec, s[6:7]
; %bb.686:
	v_bfe_u32 v6, v3, 21, 1
	s_mov_b32 s8, 0x80fffff
	v_add3_u32 v6, v3, v6, s8
	v_lshrrev_b32_e32 v6, 21, v6
; %bb.687:
	s_andn2_saveexec_b64 s[6:7], s[6:7]
; %bb.688:
	s_mov_b32 s8, 0x43000000
	v_add_f32_e64 v6, |v3|, s8
; %bb.689:
	s_or_b64 exec, exec, s[6:7]
                                        ; implicit-def: $vgpr7
.LBB9_690:
	s_andn2_saveexec_b64 s[4:5], s[4:5]
; %bb.691:
	s_mov_b32 s6, 0x7f800000
	v_mov_b32_e32 v6, 0x7c
	v_mov_b32_e32 v8, 0x7f
	v_cmp_lt_u32_e32 vcc, s6, v7
	s_nop 1
	v_cndmask_b32_e32 v6, v6, v8, vcc
; %bb.692:
	s_or_b64 exec, exec, s[4:5]
	v_lshrrev_b32_e32 v3, 24, v3
	s_movk_i32 s4, 0x80
	v_and_or_b32 v3, v3, s4, v6
	global_store_byte v[4:5], v3, off
.LBB9_693:
	s_mov_b64 s[4:5], 0
	s_mov_b64 s[6:7], -1
.LBB9_694:
	s_andn2_b64 vcc, exec, s[4:5]
	s_mov_b64 s[4:5], 0
	s_cbranch_vccnz .LBB9_701
; %bb.695:
	s_cmp_gt_i32 s14, 14
	s_mov_b64 s[8:9], -1
	s_cbranch_scc0 .LBB9_699
; %bb.696:
	s_cmp_eq_u32 s14, 15
	s_mov_b64 s[0:1], -1
	s_cbranch_scc0 .LBB9_698
; %bb.697:
	v_cvt_f32_f64_e32 v3, v[38:39]
	v_bfe_u32 v6, v3, 16, 1
	s_movk_i32 s0, 0x7fff
	v_add3_u32 v6, v3, v6, s0
	v_cmp_o_f32_e32 vcc, v3, v3
	v_mov_b32_e32 v3, 0x7fc0
	s_mov_b64 s[0:1], 0
	v_cndmask_b32_sdwa v3, v3, v6, vcc dst_sel:DWORD dst_unused:UNUSED_PAD src0_sel:DWORD src1_sel:WORD_1
	global_store_short v[4:5], v3, off
	s_mov_b64 s[6:7], -1
.LBB9_698:
	s_mov_b64 s[8:9], 0
.LBB9_699:
	s_and_b64 vcc, exec, s[8:9]
	s_cbranch_vccz .LBB9_701
; %bb.700:
	s_cmp_lg_u32 s14, 11
	s_mov_b64 s[4:5], -1
	s_cselect_b64 s[0:1], -1, 0
.LBB9_701:
	s_and_b64 vcc, exec, s[0:1]
	s_cbranch_vccnz .LBB9_992
; %bb.702:
	s_andn2_b64 vcc, exec, s[4:5]
	s_cbranch_vccnz .LBB9_704
.LBB9_703:
	v_cmp_neq_f64_e32 vcc, 0, v[38:39]
	s_mov_b64 s[6:7], -1
	s_nop 0
	v_cndmask_b32_e64 v3, 0, 1, vcc
	global_store_byte v[4:5], v3, off
.LBB9_704:
.LBB9_705:
	s_andn2_b64 vcc, exec, s[6:7]
	s_cbranch_vccz .LBB9_745
	s_branch .LBB9_939
.LBB9_706:
	s_mov_b64 s[6:7], 0
	s_cbranch_execz .LBB9_705
; %bb.707:
	s_and_b32 s4, 0xffff, s12
	s_cmp_lt_i32 s4, 5
	s_mov_b64 s[0:1], -1
	s_cbranch_scc1 .LBB9_728
; %bb.708:
	s_cmp_lt_i32 s4, 8
	s_cbranch_scc1 .LBB9_718
; %bb.709:
	s_cmp_lt_i32 s4, 9
	s_cbranch_scc1 .LBB9_715
; %bb.710:
	s_cmp_gt_i32 s4, 9
	s_cbranch_scc0 .LBB9_712
; %bb.711:
	v_mov_b32_e32 v40, 0
	v_mov_b32_e32 v41, v40
	global_store_dwordx4 v[4:5], v[38:41], off
	s_mov_b64 s[0:1], 0
.LBB9_712:
	s_andn2_b64 vcc, exec, s[0:1]
	s_cbranch_vccnz .LBB9_714
; %bb.713:
	v_cvt_f32_f64_e32 v6, v[38:39]
	v_mov_b32_e32 v7, 0
	global_store_dwordx2 v[4:5], v[6:7], off
.LBB9_714:
	s_mov_b64 s[0:1], 0
.LBB9_715:
	s_andn2_b64 vcc, exec, s[0:1]
	s_cbranch_vccnz .LBB9_717
; %bb.716:
	s_movk_i32 s0, 0x1ff
	v_and_or_b32 v3, v39, s0, v38
	v_cmp_ne_u32_e32 vcc, 0, v3
	v_lshrrev_b32_e32 v6, 8, v39
	s_movk_i32 s0, 0xffe
	v_cndmask_b32_e64 v3, 0, 1, vcc
	v_bfe_u32 v7, v39, 20, 11
	v_and_or_b32 v3, v6, s0, v3
	v_sub_u32_e32 v8, 0x3f1, v7
	v_or_b32_e32 v6, 0x1000, v3
	v_med3_i32 v8, v8, 0, 13
	v_lshrrev_b32_e32 v9, v8, v6
	v_lshlrev_b32_e32 v8, v8, v9
	v_cmp_ne_u32_e32 vcc, v8, v6
	v_add_u32_e32 v7, 0xfffffc10, v7
	v_lshl_or_b32 v8, v7, 12, v3
	v_cndmask_b32_e64 v6, 0, 1, vcc
	v_or_b32_e32 v6, v9, v6
	v_cmp_gt_i32_e32 vcc, 1, v7
	s_movk_i32 s0, 0x40f
	s_nop 0
	v_cndmask_b32_e32 v6, v8, v6, vcc
	v_and_b32_e32 v8, 7, v6
	v_cmp_lt_i32_e32 vcc, 5, v8
	v_lshrrev_b32_e32 v6, 2, v6
	s_nop 0
	v_cndmask_b32_e64 v9, 0, 1, vcc
	v_cmp_eq_u32_e32 vcc, 3, v8
	s_nop 1
	v_cndmask_b32_e64 v8, 0, 1, vcc
	v_or_b32_e32 v8, v8, v9
	v_add_u32_e32 v6, v6, v8
	v_mov_b32_e32 v8, 0x7c00
	v_cmp_gt_i32_e32 vcc, 31, v7
	v_mov_b32_e32 v9, 0x7e00
	s_nop 0
	v_cndmask_b32_e32 v6, v8, v6, vcc
	v_cmp_ne_u32_e32 vcc, 0, v3
	s_nop 1
	v_cndmask_b32_e32 v3, v8, v9, vcc
	v_cmp_eq_u32_e32 vcc, s0, v7
	s_mov_b32 s0, 0x8000
	s_nop 0
	v_cndmask_b32_e32 v3, v6, v3, vcc
	v_and_b32_sdwa v6, v39, s0 dst_sel:DWORD dst_unused:UNUSED_PAD src0_sel:WORD_1 src1_sel:DWORD
	s_mov_b32 s0, 0xffff
	v_bitop3_b32 v3, v6, s0, v3 bitop3:0xc8
	global_store_dword v[4:5], v3, off
.LBB9_717:
	s_mov_b64 s[0:1], 0
.LBB9_718:
	s_andn2_b64 vcc, exec, s[0:1]
	s_cbranch_vccnz .LBB9_727
; %bb.719:
	s_cmp_lt_i32 s4, 6
	s_mov_b64 s[0:1], -1
	s_cbranch_scc1 .LBB9_725
; %bb.720:
	s_cmp_gt_i32 s4, 6
	s_cbranch_scc0 .LBB9_722
; %bb.721:
	global_store_dwordx2 v[4:5], v[38:39], off
	s_mov_b64 s[0:1], 0
.LBB9_722:
	s_andn2_b64 vcc, exec, s[0:1]
	s_cbranch_vccnz .LBB9_724
; %bb.723:
	v_cvt_f32_f64_e32 v3, v[38:39]
	global_store_dword v[4:5], v3, off
.LBB9_724:
	s_mov_b64 s[0:1], 0
.LBB9_725:
	s_andn2_b64 vcc, exec, s[0:1]
	s_cbranch_vccnz .LBB9_727
; %bb.726:
	s_movk_i32 s0, 0x1ff
	v_and_or_b32 v3, v39, s0, v38
	v_cmp_ne_u32_e32 vcc, 0, v3
	v_lshrrev_b32_e32 v6, 8, v39
	s_movk_i32 s0, 0xffe
	v_cndmask_b32_e64 v3, 0, 1, vcc
	v_bfe_u32 v7, v39, 20, 11
	v_and_or_b32 v3, v6, s0, v3
	v_sub_u32_e32 v8, 0x3f1, v7
	v_or_b32_e32 v6, 0x1000, v3
	v_med3_i32 v8, v8, 0, 13
	v_lshrrev_b32_e32 v9, v8, v6
	v_lshlrev_b32_e32 v8, v8, v9
	v_cmp_ne_u32_e32 vcc, v8, v6
	v_add_u32_e32 v7, 0xfffffc10, v7
	v_lshl_or_b32 v8, v7, 12, v3
	v_cndmask_b32_e64 v6, 0, 1, vcc
	v_or_b32_e32 v6, v9, v6
	v_cmp_gt_i32_e32 vcc, 1, v7
	s_movk_i32 s0, 0x40f
	s_nop 0
	v_cndmask_b32_e32 v6, v8, v6, vcc
	v_and_b32_e32 v8, 7, v6
	v_cmp_lt_i32_e32 vcc, 5, v8
	v_lshrrev_b32_e32 v6, 2, v6
	s_nop 0
	v_cndmask_b32_e64 v9, 0, 1, vcc
	v_cmp_eq_u32_e32 vcc, 3, v8
	s_nop 1
	v_cndmask_b32_e64 v8, 0, 1, vcc
	v_or_b32_e32 v8, v8, v9
	v_add_u32_e32 v6, v6, v8
	v_mov_b32_e32 v8, 0x7c00
	v_cmp_gt_i32_e32 vcc, 31, v7
	v_mov_b32_e32 v9, 0x7e00
	s_nop 0
	v_cndmask_b32_e32 v6, v8, v6, vcc
	v_cmp_ne_u32_e32 vcc, 0, v3
	s_nop 1
	v_cndmask_b32_e32 v3, v8, v9, vcc
	v_cmp_eq_u32_e32 vcc, s0, v7
	s_mov_b32 s0, 0x8000
	s_nop 0
	v_cndmask_b32_e32 v3, v6, v3, vcc
	v_lshrrev_b32_e32 v6, 16, v39
	v_and_or_b32 v3, v6, s0, v3
	global_store_short v[4:5], v3, off
.LBB9_727:
	s_mov_b64 s[0:1], 0
.LBB9_728:
	s_andn2_b64 vcc, exec, s[0:1]
	s_cbranch_vccnz .LBB9_744
; %bb.729:
	s_cmp_lt_i32 s4, 2
	s_mov_b64 s[0:1], -1
	s_cbranch_scc1 .LBB9_739
; %bb.730:
	s_cmp_lt_i32 s4, 3
	s_cbranch_scc1 .LBB9_736
; %bb.731:
	s_cmp_gt_i32 s4, 3
	s_cbranch_scc0 .LBB9_733
; %bb.732:
	v_trunc_f64_e32 v[6:7], v[38:39]
	s_movk_i32 s0, 0xffe0
	v_ldexp_f64 v[8:9], v[6:7], s0
	v_floor_f64_e32 v[8:9], v[8:9]
	v_fmac_f64_e32 v[6:7], 0xc1f00000, v[8:9]
	v_cvt_i32_f64_e32 v11, v[8:9]
	v_cvt_u32_f64_e32 v10, v[6:7]
	global_store_dwordx2 v[4:5], v[10:11], off
	s_mov_b64 s[0:1], 0
.LBB9_733:
	s_andn2_b64 vcc, exec, s[0:1]
	s_cbranch_vccnz .LBB9_735
; %bb.734:
	v_cvt_i32_f64_e32 v3, v[38:39]
	global_store_dword v[4:5], v3, off
.LBB9_735:
	s_mov_b64 s[0:1], 0
.LBB9_736:
	s_andn2_b64 vcc, exec, s[0:1]
	s_cbranch_vccnz .LBB9_738
; %bb.737:
	v_cvt_i32_f64_e32 v3, v[38:39]
	global_store_short v[4:5], v3, off
.LBB9_738:
	s_mov_b64 s[0:1], 0
.LBB9_739:
	s_andn2_b64 vcc, exec, s[0:1]
	s_cbranch_vccnz .LBB9_744
; %bb.740:
	s_cmp_gt_i32 s4, 0
	s_mov_b64 s[0:1], -1
	s_cbranch_scc0 .LBB9_742
; %bb.741:
	v_cvt_i32_f64_e32 v3, v[38:39]
	global_store_byte v[4:5], v3, off
	s_mov_b64 s[0:1], 0
.LBB9_742:
	s_andn2_b64 vcc, exec, s[0:1]
	s_cbranch_vccnz .LBB9_744
; %bb.743:
	v_trunc_f64_e32 v[6:7], v[38:39]
	s_movk_i32 s0, 0xffe0
	v_ldexp_f64 v[8:9], v[6:7], s0
	v_floor_f64_e32 v[8:9], v[8:9]
	v_fmac_f64_e32 v[6:7], 0xc1f00000, v[8:9]
	v_cvt_u32_f64_e32 v3, v[6:7]
	global_store_byte v[4:5], v3, off
.LBB9_744:
.LBB9_745:
	v_add_u32_e32 v2, s13, v2
	v_ashrrev_i32_e32 v3, 31, v2
	s_cmp_lt_i32 s12, 11
	v_lshl_add_u64 v[4:5], s[36:37], 0, v[2:3]
	s_cbranch_scc1 .LBB9_900
; %bb.746:
	s_and_b32 s14, 0xffff, s12
	s_mov_b64 s[8:9], -1
	s_mov_b64 s[4:5], 0
	s_cmp_gt_i32 s14, 25
	s_mov_b64 s[6:7], 0
	s_mov_b64 s[0:1], 0
	s_cbranch_scc0 .LBB9_779
; %bb.747:
	s_cmp_gt_i32 s14, 28
	s_cbranch_scc0 .LBB9_762
; %bb.748:
	s_cmp_gt_i32 s14, 43
	;; [unrolled: 3-line block ×3, first 2 shown]
	s_cbranch_scc0 .LBB9_752
; %bb.750:
	s_mov_b64 s[0:1], -1
	s_mov_b64 s[8:9], 0
	s_cmp_eq_u32 s14, 46
	s_cbranch_scc0 .LBB9_752
; %bb.751:
	v_cvt_f32_f64_e32 v3, v[36:37]
	v_bfe_u32 v6, v3, 16, 1
	s_movk_i32 s0, 0x7fff
	v_add3_u32 v6, v3, v6, s0
	v_cmp_o_f32_e32 vcc, v3, v3
	v_mov_b32_e32 v3, 0x7fc0
	s_mov_b64 s[0:1], 0
	v_cndmask_b32_sdwa v3, v3, v6, vcc dst_sel:DWORD dst_unused:UNUSED_PAD src0_sel:DWORD src1_sel:WORD_1
	global_store_dword v[4:5], v3, off
	s_mov_b64 s[6:7], -1
.LBB9_752:
	s_and_b64 vcc, exec, s[8:9]
	s_cbranch_vccz .LBB9_757
; %bb.753:
	s_cmp_eq_u32 s14, 44
	s_mov_b64 s[0:1], -1
	s_cbranch_scc0 .LBB9_757
; %bb.754:
	v_cvt_f32_f64_e32 v3, v[36:37]
	v_bfe_u32 v6, v3, 23, 8
	s_movk_i32 s0, 0xff
	v_cmp_ne_u32_e32 vcc, s0, v6
	v_mov_b32_e32 v7, 0xff
	s_and_saveexec_b64 s[6:7], vcc
; %bb.755:
	s_mov_b32 s0, 0x3fffff
	v_lshrrev_b32_e32 v7, 23, v3
	v_and_b32_e32 v8, 0x400000, v3
	v_and_or_b32 v3, v3, s0, v6
	v_cmp_ne_u32_e32 vcc, 0, v8
	v_cmp_ne_u32_e64 s[0:1], 0, v3
	s_and_b64 s[0:1], vcc, s[0:1]
	s_nop 0
	v_cndmask_b32_e64 v3, 0, 1, s[0:1]
	v_add_u32_e32 v7, v7, v3
; %bb.756:
	s_or_b64 exec, exec, s[6:7]
	s_mov_b64 s[0:1], 0
	s_mov_b64 s[6:7], -1
	global_store_byte v[4:5], v7, off
.LBB9_757:
	s_mov_b64 s[8:9], 0
.LBB9_758:
	s_and_b64 vcc, exec, s[8:9]
	s_cbranch_vccz .LBB9_761
; %bb.759:
	s_cmp_eq_u32 s14, 29
	s_mov_b64 s[0:1], -1
	s_cbranch_scc0 .LBB9_761
; %bb.760:
	v_trunc_f64_e32 v[6:7], v[36:37]
	s_movk_i32 s0, 0xffe0
	v_ldexp_f64 v[8:9], v[6:7], s0
	v_floor_f64_e32 v[8:9], v[8:9]
	v_fmac_f64_e32 v[6:7], 0xc1f00000, v[8:9]
	v_cvt_u32_f64_e32 v11, v[8:9]
	v_cvt_u32_f64_e32 v10, v[6:7]
	global_store_dwordx2 v[4:5], v[10:11], off
	s_mov_b64 s[0:1], 0
	s_mov_b64 s[6:7], -1
.LBB9_761:
	s_mov_b64 s[8:9], 0
.LBB9_762:
	s_and_b64 vcc, exec, s[8:9]
	s_cbranch_vccz .LBB9_778
; %bb.763:
	s_cmp_lt_i32 s14, 27
	s_mov_b64 s[6:7], -1
	s_cbranch_scc1 .LBB9_769
; %bb.764:
	s_cmp_gt_i32 s14, 27
	v_cvt_u32_f64_e32 v3, v[36:37]
	s_cbranch_scc0 .LBB9_766
; %bb.765:
	s_mov_b64 s[6:7], 0
	global_store_dword v[4:5], v3, off
.LBB9_766:
	s_andn2_b64 vcc, exec, s[6:7]
	s_cbranch_vccnz .LBB9_768
; %bb.767:
	global_store_short v[4:5], v3, off
.LBB9_768:
	s_mov_b64 s[6:7], 0
.LBB9_769:
	s_andn2_b64 vcc, exec, s[6:7]
	s_cbranch_vccnz .LBB9_777
; %bb.770:
	v_cvt_f32_f64_e32 v3, v[36:37]
	v_and_b32_e32 v6, 0x7fffffff, v3
	s_mov_b32 s6, 0x43800000
	v_cmp_gt_u32_e32 vcc, s6, v6
	v_mov_b32_e32 v7, 0x80
	s_and_saveexec_b64 s[6:7], vcc
	s_cbranch_execz .LBB9_776
; %bb.771:
	s_mov_b32 s8, 0x3bffffff
	v_cmp_lt_u32_e32 vcc, s8, v6
	s_mov_b64 s[8:9], 0
                                        ; implicit-def: $vgpr6
	s_and_saveexec_b64 s[10:11], vcc
	s_xor_b64 s[10:11], exec, s[10:11]
	s_cbranch_execz .LBB9_995
; %bb.772:
	v_bfe_u32 v6, v3, 20, 1
	s_mov_b32 s15, 0x487ffff
	v_add3_u32 v6, v3, v6, s15
	s_mov_b64 s[8:9], exec
	v_lshrrev_b32_e32 v6, 20, v6
	s_andn2_saveexec_b64 s[10:11], s[10:11]
	s_cbranch_execnz .LBB9_996
.LBB9_773:
	s_or_b64 exec, exec, s[10:11]
	v_mov_b32_e32 v7, 0
	s_and_saveexec_b64 s[10:11], s[8:9]
.LBB9_774:
	v_lshrrev_b32_e32 v3, 24, v3
	s_movk_i32 s8, 0x80
	v_and_or_b32 v7, v3, s8, v6
.LBB9_775:
	s_or_b64 exec, exec, s[10:11]
.LBB9_776:
	s_or_b64 exec, exec, s[6:7]
	global_store_byte v[4:5], v7, off
.LBB9_777:
	s_mov_b64 s[6:7], -1
.LBB9_778:
	s_mov_b64 s[8:9], 0
.LBB9_779:
	s_and_b64 vcc, exec, s[8:9]
	s_cbranch_vccz .LBB9_819
; %bb.780:
	s_cmp_gt_i32 s14, 22
	s_mov_b64 s[4:5], -1
	s_cbranch_scc0 .LBB9_812
; %bb.781:
	s_cmp_lt_i32 s14, 24
	s_cbranch_scc1 .LBB9_801
; %bb.782:
	s_cmp_gt_i32 s14, 24
	s_cbranch_scc0 .LBB9_790
; %bb.783:
	v_cvt_f32_f64_e32 v3, v[36:37]
	v_and_b32_e32 v6, 0x7fffffff, v3
	s_mov_b32 s4, 0x47800000
	v_cmp_gt_u32_e32 vcc, s4, v6
	v_mov_b32_e32 v7, 0x80
	s_and_saveexec_b64 s[4:5], vcc
	s_cbranch_execz .LBB9_789
; %bb.784:
	s_mov_b32 s6, 0x37ffffff
	v_cmp_lt_u32_e32 vcc, s6, v6
	s_mov_b64 s[6:7], 0
                                        ; implicit-def: $vgpr6
	s_and_saveexec_b64 s[8:9], vcc
	s_xor_b64 s[8:9], exec, s[8:9]
	s_cbranch_execz .LBB9_1000
; %bb.785:
	v_bfe_u32 v6, v3, 21, 1
	s_mov_b32 s10, 0x88fffff
	v_add3_u32 v6, v3, v6, s10
	s_mov_b64 s[6:7], exec
	v_lshrrev_b32_e32 v6, 21, v6
	s_andn2_saveexec_b64 s[8:9], s[8:9]
	s_cbranch_execnz .LBB9_1001
.LBB9_786:
	s_or_b64 exec, exec, s[8:9]
	v_mov_b32_e32 v7, 0
	s_and_saveexec_b64 s[8:9], s[6:7]
.LBB9_787:
	v_lshrrev_b32_e32 v3, 24, v3
	s_movk_i32 s6, 0x80
	v_and_or_b32 v7, v3, s6, v6
.LBB9_788:
	s_or_b64 exec, exec, s[8:9]
.LBB9_789:
	s_or_b64 exec, exec, s[4:5]
	s_mov_b64 s[4:5], 0
	global_store_byte v[4:5], v7, off
.LBB9_790:
	s_and_b64 vcc, exec, s[4:5]
	s_cbranch_vccz .LBB9_800
; %bb.791:
	v_cvt_f32_f64_e32 v3, v[36:37]
	v_and_b32_e32 v7, 0x7fffffff, v3
	s_mov_b32 s4, 0x43f00000
	v_cmp_gt_u32_e32 vcc, s4, v7
                                        ; implicit-def: $vgpr6
	s_and_saveexec_b64 s[4:5], vcc
	s_xor_b64 s[4:5], exec, s[4:5]
	s_cbranch_execz .LBB9_797
; %bb.792:
	s_mov_b32 s6, 0x3c7fffff
	v_cmp_lt_u32_e32 vcc, s6, v7
                                        ; implicit-def: $vgpr6
	s_and_saveexec_b64 s[6:7], vcc
	s_xor_b64 s[6:7], exec, s[6:7]
; %bb.793:
	v_bfe_u32 v6, v3, 20, 1
	s_mov_b32 s8, 0x407ffff
	v_add3_u32 v6, v3, v6, s8
	v_lshrrev_b32_e32 v7, 20, v6
	v_and_b32_e32 v6, 0xff00000, v6
	s_mov_b32 s8, 0x7f00000
	v_mov_b32_e32 v8, 0x7e
	v_cmp_ne_u32_e32 vcc, s8, v6
	s_nop 1
	v_cndmask_b32_e32 v6, v8, v7, vcc
; %bb.794:
	s_andn2_saveexec_b64 s[6:7], s[6:7]
; %bb.795:
	s_mov_b32 s8, 0x46800000
	v_add_f32_e64 v6, |v3|, s8
; %bb.796:
	s_or_b64 exec, exec, s[6:7]
                                        ; implicit-def: $vgpr7
.LBB9_797:
	s_andn2_saveexec_b64 s[4:5], s[4:5]
; %bb.798:
	s_mov_b32 s6, 0x7f800000
	v_mov_b32_e32 v6, 0x7e
	v_mov_b32_e32 v8, 0x7f
	v_cmp_lt_u32_e32 vcc, s6, v7
	s_nop 1
	v_cndmask_b32_e32 v6, v6, v8, vcc
; %bb.799:
	s_or_b64 exec, exec, s[4:5]
	v_lshrrev_b32_e32 v3, 24, v3
	s_movk_i32 s4, 0x80
	v_and_or_b32 v3, v3, s4, v6
	global_store_byte v[4:5], v3, off
.LBB9_800:
	s_mov_b64 s[4:5], 0
.LBB9_801:
	s_andn2_b64 vcc, exec, s[4:5]
	s_cbranch_vccnz .LBB9_811
; %bb.802:
	v_cvt_f32_f64_e32 v3, v[36:37]
	v_and_b32_e32 v7, 0x7fffffff, v3
	s_mov_b32 s4, 0x47800000
	v_cmp_gt_u32_e32 vcc, s4, v7
                                        ; implicit-def: $vgpr6
	s_and_saveexec_b64 s[4:5], vcc
	s_xor_b64 s[4:5], exec, s[4:5]
	s_cbranch_execz .LBB9_808
; %bb.803:
	s_mov_b32 s6, 0x387fffff
	v_cmp_lt_u32_e32 vcc, s6, v7
                                        ; implicit-def: $vgpr6
	s_and_saveexec_b64 s[6:7], vcc
	s_xor_b64 s[6:7], exec, s[6:7]
; %bb.804:
	v_bfe_u32 v6, v3, 21, 1
	s_mov_b32 s8, 0x80fffff
	v_add3_u32 v6, v3, v6, s8
	v_lshrrev_b32_e32 v6, 21, v6
; %bb.805:
	s_andn2_saveexec_b64 s[6:7], s[6:7]
; %bb.806:
	s_mov_b32 s8, 0x43000000
	v_add_f32_e64 v6, |v3|, s8
; %bb.807:
	s_or_b64 exec, exec, s[6:7]
                                        ; implicit-def: $vgpr7
.LBB9_808:
	s_andn2_saveexec_b64 s[4:5], s[4:5]
; %bb.809:
	s_mov_b32 s6, 0x7f800000
	v_mov_b32_e32 v6, 0x7c
	v_mov_b32_e32 v8, 0x7f
	v_cmp_lt_u32_e32 vcc, s6, v7
	s_nop 1
	v_cndmask_b32_e32 v6, v6, v8, vcc
; %bb.810:
	s_or_b64 exec, exec, s[4:5]
	v_lshrrev_b32_e32 v3, 24, v3
	s_movk_i32 s4, 0x80
	v_and_or_b32 v3, v3, s4, v6
	global_store_byte v[4:5], v3, off
.LBB9_811:
	s_mov_b64 s[4:5], 0
	s_mov_b64 s[6:7], -1
.LBB9_812:
	s_andn2_b64 vcc, exec, s[4:5]
	s_mov_b64 s[4:5], 0
	s_cbranch_vccnz .LBB9_819
; %bb.813:
	s_cmp_gt_i32 s14, 14
	s_mov_b64 s[8:9], -1
	s_cbranch_scc0 .LBB9_817
; %bb.814:
	s_cmp_eq_u32 s14, 15
	s_mov_b64 s[0:1], -1
	s_cbranch_scc0 .LBB9_816
; %bb.815:
	v_cvt_f32_f64_e32 v3, v[36:37]
	v_bfe_u32 v6, v3, 16, 1
	s_movk_i32 s0, 0x7fff
	v_add3_u32 v6, v3, v6, s0
	v_cmp_o_f32_e32 vcc, v3, v3
	v_mov_b32_e32 v3, 0x7fc0
	s_mov_b64 s[0:1], 0
	v_cndmask_b32_sdwa v3, v3, v6, vcc dst_sel:DWORD dst_unused:UNUSED_PAD src0_sel:DWORD src1_sel:WORD_1
	global_store_short v[4:5], v3, off
	s_mov_b64 s[6:7], -1
.LBB9_816:
	s_mov_b64 s[8:9], 0
.LBB9_817:
	s_and_b64 vcc, exec, s[8:9]
	s_cbranch_vccz .LBB9_819
; %bb.818:
	s_cmp_lg_u32 s14, 11
	s_mov_b64 s[4:5], -1
	s_cselect_b64 s[0:1], -1, 0
.LBB9_819:
	s_and_b64 vcc, exec, s[0:1]
	s_cbranch_vccnz .LBB9_997
; %bb.820:
	s_andn2_b64 vcc, exec, s[4:5]
	s_cbranch_vccnz .LBB9_822
.LBB9_821:
	v_cmp_neq_f64_e32 vcc, 0, v[36:37]
	s_mov_b64 s[6:7], -1
	s_nop 0
	v_cndmask_b32_e64 v3, 0, 1, vcc
	global_store_byte v[4:5], v3, off
.LBB9_822:
.LBB9_823:
	s_andn2_b64 vcc, exec, s[6:7]
	s_cbranch_vccnz .LBB9_939
.LBB9_824:
	v_add_u32_e32 v2, s13, v2
	v_ashrrev_i32_e32 v3, 31, v2
	s_cmp_lt_i32 s12, 11
	v_lshl_add_u64 v[4:5], s[36:37], 0, v[2:3]
	s_cbranch_scc1 .LBB9_984
; %bb.825:
	s_and_b32 s13, 0xffff, s12
	s_mov_b64 s[6:7], -1
	s_mov_b64 s[4:5], 0
	s_cmp_gt_i32 s13, 25
	s_mov_b64 s[0:1], 0
	s_cbranch_scc0 .LBB9_858
; %bb.826:
	s_cmp_gt_i32 s13, 28
	s_cbranch_scc0 .LBB9_842
; %bb.827:
	s_cmp_gt_i32 s13, 43
	;; [unrolled: 3-line block ×3, first 2 shown]
	s_cbranch_scc0 .LBB9_832
; %bb.829:
	s_cmp_eq_u32 s13, 46
	s_mov_b64 s[0:1], -1
	s_cbranch_scc0 .LBB9_831
; %bb.830:
	v_cvt_f32_f64_e32 v2, v[0:1]
	v_bfe_u32 v3, v2, 16, 1
	s_movk_i32 s0, 0x7fff
	v_add3_u32 v3, v2, v3, s0
	v_cmp_o_f32_e32 vcc, v2, v2
	v_mov_b32_e32 v2, 0x7fc0
	s_mov_b64 s[0:1], 0
	v_cndmask_b32_sdwa v2, v2, v3, vcc dst_sel:DWORD dst_unused:UNUSED_PAD src0_sel:DWORD src1_sel:WORD_1
	global_store_dword v[4:5], v2, off
.LBB9_831:
	s_mov_b64 s[6:7], 0
.LBB9_832:
	s_and_b64 vcc, exec, s[6:7]
	s_cbranch_vccz .LBB9_837
; %bb.833:
	s_cmp_eq_u32 s13, 44
	s_mov_b64 s[0:1], -1
	s_cbranch_scc0 .LBB9_837
; %bb.834:
	v_cvt_f32_f64_e32 v2, v[0:1]
	v_bfe_u32 v3, v2, 23, 8
	s_movk_i32 s0, 0xff
	v_cmp_ne_u32_e32 vcc, s0, v3
	v_mov_b32_e32 v6, 0xff
	s_and_saveexec_b64 s[6:7], vcc
; %bb.835:
	s_mov_b32 s0, 0x3fffff
	v_lshrrev_b32_e32 v6, 23, v2
	v_and_b32_e32 v7, 0x400000, v2
	v_and_or_b32 v2, v2, s0, v3
	v_cmp_ne_u32_e32 vcc, 0, v7
	v_cmp_ne_u32_e64 s[0:1], 0, v2
	s_and_b64 s[0:1], vcc, s[0:1]
	s_nop 0
	v_cndmask_b32_e64 v2, 0, 1, s[0:1]
	v_add_u32_e32 v6, v6, v2
; %bb.836:
	s_or_b64 exec, exec, s[6:7]
	s_mov_b64 s[0:1], 0
	global_store_byte v[4:5], v6, off
.LBB9_837:
	s_mov_b64 s[6:7], 0
.LBB9_838:
	s_and_b64 vcc, exec, s[6:7]
	s_cbranch_vccz .LBB9_841
; %bb.839:
	s_cmp_eq_u32 s13, 29
	s_mov_b64 s[0:1], -1
	s_cbranch_scc0 .LBB9_841
; %bb.840:
	v_trunc_f64_e32 v[2:3], v[0:1]
	s_movk_i32 s0, 0xffe0
	v_ldexp_f64 v[6:7], v[2:3], s0
	v_floor_f64_e32 v[6:7], v[6:7]
	v_fmac_f64_e32 v[2:3], 0xc1f00000, v[6:7]
	v_cvt_u32_f64_e32 v9, v[6:7]
	v_cvt_u32_f64_e32 v8, v[2:3]
	global_store_dwordx2 v[4:5], v[8:9], off
	s_mov_b64 s[0:1], 0
.LBB9_841:
	s_mov_b64 s[6:7], 0
.LBB9_842:
	s_and_b64 vcc, exec, s[6:7]
	s_cbranch_vccz .LBB9_857
; %bb.843:
	s_cmp_lt_i32 s13, 27
	s_mov_b64 s[6:7], -1
	s_cbranch_scc1 .LBB9_849
; %bb.844:
	s_cmp_gt_i32 s13, 27
	v_cvt_u32_f64_e32 v2, v[0:1]
	s_cbranch_scc0 .LBB9_846
; %bb.845:
	global_store_dword v[4:5], v2, off
	s_mov_b64 s[6:7], 0
.LBB9_846:
	s_andn2_b64 vcc, exec, s[6:7]
	s_cbranch_vccnz .LBB9_848
; %bb.847:
	global_store_short v[4:5], v2, off
.LBB9_848:
	s_mov_b64 s[6:7], 0
.LBB9_849:
	s_andn2_b64 vcc, exec, s[6:7]
	s_cbranch_vccnz .LBB9_857
; %bb.850:
	v_cvt_f32_f64_e32 v2, v[0:1]
	v_and_b32_e32 v3, 0x7fffffff, v2
	s_mov_b32 s6, 0x43800000
	v_cmp_gt_u32_e32 vcc, s6, v3
	v_mov_b32_e32 v6, 0x80
	s_and_saveexec_b64 s[6:7], vcc
	s_cbranch_execz .LBB9_856
; %bb.851:
	s_mov_b32 s8, 0x3bffffff
	v_cmp_lt_u32_e32 vcc, s8, v3
	s_mov_b64 s[8:9], 0
                                        ; implicit-def: $vgpr3
	s_and_saveexec_b64 s[10:11], vcc
	s_xor_b64 s[10:11], exec, s[10:11]
	s_cbranch_execz .LBB9_1002
; %bb.852:
	v_bfe_u32 v3, v2, 20, 1
	s_mov_b32 s14, 0x487ffff
	v_add3_u32 v3, v2, v3, s14
	s_mov_b64 s[8:9], exec
	v_lshrrev_b32_e32 v3, 20, v3
	s_andn2_saveexec_b64 s[10:11], s[10:11]
	s_cbranch_execnz .LBB9_1003
.LBB9_853:
	s_or_b64 exec, exec, s[10:11]
	v_mov_b32_e32 v6, 0
	s_and_saveexec_b64 s[10:11], s[8:9]
.LBB9_854:
	v_lshrrev_b32_e32 v2, 24, v2
	s_movk_i32 s8, 0x80
	v_and_or_b32 v6, v2, s8, v3
.LBB9_855:
	s_or_b64 exec, exec, s[10:11]
.LBB9_856:
	s_or_b64 exec, exec, s[6:7]
	global_store_byte v[4:5], v6, off
.LBB9_857:
	s_mov_b64 s[6:7], 0
.LBB9_858:
	s_and_b64 vcc, exec, s[6:7]
	s_cbranch_vccz .LBB9_898
; %bb.859:
	s_cmp_gt_i32 s13, 22
	s_mov_b64 s[4:5], -1
	s_cbranch_scc0 .LBB9_891
; %bb.860:
	s_cmp_lt_i32 s13, 24
	s_cbranch_scc1 .LBB9_880
; %bb.861:
	s_cmp_gt_i32 s13, 24
	s_cbranch_scc0 .LBB9_869
; %bb.862:
	v_cvt_f32_f64_e32 v2, v[0:1]
	v_and_b32_e32 v3, 0x7fffffff, v2
	s_mov_b32 s4, 0x47800000
	v_cmp_gt_u32_e32 vcc, s4, v3
	v_mov_b32_e32 v6, 0x80
	s_and_saveexec_b64 s[4:5], vcc
	s_cbranch_execz .LBB9_868
; %bb.863:
	s_mov_b32 s6, 0x37ffffff
	v_cmp_lt_u32_e32 vcc, s6, v3
	s_mov_b64 s[6:7], 0
                                        ; implicit-def: $vgpr3
	s_and_saveexec_b64 s[8:9], vcc
	s_xor_b64 s[8:9], exec, s[8:9]
	s_cbranch_execz .LBB9_1009
; %bb.864:
	v_bfe_u32 v3, v2, 21, 1
	s_mov_b32 s10, 0x88fffff
	v_add3_u32 v3, v2, v3, s10
	s_mov_b64 s[6:7], exec
	v_lshrrev_b32_e32 v3, 21, v3
	s_andn2_saveexec_b64 s[8:9], s[8:9]
	s_cbranch_execnz .LBB9_1010
.LBB9_865:
	s_or_b64 exec, exec, s[8:9]
	v_mov_b32_e32 v6, 0
	s_and_saveexec_b64 s[8:9], s[6:7]
.LBB9_866:
	v_lshrrev_b32_e32 v2, 24, v2
	s_movk_i32 s6, 0x80
	v_and_or_b32 v6, v2, s6, v3
.LBB9_867:
	s_or_b64 exec, exec, s[8:9]
.LBB9_868:
	s_or_b64 exec, exec, s[4:5]
	s_mov_b64 s[4:5], 0
	global_store_byte v[4:5], v6, off
.LBB9_869:
	s_and_b64 vcc, exec, s[4:5]
	s_cbranch_vccz .LBB9_879
; %bb.870:
	v_cvt_f32_f64_e32 v2, v[0:1]
	v_and_b32_e32 v6, 0x7fffffff, v2
	s_mov_b32 s4, 0x43f00000
	v_cmp_gt_u32_e32 vcc, s4, v6
                                        ; implicit-def: $vgpr3
	s_and_saveexec_b64 s[4:5], vcc
	s_xor_b64 s[4:5], exec, s[4:5]
	s_cbranch_execz .LBB9_876
; %bb.871:
	s_mov_b32 s6, 0x3c7fffff
	v_cmp_lt_u32_e32 vcc, s6, v6
                                        ; implicit-def: $vgpr3
	s_and_saveexec_b64 s[6:7], vcc
	s_xor_b64 s[6:7], exec, s[6:7]
; %bb.872:
	v_bfe_u32 v3, v2, 20, 1
	s_mov_b32 s8, 0x407ffff
	v_add3_u32 v3, v2, v3, s8
	v_lshrrev_b32_e32 v6, 20, v3
	v_and_b32_e32 v3, 0xff00000, v3
	s_mov_b32 s8, 0x7f00000
	v_mov_b32_e32 v7, 0x7e
	v_cmp_ne_u32_e32 vcc, s8, v3
	s_nop 1
	v_cndmask_b32_e32 v3, v7, v6, vcc
; %bb.873:
	s_andn2_saveexec_b64 s[6:7], s[6:7]
; %bb.874:
	s_mov_b32 s8, 0x46800000
	v_add_f32_e64 v3, |v2|, s8
; %bb.875:
	s_or_b64 exec, exec, s[6:7]
                                        ; implicit-def: $vgpr6
.LBB9_876:
	s_andn2_saveexec_b64 s[4:5], s[4:5]
; %bb.877:
	s_mov_b32 s6, 0x7f800000
	v_mov_b32_e32 v3, 0x7e
	v_mov_b32_e32 v7, 0x7f
	v_cmp_lt_u32_e32 vcc, s6, v6
	s_nop 1
	v_cndmask_b32_e32 v3, v3, v7, vcc
; %bb.878:
	s_or_b64 exec, exec, s[4:5]
	v_lshrrev_b32_e32 v2, 24, v2
	s_movk_i32 s4, 0x80
	v_and_or_b32 v2, v2, s4, v3
	global_store_byte v[4:5], v2, off
.LBB9_879:
	s_mov_b64 s[4:5], 0
.LBB9_880:
	s_andn2_b64 vcc, exec, s[4:5]
	s_cbranch_vccnz .LBB9_890
; %bb.881:
	v_cvt_f32_f64_e32 v2, v[0:1]
	v_and_b32_e32 v6, 0x7fffffff, v2
	s_mov_b32 s4, 0x47800000
	v_cmp_gt_u32_e32 vcc, s4, v6
                                        ; implicit-def: $vgpr3
	s_and_saveexec_b64 s[4:5], vcc
	s_xor_b64 s[4:5], exec, s[4:5]
	s_cbranch_execz .LBB9_887
; %bb.882:
	s_mov_b32 s6, 0x387fffff
	v_cmp_lt_u32_e32 vcc, s6, v6
                                        ; implicit-def: $vgpr3
	s_and_saveexec_b64 s[6:7], vcc
	s_xor_b64 s[6:7], exec, s[6:7]
; %bb.883:
	v_bfe_u32 v3, v2, 21, 1
	s_mov_b32 s8, 0x80fffff
	v_add3_u32 v3, v2, v3, s8
	v_lshrrev_b32_e32 v3, 21, v3
; %bb.884:
	s_andn2_saveexec_b64 s[6:7], s[6:7]
; %bb.885:
	s_mov_b32 s8, 0x43000000
	v_add_f32_e64 v3, |v2|, s8
; %bb.886:
	s_or_b64 exec, exec, s[6:7]
                                        ; implicit-def: $vgpr6
.LBB9_887:
	s_andn2_saveexec_b64 s[4:5], s[4:5]
; %bb.888:
	s_mov_b32 s6, 0x7f800000
	v_mov_b32_e32 v3, 0x7c
	v_mov_b32_e32 v7, 0x7f
	v_cmp_lt_u32_e32 vcc, s6, v6
	s_nop 1
	v_cndmask_b32_e32 v3, v3, v7, vcc
; %bb.889:
	s_or_b64 exec, exec, s[4:5]
	v_lshrrev_b32_e32 v2, 24, v2
	s_movk_i32 s4, 0x80
	v_and_or_b32 v2, v2, s4, v3
	global_store_byte v[4:5], v2, off
.LBB9_890:
	s_mov_b64 s[4:5], 0
.LBB9_891:
	s_andn2_b64 vcc, exec, s[4:5]
	s_mov_b64 s[4:5], 0
	s_cbranch_vccnz .LBB9_898
; %bb.892:
	s_cmp_gt_i32 s13, 14
	s_mov_b64 s[6:7], -1
	s_cbranch_scc0 .LBB9_896
; %bb.893:
	s_cmp_eq_u32 s13, 15
	s_mov_b64 s[0:1], -1
	s_cbranch_scc0 .LBB9_895
; %bb.894:
	v_cvt_f32_f64_e32 v2, v[0:1]
	v_bfe_u32 v3, v2, 16, 1
	s_movk_i32 s0, 0x7fff
	v_add3_u32 v3, v2, v3, s0
	v_cmp_o_f32_e32 vcc, v2, v2
	v_mov_b32_e32 v2, 0x7fc0
	s_mov_b64 s[0:1], 0
	v_cndmask_b32_sdwa v2, v2, v3, vcc dst_sel:DWORD dst_unused:UNUSED_PAD src0_sel:DWORD src1_sel:WORD_1
	global_store_short v[4:5], v2, off
.LBB9_895:
	s_mov_b64 s[6:7], 0
.LBB9_896:
	s_and_b64 vcc, exec, s[6:7]
	s_cbranch_vccz .LBB9_898
; %bb.897:
	s_cmp_lg_u32 s13, 11
	s_mov_b64 s[4:5], -1
	s_cselect_b64 s[0:1], -1, 0
.LBB9_898:
	s_and_b64 vcc, exec, s[0:1]
	s_cbranch_vccnz .LBB9_1004
.LBB9_899:
	s_mov_b64 s[0:1], 0
	s_branch .LBB9_940
.LBB9_900:
	s_mov_b64 s[6:7], 0
	s_cbranch_execz .LBB9_823
; %bb.901:
	s_and_b32 s4, 0xffff, s12
	s_cmp_lt_i32 s4, 5
	s_mov_b64 s[0:1], -1
	s_cbranch_scc1 .LBB9_922
; %bb.902:
	s_cmp_lt_i32 s4, 8
	s_cbranch_scc1 .LBB9_912
; %bb.903:
	s_cmp_lt_i32 s4, 9
	s_cbranch_scc1 .LBB9_909
; %bb.904:
	s_cmp_gt_i32 s4, 9
	s_cbranch_scc0 .LBB9_906
; %bb.905:
	v_mov_b32_e32 v38, 0
	v_mov_b32_e32 v39, v38
	global_store_dwordx4 v[4:5], v[36:39], off
	s_mov_b64 s[0:1], 0
.LBB9_906:
	s_andn2_b64 vcc, exec, s[0:1]
	s_cbranch_vccnz .LBB9_908
; %bb.907:
	v_cvt_f32_f64_e32 v6, v[36:37]
	v_mov_b32_e32 v7, 0
	global_store_dwordx2 v[4:5], v[6:7], off
.LBB9_908:
	s_mov_b64 s[0:1], 0
.LBB9_909:
	s_andn2_b64 vcc, exec, s[0:1]
	s_cbranch_vccnz .LBB9_911
; %bb.910:
	s_movk_i32 s0, 0x1ff
	v_and_or_b32 v3, v37, s0, v36
	v_cmp_ne_u32_e32 vcc, 0, v3
	v_lshrrev_b32_e32 v6, 8, v37
	s_movk_i32 s0, 0xffe
	v_cndmask_b32_e64 v3, 0, 1, vcc
	v_bfe_u32 v7, v37, 20, 11
	v_and_or_b32 v3, v6, s0, v3
	v_sub_u32_e32 v8, 0x3f1, v7
	v_or_b32_e32 v6, 0x1000, v3
	v_med3_i32 v8, v8, 0, 13
	v_lshrrev_b32_e32 v9, v8, v6
	v_lshlrev_b32_e32 v8, v8, v9
	v_cmp_ne_u32_e32 vcc, v8, v6
	v_add_u32_e32 v7, 0xfffffc10, v7
	v_lshl_or_b32 v8, v7, 12, v3
	v_cndmask_b32_e64 v6, 0, 1, vcc
	v_or_b32_e32 v6, v9, v6
	v_cmp_gt_i32_e32 vcc, 1, v7
	s_movk_i32 s0, 0x40f
	s_nop 0
	v_cndmask_b32_e32 v6, v8, v6, vcc
	v_and_b32_e32 v8, 7, v6
	v_cmp_lt_i32_e32 vcc, 5, v8
	v_lshrrev_b32_e32 v6, 2, v6
	s_nop 0
	v_cndmask_b32_e64 v9, 0, 1, vcc
	v_cmp_eq_u32_e32 vcc, 3, v8
	s_nop 1
	v_cndmask_b32_e64 v8, 0, 1, vcc
	v_or_b32_e32 v8, v8, v9
	v_add_u32_e32 v6, v6, v8
	v_mov_b32_e32 v8, 0x7c00
	v_cmp_gt_i32_e32 vcc, 31, v7
	v_mov_b32_e32 v9, 0x7e00
	s_nop 0
	v_cndmask_b32_e32 v6, v8, v6, vcc
	v_cmp_ne_u32_e32 vcc, 0, v3
	s_nop 1
	v_cndmask_b32_e32 v3, v8, v9, vcc
	v_cmp_eq_u32_e32 vcc, s0, v7
	s_mov_b32 s0, 0x8000
	s_nop 0
	v_cndmask_b32_e32 v3, v6, v3, vcc
	v_and_b32_sdwa v6, v37, s0 dst_sel:DWORD dst_unused:UNUSED_PAD src0_sel:WORD_1 src1_sel:DWORD
	s_mov_b32 s0, 0xffff
	v_bitop3_b32 v3, v6, s0, v3 bitop3:0xc8
	global_store_dword v[4:5], v3, off
.LBB9_911:
	s_mov_b64 s[0:1], 0
.LBB9_912:
	s_andn2_b64 vcc, exec, s[0:1]
	s_cbranch_vccnz .LBB9_921
; %bb.913:
	s_cmp_lt_i32 s4, 6
	s_mov_b64 s[0:1], -1
	s_cbranch_scc1 .LBB9_919
; %bb.914:
	s_cmp_gt_i32 s4, 6
	s_cbranch_scc0 .LBB9_916
; %bb.915:
	global_store_dwordx2 v[4:5], v[36:37], off
	s_mov_b64 s[0:1], 0
.LBB9_916:
	s_andn2_b64 vcc, exec, s[0:1]
	s_cbranch_vccnz .LBB9_918
; %bb.917:
	v_cvt_f32_f64_e32 v3, v[36:37]
	global_store_dword v[4:5], v3, off
.LBB9_918:
	s_mov_b64 s[0:1], 0
.LBB9_919:
	s_andn2_b64 vcc, exec, s[0:1]
	s_cbranch_vccnz .LBB9_921
; %bb.920:
	s_movk_i32 s0, 0x1ff
	v_and_or_b32 v3, v37, s0, v36
	v_cmp_ne_u32_e32 vcc, 0, v3
	v_lshrrev_b32_e32 v6, 8, v37
	s_movk_i32 s0, 0xffe
	v_cndmask_b32_e64 v3, 0, 1, vcc
	v_bfe_u32 v7, v37, 20, 11
	v_and_or_b32 v3, v6, s0, v3
	v_sub_u32_e32 v8, 0x3f1, v7
	v_or_b32_e32 v6, 0x1000, v3
	v_med3_i32 v8, v8, 0, 13
	v_lshrrev_b32_e32 v9, v8, v6
	v_lshlrev_b32_e32 v8, v8, v9
	v_cmp_ne_u32_e32 vcc, v8, v6
	v_add_u32_e32 v7, 0xfffffc10, v7
	v_lshl_or_b32 v8, v7, 12, v3
	v_cndmask_b32_e64 v6, 0, 1, vcc
	v_or_b32_e32 v6, v9, v6
	v_cmp_gt_i32_e32 vcc, 1, v7
	s_movk_i32 s0, 0x40f
	s_nop 0
	v_cndmask_b32_e32 v6, v8, v6, vcc
	v_and_b32_e32 v8, 7, v6
	v_cmp_lt_i32_e32 vcc, 5, v8
	v_lshrrev_b32_e32 v6, 2, v6
	s_nop 0
	v_cndmask_b32_e64 v9, 0, 1, vcc
	v_cmp_eq_u32_e32 vcc, 3, v8
	s_nop 1
	v_cndmask_b32_e64 v8, 0, 1, vcc
	v_or_b32_e32 v8, v8, v9
	v_add_u32_e32 v6, v6, v8
	v_mov_b32_e32 v8, 0x7c00
	v_cmp_gt_i32_e32 vcc, 31, v7
	v_mov_b32_e32 v9, 0x7e00
	s_nop 0
	v_cndmask_b32_e32 v6, v8, v6, vcc
	v_cmp_ne_u32_e32 vcc, 0, v3
	s_nop 1
	v_cndmask_b32_e32 v3, v8, v9, vcc
	v_cmp_eq_u32_e32 vcc, s0, v7
	s_mov_b32 s0, 0x8000
	s_nop 0
	v_cndmask_b32_e32 v3, v6, v3, vcc
	v_lshrrev_b32_e32 v6, 16, v37
	v_and_or_b32 v3, v6, s0, v3
	global_store_short v[4:5], v3, off
.LBB9_921:
	s_mov_b64 s[0:1], 0
.LBB9_922:
	s_andn2_b64 vcc, exec, s[0:1]
	s_cbranch_vccnz .LBB9_938
; %bb.923:
	s_cmp_lt_i32 s4, 2
	s_mov_b64 s[0:1], -1
	s_cbranch_scc1 .LBB9_933
; %bb.924:
	s_cmp_lt_i32 s4, 3
	s_cbranch_scc1 .LBB9_930
; %bb.925:
	s_cmp_gt_i32 s4, 3
	s_cbranch_scc0 .LBB9_927
; %bb.926:
	v_trunc_f64_e32 v[6:7], v[36:37]
	s_movk_i32 s0, 0xffe0
	v_ldexp_f64 v[8:9], v[6:7], s0
	v_floor_f64_e32 v[8:9], v[8:9]
	v_fmac_f64_e32 v[6:7], 0xc1f00000, v[8:9]
	v_cvt_i32_f64_e32 v11, v[8:9]
	v_cvt_u32_f64_e32 v10, v[6:7]
	global_store_dwordx2 v[4:5], v[10:11], off
	s_mov_b64 s[0:1], 0
.LBB9_927:
	s_andn2_b64 vcc, exec, s[0:1]
	s_cbranch_vccnz .LBB9_929
; %bb.928:
	v_cvt_i32_f64_e32 v3, v[36:37]
	global_store_dword v[4:5], v3, off
.LBB9_929:
	s_mov_b64 s[0:1], 0
.LBB9_930:
	s_andn2_b64 vcc, exec, s[0:1]
	s_cbranch_vccnz .LBB9_932
; %bb.931:
	v_cvt_i32_f64_e32 v3, v[36:37]
	global_store_short v[4:5], v3, off
.LBB9_932:
	s_mov_b64 s[0:1], 0
.LBB9_933:
	s_andn2_b64 vcc, exec, s[0:1]
	s_cbranch_vccnz .LBB9_938
; %bb.934:
	s_cmp_gt_i32 s4, 0
	s_mov_b64 s[0:1], -1
	s_cbranch_scc0 .LBB9_936
; %bb.935:
	v_cvt_i32_f64_e32 v3, v[36:37]
	global_store_byte v[4:5], v3, off
	s_mov_b64 s[0:1], 0
.LBB9_936:
	s_andn2_b64 vcc, exec, s[0:1]
	s_cbranch_vccnz .LBB9_938
; %bb.937:
	v_trunc_f64_e32 v[6:7], v[36:37]
	s_movk_i32 s0, 0xffe0
	v_ldexp_f64 v[8:9], v[6:7], s0
	v_floor_f64_e32 v[8:9], v[8:9]
	v_fmac_f64_e32 v[6:7], 0xc1f00000, v[8:9]
	v_cvt_u32_f64_e32 v3, v[6:7]
	global_store_byte v[4:5], v3, off
.LBB9_938:
	s_branch .LBB9_824
.LBB9_939:
	s_mov_b64 s[0:1], 0
	s_mov_b64 s[4:5], 0
                                        ; implicit-def: $sgpr12
                                        ; implicit-def: $vgpr4_vgpr5
.LBB9_940:
	s_and_b64 s[46:47], s[4:5], exec
	s_andn2_b64 s[4:5], s[50:51], exec
	s_and_b64 s[2:3], s[2:3], exec
	s_and_b64 s[0:1], s[0:1], exec
	s_or_b64 s[50:51], s[4:5], s[2:3]
.LBB9_941:
	s_or_b64 exec, exec, s[48:49]
	s_and_saveexec_b64 s[2:3], s[50:51]
	s_cbranch_execz .LBB9_944
; %bb.942:
	; divergent unreachable
	s_or_b64 exec, exec, s[2:3]
	s_and_saveexec_b64 s[2:3], s[46:47]
	s_xor_b64 s[2:3], exec, s[2:3]
	s_cbranch_execnz .LBB9_945
.LBB9_943:
	s_or_b64 exec, exec, s[2:3]
	s_and_saveexec_b64 s[2:3], s[0:1]
	s_cbranch_execnz .LBB9_946
	s_branch .LBB9_983
.LBB9_944:
	s_or_b64 exec, exec, s[2:3]
	s_and_saveexec_b64 s[2:3], s[46:47]
	s_xor_b64 s[2:3], exec, s[2:3]
	s_cbranch_execz .LBB9_943
.LBB9_945:
	v_cmp_neq_f64_e32 vcc, 0, v[0:1]
	s_nop 1
	v_cndmask_b32_e64 v2, 0, 1, vcc
	global_store_byte v[4:5], v2, off
	s_or_b64 exec, exec, s[2:3]
	s_and_saveexec_b64 s[2:3], s[0:1]
	s_cbranch_execz .LBB9_983
.LBB9_946:
	s_sext_i32_i16 s2, s12
	s_cmp_lt_i32 s2, 5
	s_mov_b64 s[0:1], -1
	s_cbranch_scc1 .LBB9_967
; %bb.947:
	s_cmp_lt_i32 s2, 8
	s_cbranch_scc1 .LBB9_957
; %bb.948:
	s_cmp_lt_i32 s2, 9
	s_cbranch_scc1 .LBB9_954
; %bb.949:
	s_cmp_gt_i32 s2, 9
	s_cbranch_scc0 .LBB9_951
; %bb.950:
	v_mov_b32_e32 v2, 0
	v_mov_b32_e32 v3, v2
	global_store_dwordx4 v[4:5], v[0:3], off
	s_mov_b64 s[0:1], 0
.LBB9_951:
	s_andn2_b64 vcc, exec, s[0:1]
	s_cbranch_vccnz .LBB9_953
; %bb.952:
	v_cvt_f32_f64_e32 v2, v[0:1]
	v_mov_b32_e32 v3, 0
	global_store_dwordx2 v[4:5], v[2:3], off
.LBB9_953:
	s_mov_b64 s[0:1], 0
.LBB9_954:
	s_andn2_b64 vcc, exec, s[0:1]
	s_cbranch_vccnz .LBB9_956
; %bb.955:
	s_movk_i32 s0, 0x1ff
	v_and_or_b32 v2, v1, s0, v0
	v_cmp_ne_u32_e32 vcc, 0, v2
	v_lshrrev_b32_e32 v3, 8, v1
	s_movk_i32 s0, 0xffe
	v_cndmask_b32_e64 v2, 0, 1, vcc
	v_bfe_u32 v6, v1, 20, 11
	v_and_or_b32 v2, v3, s0, v2
	v_sub_u32_e32 v7, 0x3f1, v6
	v_or_b32_e32 v3, 0x1000, v2
	v_med3_i32 v7, v7, 0, 13
	v_lshrrev_b32_e32 v8, v7, v3
	v_lshlrev_b32_e32 v7, v7, v8
	v_cmp_ne_u32_e32 vcc, v7, v3
	v_add_u32_e32 v6, 0xfffffc10, v6
	v_lshl_or_b32 v7, v6, 12, v2
	v_cndmask_b32_e64 v3, 0, 1, vcc
	v_or_b32_e32 v3, v8, v3
	v_cmp_gt_i32_e32 vcc, 1, v6
	s_movk_i32 s0, 0x40f
	s_nop 0
	v_cndmask_b32_e32 v3, v7, v3, vcc
	v_and_b32_e32 v7, 7, v3
	v_cmp_lt_i32_e32 vcc, 5, v7
	v_lshrrev_b32_e32 v3, 2, v3
	s_nop 0
	v_cndmask_b32_e64 v8, 0, 1, vcc
	v_cmp_eq_u32_e32 vcc, 3, v7
	s_nop 1
	v_cndmask_b32_e64 v7, 0, 1, vcc
	v_or_b32_e32 v7, v7, v8
	v_add_u32_e32 v3, v3, v7
	v_mov_b32_e32 v7, 0x7c00
	v_cmp_gt_i32_e32 vcc, 31, v6
	v_mov_b32_e32 v8, 0x7e00
	s_nop 0
	v_cndmask_b32_e32 v3, v7, v3, vcc
	v_cmp_ne_u32_e32 vcc, 0, v2
	s_nop 1
	v_cndmask_b32_e32 v2, v7, v8, vcc
	v_cmp_eq_u32_e32 vcc, s0, v6
	s_mov_b32 s0, 0x8000
	s_nop 0
	v_cndmask_b32_e32 v2, v3, v2, vcc
	v_and_b32_sdwa v3, v1, s0 dst_sel:DWORD dst_unused:UNUSED_PAD src0_sel:WORD_1 src1_sel:DWORD
	s_mov_b32 s0, 0xffff
	v_bitop3_b32 v2, v3, s0, v2 bitop3:0xc8
	global_store_dword v[4:5], v2, off
.LBB9_956:
	s_mov_b64 s[0:1], 0
.LBB9_957:
	s_andn2_b64 vcc, exec, s[0:1]
	s_cbranch_vccnz .LBB9_966
; %bb.958:
	s_sext_i32_i16 s2, s12
	s_cmp_lt_i32 s2, 6
	s_mov_b64 s[0:1], -1
	s_cbranch_scc1 .LBB9_964
; %bb.959:
	s_cmp_gt_i32 s2, 6
	s_cbranch_scc0 .LBB9_961
; %bb.960:
	global_store_dwordx2 v[4:5], v[0:1], off
	s_mov_b64 s[0:1], 0
.LBB9_961:
	s_andn2_b64 vcc, exec, s[0:1]
	s_cbranch_vccnz .LBB9_963
; %bb.962:
	v_cvt_f32_f64_e32 v2, v[0:1]
	global_store_dword v[4:5], v2, off
.LBB9_963:
	s_mov_b64 s[0:1], 0
.LBB9_964:
	s_andn2_b64 vcc, exec, s[0:1]
	s_cbranch_vccnz .LBB9_966
; %bb.965:
	s_movk_i32 s0, 0x1ff
	v_and_or_b32 v2, v1, s0, v0
	v_cmp_ne_u32_e32 vcc, 0, v2
	v_lshrrev_b32_e32 v3, 8, v1
	s_movk_i32 s0, 0xffe
	v_cndmask_b32_e64 v2, 0, 1, vcc
	v_bfe_u32 v6, v1, 20, 11
	v_and_or_b32 v2, v3, s0, v2
	v_sub_u32_e32 v7, 0x3f1, v6
	v_or_b32_e32 v3, 0x1000, v2
	v_med3_i32 v7, v7, 0, 13
	v_lshrrev_b32_e32 v8, v7, v3
	v_lshlrev_b32_e32 v7, v7, v8
	v_cmp_ne_u32_e32 vcc, v7, v3
	v_add_u32_e32 v6, 0xfffffc10, v6
	v_lshl_or_b32 v7, v6, 12, v2
	v_cndmask_b32_e64 v3, 0, 1, vcc
	v_or_b32_e32 v3, v8, v3
	v_cmp_gt_i32_e32 vcc, 1, v6
	s_movk_i32 s0, 0x40f
	s_nop 0
	v_cndmask_b32_e32 v3, v7, v3, vcc
	v_and_b32_e32 v7, 7, v3
	v_cmp_lt_i32_e32 vcc, 5, v7
	v_lshrrev_b32_e32 v3, 2, v3
	s_nop 0
	v_cndmask_b32_e64 v8, 0, 1, vcc
	v_cmp_eq_u32_e32 vcc, 3, v7
	s_nop 1
	v_cndmask_b32_e64 v7, 0, 1, vcc
	v_or_b32_e32 v7, v7, v8
	v_add_u32_e32 v3, v3, v7
	v_mov_b32_e32 v7, 0x7c00
	v_cmp_gt_i32_e32 vcc, 31, v6
	v_mov_b32_e32 v8, 0x7e00
	s_nop 0
	v_cndmask_b32_e32 v3, v7, v3, vcc
	v_cmp_ne_u32_e32 vcc, 0, v2
	s_nop 1
	v_cndmask_b32_e32 v2, v7, v8, vcc
	v_cmp_eq_u32_e32 vcc, s0, v6
	s_mov_b32 s0, 0x8000
	s_nop 0
	v_cndmask_b32_e32 v2, v3, v2, vcc
	v_lshrrev_b32_e32 v3, 16, v1
	v_and_or_b32 v2, v3, s0, v2
	global_store_short v[4:5], v2, off
.LBB9_966:
	s_mov_b64 s[0:1], 0
.LBB9_967:
	s_andn2_b64 vcc, exec, s[0:1]
	s_cbranch_vccnz .LBB9_983
; %bb.968:
	s_sext_i32_i16 s2, s12
	s_cmp_lt_i32 s2, 2
	s_mov_b64 s[0:1], -1
	s_cbranch_scc1 .LBB9_978
; %bb.969:
	s_cmp_lt_i32 s2, 3
	s_cbranch_scc1 .LBB9_975
; %bb.970:
	s_cmp_gt_i32 s2, 3
	s_cbranch_scc0 .LBB9_972
; %bb.971:
	v_trunc_f64_e32 v[2:3], v[0:1]
	s_movk_i32 s0, 0xffe0
	v_ldexp_f64 v[6:7], v[2:3], s0
	v_floor_f64_e32 v[6:7], v[6:7]
	v_fmac_f64_e32 v[2:3], 0xc1f00000, v[6:7]
	v_cvt_i32_f64_e32 v9, v[6:7]
	v_cvt_u32_f64_e32 v8, v[2:3]
	global_store_dwordx2 v[4:5], v[8:9], off
	s_mov_b64 s[0:1], 0
.LBB9_972:
	s_andn2_b64 vcc, exec, s[0:1]
	s_cbranch_vccnz .LBB9_974
; %bb.973:
	v_cvt_i32_f64_e32 v2, v[0:1]
	global_store_dword v[4:5], v2, off
.LBB9_974:
	s_mov_b64 s[0:1], 0
.LBB9_975:
	s_andn2_b64 vcc, exec, s[0:1]
	s_cbranch_vccnz .LBB9_977
; %bb.976:
	v_cvt_i32_f64_e32 v2, v[0:1]
	global_store_short v[4:5], v2, off
.LBB9_977:
	s_mov_b64 s[0:1], 0
.LBB9_978:
	s_andn2_b64 vcc, exec, s[0:1]
	s_cbranch_vccnz .LBB9_983
; %bb.979:
	s_sext_i32_i16 s0, s12
	s_cmp_gt_i32 s0, 0
	s_mov_b64 s[0:1], -1
	s_cbranch_scc0 .LBB9_981
; %bb.980:
	v_cvt_i32_f64_e32 v2, v[0:1]
	global_store_byte v[4:5], v2, off
	s_mov_b64 s[0:1], 0
.LBB9_981:
	s_andn2_b64 vcc, exec, s[0:1]
	s_cbranch_vccnz .LBB9_983
; %bb.982:
	v_trunc_f64_e32 v[0:1], v[0:1]
	s_movk_i32 s0, 0xffe0
	v_ldexp_f64 v[2:3], v[0:1], s0
	v_floor_f64_e32 v[2:3], v[2:3]
	v_fmac_f64_e32 v[0:1], 0xc1f00000, v[2:3]
	v_cvt_u32_f64_e32 v0, v[0:1]
	global_store_byte v[4:5], v0, off
	s_endpgm
.LBB9_983:
	s_endpgm
.LBB9_984:
	s_mov_b64 s[4:5], 0
	s_mov_b64 s[0:1], -1
	s_branch .LBB9_940
.LBB9_985:
	s_andn2_saveexec_b64 s[8:9], s[8:9]
	s_cbranch_execz .LBB9_537
.LBB9_986:
	s_mov_b32 s11, 0x46000000
	v_add_f32_e64 v6, |v3|, s11
	v_and_b32_e32 v6, 0xff, v6
	v_cmp_ne_u32_e32 vcc, 0, v6
	s_andn2_b64 s[6:7], s[6:7], exec
	s_and_b64 s[14:15], vcc, exec
	s_or_b64 s[6:7], s[6:7], s[14:15]
	s_or_b64 exec, exec, s[8:9]
	v_mov_b32_e32 v7, 0
	s_and_saveexec_b64 s[8:9], s[6:7]
	s_cbranch_execnz .LBB9_538
	s_branch .LBB9_539
.LBB9_987:
	s_or_b64 s[2:3], s[50:51], exec
	s_trap 2
	s_cbranch_execz .LBB9_585
	s_branch .LBB9_586
.LBB9_988:
	s_andn2_saveexec_b64 s[6:7], s[6:7]
	s_cbranch_execz .LBB9_550
.LBB9_989:
	s_mov_b32 s8, 0x42800000
	v_add_f32_e64 v6, |v3|, s8
	v_and_b32_e32 v6, 0xff, v6
	v_cmp_ne_u32_e32 vcc, 0, v6
	s_andn2_b64 s[4:5], s[4:5], exec
	s_and_b64 s[8:9], vcc, exec
	s_or_b64 s[4:5], s[4:5], s[8:9]
	s_or_b64 exec, exec, s[6:7]
	v_mov_b32_e32 v7, 0
	s_and_saveexec_b64 s[6:7], s[4:5]
	s_cbranch_execnz .LBB9_551
	s_branch .LBB9_552
.LBB9_990:
	s_andn2_saveexec_b64 s[10:11], s[10:11]
	s_cbranch_execz .LBB9_655
.LBB9_991:
	s_mov_b32 s15, 0x46000000
	v_add_f32_e64 v6, |v3|, s15
	v_and_b32_e32 v6, 0xff, v6
	v_cmp_ne_u32_e32 vcc, 0, v6
	s_andn2_b64 s[8:9], s[8:9], exec
	s_and_b64 s[16:17], vcc, exec
	s_or_b64 s[8:9], s[8:9], s[16:17]
	s_or_b64 exec, exec, s[10:11]
	v_mov_b32_e32 v7, 0
	s_and_saveexec_b64 s[10:11], s[8:9]
	s_cbranch_execnz .LBB9_656
	s_branch .LBB9_657
.LBB9_992:
	s_trap 2
	s_or_b64 s[2:3], s[2:3], exec
	s_cbranch_execz .LBB9_703
	s_branch .LBB9_704
.LBB9_993:
	s_andn2_saveexec_b64 s[8:9], s[8:9]
	s_cbranch_execz .LBB9_668
.LBB9_994:
	s_mov_b32 s10, 0x42800000
	v_add_f32_e64 v6, |v3|, s10
	v_and_b32_e32 v6, 0xff, v6
	v_cmp_ne_u32_e32 vcc, 0, v6
	s_andn2_b64 s[6:7], s[6:7], exec
	s_and_b64 s[10:11], vcc, exec
	s_or_b64 s[6:7], s[6:7], s[10:11]
	s_or_b64 exec, exec, s[8:9]
	v_mov_b32_e32 v7, 0
	s_and_saveexec_b64 s[8:9], s[6:7]
	s_cbranch_execnz .LBB9_669
	s_branch .LBB9_670
.LBB9_995:
	s_andn2_saveexec_b64 s[10:11], s[10:11]
	s_cbranch_execz .LBB9_773
.LBB9_996:
	s_mov_b32 s15, 0x46000000
	v_add_f32_e64 v6, |v3|, s15
	v_and_b32_e32 v6, 0xff, v6
	v_cmp_ne_u32_e32 vcc, 0, v6
	s_andn2_b64 s[8:9], s[8:9], exec
	s_and_b64 s[16:17], vcc, exec
	s_or_b64 s[8:9], s[8:9], s[16:17]
	s_or_b64 exec, exec, s[10:11]
	v_mov_b32_e32 v7, 0
	s_and_saveexec_b64 s[10:11], s[8:9]
	s_cbranch_execnz .LBB9_774
	s_branch .LBB9_775
.LBB9_997:
	s_trap 2
	s_or_b64 s[2:3], s[2:3], exec
	s_cbranch_execz .LBB9_821
	s_branch .LBB9_822
.LBB9_998:
	s_andn2_saveexec_b64 s[6:7], s[6:7]
	s_cbranch_execz .LBB9_295
.LBB9_999:
	s_mov_b32 s10, 0x46000000
	v_add_f32_e64 v3, |v2|, s10
	v_and_b32_e32 v3, 0xff, v3
	v_cmp_ne_u32_e32 vcc, 0, v3
	s_andn2_b64 s[4:5], s[4:5], exec
	s_and_b64 s[10:11], vcc, exec
	s_or_b64 s[4:5], s[4:5], s[10:11]
	s_or_b64 exec, exec, s[6:7]
	v_mov_b32_e32 v6, 0
	s_and_saveexec_b64 s[6:7], s[4:5]
	s_cbranch_execnz .LBB9_296
	s_branch .LBB9_297
.LBB9_1000:
	s_andn2_saveexec_b64 s[8:9], s[8:9]
	s_cbranch_execz .LBB9_786
.LBB9_1001:
	s_mov_b32 s10, 0x42800000
	v_add_f32_e64 v6, |v3|, s10
	v_and_b32_e32 v6, 0xff, v6
	v_cmp_ne_u32_e32 vcc, 0, v6
	s_andn2_b64 s[6:7], s[6:7], exec
	s_and_b64 s[10:11], vcc, exec
	s_or_b64 s[6:7], s[6:7], s[10:11]
	s_or_b64 exec, exec, s[8:9]
	v_mov_b32_e32 v7, 0
	s_and_saveexec_b64 s[8:9], s[6:7]
	s_cbranch_execnz .LBB9_787
	s_branch .LBB9_788
.LBB9_1002:
	s_andn2_saveexec_b64 s[10:11], s[10:11]
	s_cbranch_execz .LBB9_853
.LBB9_1003:
	s_mov_b32 s14, 0x46000000
	v_add_f32_e64 v3, |v2|, s14
	v_and_b32_e32 v3, 0xff, v3
	v_cmp_ne_u32_e32 vcc, 0, v3
	s_andn2_b64 s[8:9], s[8:9], exec
	s_and_b64 s[14:15], vcc, exec
	s_or_b64 s[8:9], s[8:9], s[14:15]
	s_or_b64 exec, exec, s[10:11]
	v_mov_b32_e32 v6, 0
	s_and_saveexec_b64 s[10:11], s[8:9]
	s_cbranch_execnz .LBB9_854
	s_branch .LBB9_855
.LBB9_1004:
	s_mov_b64 s[4:5], 0
	s_or_b64 s[2:3], s[2:3], exec
	s_trap 2
	s_branch .LBB9_899
.LBB9_1005:
	s_andn2_saveexec_b64 s[6:7], s[6:7]
	s_cbranch_execz .LBB9_308
.LBB9_1006:
	s_mov_b32 s10, 0x42800000
	v_add_f32_e64 v3, |v2|, s10
	v_and_b32_e32 v3, 0xff, v3
	v_cmp_ne_u32_e32 vcc, 0, v3
	s_andn2_b64 s[4:5], s[4:5], exec
	s_and_b64 s[10:11], vcc, exec
	s_or_b64 s[4:5], s[4:5], s[10:11]
	s_or_b64 exec, exec, s[6:7]
	v_mov_b32_e32 v6, 0
	s_and_saveexec_b64 s[6:7], s[4:5]
	s_cbranch_execnz .LBB9_309
	s_branch .LBB9_310
.LBB9_1007:
	s_andn2_saveexec_b64 s[6:7], s[6:7]
	s_cbranch_execz .LBB9_417
.LBB9_1008:
	s_mov_b32 s8, 0x46000000
	v_add_f32_e64 v3, |v2|, s8
	v_and_b32_e32 v3, 0xff, v3
	v_cmp_ne_u32_e32 vcc, 0, v3
	s_andn2_b64 s[4:5], s[4:5], exec
	s_and_b64 s[8:9], vcc, exec
	s_or_b64 s[4:5], s[4:5], s[8:9]
	s_or_b64 exec, exec, s[6:7]
	v_mov_b32_e32 v6, 0
	s_and_saveexec_b64 s[6:7], s[4:5]
	s_cbranch_execnz .LBB9_418
	s_branch .LBB9_419
.LBB9_1009:
	s_andn2_saveexec_b64 s[8:9], s[8:9]
	s_cbranch_execz .LBB9_865
.LBB9_1010:
	s_mov_b32 s10, 0x42800000
	v_add_f32_e64 v3, |v2|, s10
	v_and_b32_e32 v3, 0xff, v3
	v_cmp_ne_u32_e32 vcc, 0, v3
	s_andn2_b64 s[6:7], s[6:7], exec
	s_and_b64 s[10:11], vcc, exec
	s_or_b64 s[6:7], s[6:7], s[10:11]
	s_or_b64 exec, exec, s[8:9]
	v_mov_b32_e32 v6, 0
	s_and_saveexec_b64 s[8:9], s[6:7]
	s_cbranch_execnz .LBB9_866
	s_branch .LBB9_867
.LBB9_1011:
	s_andn2_saveexec_b64 s[8:9], s[8:9]
	s_cbranch_execz .LBB9_429
.LBB9_1012:
	s_mov_b32 s12, 0x42800000
	v_add_f32_e64 v3, |v2|, s12
	v_and_b32_e32 v3, 0xff, v3
	v_cmp_ne_u32_e32 vcc, 0, v3
	s_andn2_b64 s[6:7], s[6:7], exec
	s_and_b64 s[12:13], vcc, exec
	s_or_b64 s[6:7], s[6:7], s[12:13]
	s_or_b64 exec, exec, s[8:9]
	v_mov_b32_e32 v6, 0
	s_and_saveexec_b64 s[8:9], s[6:7]
	s_cbranch_execnz .LBB9_430
	s_branch .LBB9_431
	.section	.rodata,"a",@progbits
	.p2align	6, 0x0
	.amdhsa_kernel _ZN2at6native32elementwise_kernel_manual_unrollILi128ELi4EZNS0_15gpu_kernel_implIZZZNS0_12_GLOBAL__N_119airy_ai_kernel_cudaERNS_18TensorIteratorBaseEENKUlvE_clEvENKUlvE_clEvEUldE_EEvS5_RKT_EUlibE_EEviT1_
		.amdhsa_group_segment_fixed_size 0
		.amdhsa_private_segment_fixed_size 0
		.amdhsa_kernarg_size 40
		.amdhsa_user_sgpr_count 2
		.amdhsa_user_sgpr_dispatch_ptr 0
		.amdhsa_user_sgpr_queue_ptr 0
		.amdhsa_user_sgpr_kernarg_segment_ptr 1
		.amdhsa_user_sgpr_dispatch_id 0
		.amdhsa_user_sgpr_kernarg_preload_length 0
		.amdhsa_user_sgpr_kernarg_preload_offset 0
		.amdhsa_user_sgpr_private_segment_size 0
		.amdhsa_uses_dynamic_stack 0
		.amdhsa_enable_private_segment 0
		.amdhsa_system_sgpr_workgroup_id_x 1
		.amdhsa_system_sgpr_workgroup_id_y 0
		.amdhsa_system_sgpr_workgroup_id_z 0
		.amdhsa_system_sgpr_workgroup_info 0
		.amdhsa_system_vgpr_workitem_id 0
		.amdhsa_next_free_vgpr 45
		.amdhsa_next_free_sgpr 64
		.amdhsa_accum_offset 48
		.amdhsa_reserve_vcc 1
		.amdhsa_float_round_mode_32 0
		.amdhsa_float_round_mode_16_64 0
		.amdhsa_float_denorm_mode_32 3
		.amdhsa_float_denorm_mode_16_64 3
		.amdhsa_dx10_clamp 1
		.amdhsa_ieee_mode 1
		.amdhsa_fp16_overflow 0
		.amdhsa_tg_split 0
		.amdhsa_exception_fp_ieee_invalid_op 0
		.amdhsa_exception_fp_denorm_src 0
		.amdhsa_exception_fp_ieee_div_zero 0
		.amdhsa_exception_fp_ieee_overflow 0
		.amdhsa_exception_fp_ieee_underflow 0
		.amdhsa_exception_fp_ieee_inexact 0
		.amdhsa_exception_int_div_zero 0
	.end_amdhsa_kernel
	.section	.text._ZN2at6native32elementwise_kernel_manual_unrollILi128ELi4EZNS0_15gpu_kernel_implIZZZNS0_12_GLOBAL__N_119airy_ai_kernel_cudaERNS_18TensorIteratorBaseEENKUlvE_clEvENKUlvE_clEvEUldE_EEvS5_RKT_EUlibE_EEviT1_,"axG",@progbits,_ZN2at6native32elementwise_kernel_manual_unrollILi128ELi4EZNS0_15gpu_kernel_implIZZZNS0_12_GLOBAL__N_119airy_ai_kernel_cudaERNS_18TensorIteratorBaseEENKUlvE_clEvENKUlvE_clEvEUldE_EEvS5_RKT_EUlibE_EEviT1_,comdat
.Lfunc_end9:
	.size	_ZN2at6native32elementwise_kernel_manual_unrollILi128ELi4EZNS0_15gpu_kernel_implIZZZNS0_12_GLOBAL__N_119airy_ai_kernel_cudaERNS_18TensorIteratorBaseEENKUlvE_clEvENKUlvE_clEvEUldE_EEvS5_RKT_EUlibE_EEviT1_, .Lfunc_end9-_ZN2at6native32elementwise_kernel_manual_unrollILi128ELi4EZNS0_15gpu_kernel_implIZZZNS0_12_GLOBAL__N_119airy_ai_kernel_cudaERNS_18TensorIteratorBaseEENKUlvE_clEvENKUlvE_clEvEUldE_EEvS5_RKT_EUlibE_EEviT1_
                                        ; -- End function
	.set _ZN2at6native32elementwise_kernel_manual_unrollILi128ELi4EZNS0_15gpu_kernel_implIZZZNS0_12_GLOBAL__N_119airy_ai_kernel_cudaERNS_18TensorIteratorBaseEENKUlvE_clEvENKUlvE_clEvEUldE_EEvS5_RKT_EUlibE_EEviT1_.num_vgpr, max(45, .L_ZN2at6native6invokeIZZZNS0_12_GLOBAL__N_119airy_ai_kernel_cudaERNS_18TensorIteratorBaseEENKUlvE_clEvENKUlvE_clEvEUldE_i15function_traitsIS7_EEENT1_11result_typeERKT_PrKPcPKT0_PKN3c1010ScalarTypeEi.num_vgpr)
	.set _ZN2at6native32elementwise_kernel_manual_unrollILi128ELi4EZNS0_15gpu_kernel_implIZZZNS0_12_GLOBAL__N_119airy_ai_kernel_cudaERNS_18TensorIteratorBaseEENKUlvE_clEvENKUlvE_clEvEUldE_EEvS5_RKT_EUlibE_EEviT1_.num_agpr, max(0, .L_ZN2at6native6invokeIZZZNS0_12_GLOBAL__N_119airy_ai_kernel_cudaERNS_18TensorIteratorBaseEENKUlvE_clEvENKUlvE_clEvEUldE_i15function_traitsIS7_EEENT1_11result_typeERKT_PrKPcPKT0_PKN3c1010ScalarTypeEi.num_agpr)
	.set _ZN2at6native32elementwise_kernel_manual_unrollILi128ELi4EZNS0_15gpu_kernel_implIZZZNS0_12_GLOBAL__N_119airy_ai_kernel_cudaERNS_18TensorIteratorBaseEENKUlvE_clEvENKUlvE_clEvEUldE_EEvS5_RKT_EUlibE_EEviT1_.numbered_sgpr, max(64, .L_ZN2at6native6invokeIZZZNS0_12_GLOBAL__N_119airy_ai_kernel_cudaERNS_18TensorIteratorBaseEENKUlvE_clEvENKUlvE_clEvEUldE_i15function_traitsIS7_EEENT1_11result_typeERKT_PrKPcPKT0_PKN3c1010ScalarTypeEi.numbered_sgpr)
	.set _ZN2at6native32elementwise_kernel_manual_unrollILi128ELi4EZNS0_15gpu_kernel_implIZZZNS0_12_GLOBAL__N_119airy_ai_kernel_cudaERNS_18TensorIteratorBaseEENKUlvE_clEvENKUlvE_clEvEUldE_EEvS5_RKT_EUlibE_EEviT1_.num_named_barrier, max(0, .L_ZN2at6native6invokeIZZZNS0_12_GLOBAL__N_119airy_ai_kernel_cudaERNS_18TensorIteratorBaseEENKUlvE_clEvENKUlvE_clEvEUldE_i15function_traitsIS7_EEENT1_11result_typeERKT_PrKPcPKT0_PKN3c1010ScalarTypeEi.num_named_barrier)
	.set _ZN2at6native32elementwise_kernel_manual_unrollILi128ELi4EZNS0_15gpu_kernel_implIZZZNS0_12_GLOBAL__N_119airy_ai_kernel_cudaERNS_18TensorIteratorBaseEENKUlvE_clEvENKUlvE_clEvEUldE_EEvS5_RKT_EUlibE_EEviT1_.private_seg_size, 0+max(.L_ZN2at6native6invokeIZZZNS0_12_GLOBAL__N_119airy_ai_kernel_cudaERNS_18TensorIteratorBaseEENKUlvE_clEvENKUlvE_clEvEUldE_i15function_traitsIS7_EEENT1_11result_typeERKT_PrKPcPKT0_PKN3c1010ScalarTypeEi.private_seg_size)
	.set _ZN2at6native32elementwise_kernel_manual_unrollILi128ELi4EZNS0_15gpu_kernel_implIZZZNS0_12_GLOBAL__N_119airy_ai_kernel_cudaERNS_18TensorIteratorBaseEENKUlvE_clEvENKUlvE_clEvEUldE_EEvS5_RKT_EUlibE_EEviT1_.uses_vcc, or(1, .L_ZN2at6native6invokeIZZZNS0_12_GLOBAL__N_119airy_ai_kernel_cudaERNS_18TensorIteratorBaseEENKUlvE_clEvENKUlvE_clEvEUldE_i15function_traitsIS7_EEENT1_11result_typeERKT_PrKPcPKT0_PKN3c1010ScalarTypeEi.uses_vcc)
	.set _ZN2at6native32elementwise_kernel_manual_unrollILi128ELi4EZNS0_15gpu_kernel_implIZZZNS0_12_GLOBAL__N_119airy_ai_kernel_cudaERNS_18TensorIteratorBaseEENKUlvE_clEvENKUlvE_clEvEUldE_EEvS5_RKT_EUlibE_EEviT1_.uses_flat_scratch, or(0, .L_ZN2at6native6invokeIZZZNS0_12_GLOBAL__N_119airy_ai_kernel_cudaERNS_18TensorIteratorBaseEENKUlvE_clEvENKUlvE_clEvEUldE_i15function_traitsIS7_EEENT1_11result_typeERKT_PrKPcPKT0_PKN3c1010ScalarTypeEi.uses_flat_scratch)
	.set _ZN2at6native32elementwise_kernel_manual_unrollILi128ELi4EZNS0_15gpu_kernel_implIZZZNS0_12_GLOBAL__N_119airy_ai_kernel_cudaERNS_18TensorIteratorBaseEENKUlvE_clEvENKUlvE_clEvEUldE_EEvS5_RKT_EUlibE_EEviT1_.has_dyn_sized_stack, or(0, .L_ZN2at6native6invokeIZZZNS0_12_GLOBAL__N_119airy_ai_kernel_cudaERNS_18TensorIteratorBaseEENKUlvE_clEvENKUlvE_clEvEUldE_i15function_traitsIS7_EEENT1_11result_typeERKT_PrKPcPKT0_PKN3c1010ScalarTypeEi.has_dyn_sized_stack)
	.set _ZN2at6native32elementwise_kernel_manual_unrollILi128ELi4EZNS0_15gpu_kernel_implIZZZNS0_12_GLOBAL__N_119airy_ai_kernel_cudaERNS_18TensorIteratorBaseEENKUlvE_clEvENKUlvE_clEvEUldE_EEvS5_RKT_EUlibE_EEviT1_.has_recursion, or(0, .L_ZN2at6native6invokeIZZZNS0_12_GLOBAL__N_119airy_ai_kernel_cudaERNS_18TensorIteratorBaseEENKUlvE_clEvENKUlvE_clEvEUldE_i15function_traitsIS7_EEENT1_11result_typeERKT_PrKPcPKT0_PKN3c1010ScalarTypeEi.has_recursion)
	.set _ZN2at6native32elementwise_kernel_manual_unrollILi128ELi4EZNS0_15gpu_kernel_implIZZZNS0_12_GLOBAL__N_119airy_ai_kernel_cudaERNS_18TensorIteratorBaseEENKUlvE_clEvENKUlvE_clEvEUldE_EEvS5_RKT_EUlibE_EEviT1_.has_indirect_call, or(0, .L_ZN2at6native6invokeIZZZNS0_12_GLOBAL__N_119airy_ai_kernel_cudaERNS_18TensorIteratorBaseEENKUlvE_clEvENKUlvE_clEvEUldE_i15function_traitsIS7_EEENT1_11result_typeERKT_PrKPcPKT0_PKN3c1010ScalarTypeEi.has_indirect_call)
	.section	.AMDGPU.csdata,"",@progbits
; Kernel info:
; codeLenInByte = 20824
; TotalNumSgprs: 70
; NumVgprs: 45
; NumAgprs: 0
; TotalNumVgprs: 45
; ScratchSize: 0
; MemoryBound: 0
; FloatMode: 240
; IeeeMode: 1
; LDSByteSize: 0 bytes/workgroup (compile time only)
; SGPRBlocks: 8
; VGPRBlocks: 5
; NumSGPRsForWavesPerEU: 70
; NumVGPRsForWavesPerEU: 45
; AccumOffset: 48
; Occupancy: 8
; WaveLimiterHint : 0
; COMPUTE_PGM_RSRC2:SCRATCH_EN: 0
; COMPUTE_PGM_RSRC2:USER_SGPR: 2
; COMPUTE_PGM_RSRC2:TRAP_HANDLER: 0
; COMPUTE_PGM_RSRC2:TGID_X_EN: 1
; COMPUTE_PGM_RSRC2:TGID_Y_EN: 0
; COMPUTE_PGM_RSRC2:TGID_Z_EN: 0
; COMPUTE_PGM_RSRC2:TIDIG_COMP_CNT: 0
; COMPUTE_PGM_RSRC3_GFX90A:ACCUM_OFFSET: 11
; COMPUTE_PGM_RSRC3_GFX90A:TG_SPLIT: 0
	.text
	.p2align	2                               ; -- Begin function _ZN2at6native6invokeIZZZNS0_12_GLOBAL__N_119airy_ai_kernel_cudaERNS_18TensorIteratorBaseEENKUlvE_clEvENKUlvE_clEvEUldE_j15function_traitsIS7_EEENT1_11result_typeERKT_PrKPcPKT0_PKN3c1010ScalarTypeEi
	.type	_ZN2at6native6invokeIZZZNS0_12_GLOBAL__N_119airy_ai_kernel_cudaERNS_18TensorIteratorBaseEENKUlvE_clEvENKUlvE_clEvEUldE_j15function_traitsIS7_EEENT1_11result_typeERKT_PrKPcPKT0_PKN3c1010ScalarTypeEi,@function
_ZN2at6native6invokeIZZZNS0_12_GLOBAL__N_119airy_ai_kernel_cudaERNS_18TensorIteratorBaseEENKUlvE_clEvENKUlvE_clEvEUldE_j15function_traitsIS7_EEENT1_11result_typeERKT_PrKPcPKT0_PKN3c1010ScalarTypeEi: ; @_ZN2at6native6invokeIZZZNS0_12_GLOBAL__N_119airy_ai_kernel_cudaERNS_18TensorIteratorBaseEENKUlvE_clEvENKUlvE_clEvEUldE_j15function_traitsIS7_EEENT1_11result_typeERKT_PrKPcPKT0_PKN3c1010ScalarTypeEi
; %bb.0:
	s_waitcnt vmcnt(0) expcnt(0) lgkmcnt(0)
	v_mov_b32_e32 v4, v3
	v_mov_b32_e32 v3, 0
	v_lshl_add_u64 v[0:1], v[0:1], 0, v[2:3]
	v_mov_b32_e32 v2, 10
	v_cmp_gt_i16_sdwa s[0:1], v4, v2 src0_sel:BYTE_0 src1_sel:DWORD
	s_mov_b64 s[4:5], 0
                                        ; implicit-def: $vgpr2_vgpr3
	s_and_saveexec_b64 s[2:3], s[0:1]
	s_xor_b64 s[0:1], exec, s[2:3]
	s_cbranch_execz .LBB10_55
; %bb.1:
	v_mov_b32_e32 v2, 25
	v_cmp_gt_i16_sdwa s[6:7], v4, v2 src0_sel:BYTE_0 src1_sel:DWORD
	s_mov_b64 s[2:3], 0
	s_mov_b64 s[8:9], 0
                                        ; implicit-def: $vgpr2_vgpr3
	s_and_saveexec_b64 s[10:11], s[6:7]
	s_xor_b64 s[6:7], exec, s[10:11]
	s_cbranch_execz .LBB10_98
; %bb.2:
	v_mov_b32_e32 v2, 28
	v_cmp_gt_i16_sdwa s[4:5], v4, v2 src0_sel:BYTE_0 src1_sel:DWORD
	s_mov_b64 s[10:11], 0
                                        ; implicit-def: $vgpr2_vgpr3
	s_and_saveexec_b64 s[12:13], s[4:5]
	s_xor_b64 s[4:5], exec, s[12:13]
	s_cbranch_execz .LBB10_18
; %bb.3:
	v_mov_b32_e32 v2, 43
	v_cmp_gt_i16_sdwa s[8:9], v4, v2 src0_sel:BYTE_0 src1_sel:DWORD
	s_mov_b64 s[12:13], 0
	s_mov_b64 s[14:15], 0
                                        ; implicit-def: $vgpr2_vgpr3
	s_and_saveexec_b64 s[10:11], s[8:9]
	s_xor_b64 s[8:9], exec, s[10:11]
	s_cbranch_execz .LBB10_13
; %bb.4:
	v_mov_b32_e32 v2, 45
	v_cmp_gt_i16_sdwa s[14:15], v4, v2 src0_sel:BYTE_0 src1_sel:DWORD
	s_mov_b64 s[10:11], 0
                                        ; implicit-def: $vgpr2_vgpr3
	s_and_saveexec_b64 s[16:17], s[14:15]
	s_xor_b64 s[14:15], exec, s[16:17]
	s_cbranch_execz .LBB10_8
; %bb.5:
	v_mov_b32_e32 v2, 46
	v_cmp_eq_u16_sdwa s[18:19], v4, v2 src0_sel:BYTE_0 src1_sel:DWORD
	s_mov_b64 s[16:17], -1
                                        ; implicit-def: $vgpr2_vgpr3
	s_and_saveexec_b64 s[12:13], s[18:19]
	s_cbranch_execz .LBB10_7
; %bb.6:
	flat_load_dword v2, v[0:1]
	s_mov_b64 s[10:11], exec
	s_xor_b64 s[16:17], exec, -1
	s_waitcnt vmcnt(0) lgkmcnt(0)
	v_lshlrev_b32_e32 v2, 16, v2
	v_cvt_f64_f32_e32 v[2:3], v2
.LBB10_7:
	s_or_b64 exec, exec, s[12:13]
	s_and_b64 s[12:13], s[10:11], exec
	s_and_b64 s[10:11], s[16:17], exec
                                        ; implicit-def: $vgpr4
.LBB10_8:
	s_andn2_saveexec_b64 s[14:15], s[14:15]
	s_cbranch_execz .LBB10_12
; %bb.9:
	v_mov_b32_e32 v2, 44
	v_cmp_eq_u16_sdwa s[22:23], v4, v2 src0_sel:BYTE_0 src1_sel:DWORD
	s_mov_b64 s[20:21], -1
	s_mov_b64 s[18:19], s[12:13]
                                        ; implicit-def: $vgpr2_vgpr3
	s_and_saveexec_b64 s[16:17], s[22:23]
	s_cbranch_execz .LBB10_11
; %bb.10:
	flat_load_ubyte v4, v[0:1]
	s_movk_i32 s20, 0xff
	v_bfrev_b32_e32 v5, 4
	v_mov_b32_e32 v6, 0x7ff80000
	v_bfrev_b32_e32 v7, 28
	s_or_b64 s[18:19], s[12:13], exec
	s_waitcnt vmcnt(0) lgkmcnt(0)
	v_lshlrev_b32_e32 v2, 23, v4
	v_cvt_f64_f32_e32 v[2:3], v2
	v_cmp_ne_u32_e32 vcc, s20, v4
	s_xor_b64 s[20:21], exec, -1
	s_nop 0
	v_cndmask_b32_e32 v2, v5, v2, vcc
	v_cndmask_b32_e32 v3, v6, v3, vcc
	v_cmp_ne_u32_e32 vcc, 0, v4
	s_nop 1
	v_cndmask_b32_e32 v3, v7, v3, vcc
	v_cndmask_b32_e32 v2, 0, v2, vcc
.LBB10_11:
	s_or_b64 exec, exec, s[16:17]
	s_andn2_b64 s[12:13], s[12:13], exec
	s_and_b64 s[16:17], s[18:19], exec
	s_or_b64 s[12:13], s[12:13], s[16:17]
	s_andn2_b64 s[10:11], s[10:11], exec
	s_and_b64 s[16:17], s[20:21], exec
	s_or_b64 s[10:11], s[10:11], s[16:17]
.LBB10_12:
	s_or_b64 exec, exec, s[14:15]
	s_and_b64 s[14:15], s[12:13], exec
	s_and_b64 s[12:13], s[10:11], exec
                                        ; implicit-def: $vgpr4
.LBB10_13:
	s_andn2_saveexec_b64 s[8:9], s[8:9]
	s_cbranch_execz .LBB10_17
; %bb.14:
	v_mov_b32_e32 v2, 29
	v_cmp_eq_u16_sdwa s[20:21], v4, v2 src0_sel:BYTE_0 src1_sel:DWORD
	s_mov_b64 s[10:11], -1
	s_mov_b64 s[16:17], s[14:15]
                                        ; implicit-def: $vgpr2_vgpr3
	s_and_saveexec_b64 s[18:19], s[20:21]
	s_cbranch_execz .LBB10_16
; %bb.15:
	flat_load_dwordx2 v[2:3], v[0:1]
	s_or_b64 s[16:17], s[14:15], exec
	s_xor_b64 s[10:11], exec, -1
	s_waitcnt vmcnt(0) lgkmcnt(0)
	v_cvt_f64_u32_e32 v[4:5], v3
	v_cvt_f64_u32_e32 v[2:3], v2
	v_ldexp_f64 v[4:5], v[4:5], 32
	v_add_f64 v[2:3], v[4:5], v[2:3]
.LBB10_16:
	s_or_b64 exec, exec, s[18:19]
	s_andn2_b64 s[14:15], s[14:15], exec
	s_and_b64 s[16:17], s[16:17], exec
	s_andn2_b64 s[12:13], s[12:13], exec
	s_and_b64 s[10:11], s[10:11], exec
	s_or_b64 s[14:15], s[14:15], s[16:17]
	s_or_b64 s[12:13], s[12:13], s[10:11]
.LBB10_17:
	s_or_b64 exec, exec, s[8:9]
	s_and_b64 s[10:11], s[14:15], exec
	s_and_b64 s[8:9], s[12:13], exec
                                        ; implicit-def: $vgpr4
.LBB10_18:
	s_andn2_saveexec_b64 s[4:5], s[4:5]
	s_cbranch_execz .LBB10_36
; %bb.19:
	v_mov_b32_e32 v2, 26
	v_cmp_gt_i16_sdwa s[12:13], v4, v2 src0_sel:BYTE_0 src1_sel:DWORD
                                        ; implicit-def: $vgpr2_vgpr3
	s_and_saveexec_b64 s[14:15], s[12:13]
	s_xor_b64 s[12:13], exec, s[14:15]
	s_cbranch_execz .LBB10_25
; %bb.20:
	v_mov_b32_e32 v2, 27
	v_cmp_gt_i16_sdwa s[14:15], v4, v2 src0_sel:BYTE_0 src1_sel:DWORD
                                        ; implicit-def: $vgpr2_vgpr3
	s_and_saveexec_b64 s[16:17], s[14:15]
	s_xor_b64 s[14:15], exec, s[16:17]
	s_cbranch_execz .LBB10_22
; %bb.21:
	flat_load_dword v2, v[0:1]
	s_waitcnt vmcnt(0) lgkmcnt(0)
	v_cvt_f64_u32_e32 v[2:3], v2
.LBB10_22:
	s_andn2_saveexec_b64 s[14:15], s[14:15]
	s_cbranch_execz .LBB10_24
; %bb.23:
	flat_load_ushort v2, v[0:1]
	s_waitcnt vmcnt(0) lgkmcnt(0)
	v_cvt_f64_u32_e32 v[2:3], v2
.LBB10_24:
	s_or_b64 exec, exec, s[14:15]
.LBB10_25:
	s_andn2_saveexec_b64 s[12:13], s[12:13]
	s_cbranch_execz .LBB10_35
; %bb.26:
	flat_load_ubyte v4, v[0:1]
	s_movk_i32 s14, 0x7f
	s_waitcnt vmcnt(0) lgkmcnt(0)
	v_cmp_lt_i16_e32 vcc, s14, v4
	s_mov_b64 s[14:15], 0
	s_and_saveexec_b64 s[16:17], vcc
	s_xor_b64 s[16:17], exec, s[16:17]
	s_cbranch_execz .LBB10_30
; %bb.27:
	s_movk_i32 s14, 0x80
	v_cmp_eq_u16_e32 vcc, s14, v4
	s_mov_b64 s[14:15], -1
	s_and_saveexec_b64 s[18:19], vcc
; %bb.28:
	s_xor_b64 s[14:15], exec, -1
; %bb.29:
	s_or_b64 exec, exec, s[18:19]
	s_and_b64 s[14:15], s[14:15], exec
.LBB10_30:
	s_or_saveexec_b64 s[16:17], s[16:17]
	v_bfrev_b32_e32 v2, 4
	v_mov_b32_e32 v3, 0x7ff80000
	s_xor_b64 exec, exec, s[16:17]
; %bb.31:
	v_cmp_ne_u16_e32 vcc, 0, v4
	s_andn2_b64 s[14:15], s[14:15], exec
	s_and_b64 s[18:19], vcc, exec
	v_mov_b64_e32 v[2:3], 0
	s_or_b64 s[14:15], s[14:15], s[18:19]
; %bb.32:
	s_or_b64 exec, exec, s[16:17]
	s_and_saveexec_b64 s[16:17], s[14:15]
	s_cbranch_execz .LBB10_34
; %bb.33:
	v_and_b32_e32 v3, 0xffff, v4
	v_lshlrev_b32_e32 v2, 24, v4
	v_and_b32_e32 v4, 7, v3
	v_ffbh_u32_e32 v6, v4
	v_min_u32_e32 v6, 32, v6
	v_subrev_u32_e32 v7, 28, v6
	v_bfe_u32 v5, v3, 3, 4
	v_lshlrev_b32_e32 v3, v7, v3
	v_sub_u32_e32 v6, 29, v6
	v_and_b32_e32 v3, 7, v3
	v_cmp_eq_u32_e32 vcc, 0, v5
	v_and_b32_e32 v2, 0x80000000, v2
	s_nop 0
	v_cndmask_b32_e32 v5, v5, v6, vcc
	v_cndmask_b32_e32 v3, v4, v3, vcc
	v_mov_b32_e32 v4, 0x3b800000
	v_lshlrev_b32_e32 v3, 20, v3
	v_lshl_add_u32 v4, v5, 23, v4
	v_or3_b32 v2, v2, v4, v3
	v_cvt_f64_f32_e32 v[2:3], v2
.LBB10_34:
	s_or_b64 exec, exec, s[16:17]
.LBB10_35:
	s_or_b64 exec, exec, s[12:13]
	s_or_b64 s[10:11], s[10:11], exec
.LBB10_36:
	s_or_b64 exec, exec, s[4:5]
	s_and_b64 s[4:5], s[10:11], exec
	s_and_b64 s[8:9], s[8:9], exec
                                        ; implicit-def: $vgpr4
	s_andn2_saveexec_b64 s[6:7], s[6:7]
	s_cbranch_execnz .LBB10_99
.LBB10_37:
	s_or_b64 exec, exec, s[6:7]
	s_and_saveexec_b64 s[6:7], s[8:9]
	s_cbranch_execnz .LBB10_126
.LBB10_38:
	s_or_b64 exec, exec, s[6:7]
	s_and_saveexec_b64 s[6:7], s[2:3]
	s_xor_b64 s[2:3], exec, s[6:7]
	s_cbranch_execz .LBB10_40
.LBB10_39:
	flat_load_ubyte v0, v[0:1]
	v_mov_b32_e32 v1, 0x3ff00000
	v_mov_b32_e32 v2, 0
	s_or_b64 s[4:5], s[4:5], exec
	s_waitcnt vmcnt(0) lgkmcnt(0)
	v_cmp_ne_u16_e32 vcc, 0, v0
	s_nop 1
	v_cndmask_b32_e32 v3, 0, v1, vcc
.LBB10_40:
	s_or_b64 exec, exec, s[2:3]
	s_and_b64 s[4:5], s[4:5], exec
                                        ; implicit-def: $vgpr4
                                        ; implicit-def: $vgpr0_vgpr1
	s_andn2_saveexec_b64 s[0:1], s[0:1]
	s_cbranch_execnz .LBB10_56
.LBB10_41:
	s_or_b64 exec, exec, s[0:1]
                                        ; implicit-def: $vgpr0_vgpr1
	s_and_saveexec_b64 s[2:3], s[4:5]
	s_cbranch_execz .LBB10_97
.LBB10_42:
	s_mov_b32 s0, 0
	s_mov_b32 s1, 0x7ff00000
	v_mov_b32_e32 v0, 0
	s_waitcnt vmcnt(0) lgkmcnt(0)
	v_cmp_neq_f64_e64 s[0:1], |v[2:3]|, s[0:1]
	v_mov_b32_e32 v1, 0x7ff80000
	s_and_saveexec_b64 s[4:5], s[0:1]
	s_cbranch_execz .LBB10_136
; %bb.43:
	s_mov_b32 s0, 0x872b020c
	s_mov_b32 s1, 0x4059f916
	v_cmp_nlt_f64_e32 vcc, s[0:1], v[2:3]
	v_mov_b64_e32 v[0:1], 0
	s_and_saveexec_b64 s[6:7], vcc
	s_cbranch_execz .LBB10_135
; %bb.44:
	s_mov_b32 s1, 0xc000b851
	s_mov_b32 s0, 0xeb851eb8
	v_cmp_ngt_f64_e32 vcc, s[0:1], v[2:3]
                                        ; implicit-def: $vgpr0_vgpr1
	s_and_saveexec_b64 s[8:9], vcc
	s_xor_b64 s[8:9], exec, s[8:9]
	s_cbranch_execz .LBB10_52
; %bb.45:
	s_mov_b32 s1, 0x4000b851
	v_cmp_nle_f64_e64 s[10:11], s[0:1], v[2:3]
	v_cmp_le_f64_e32 vcc, s[0:1], v[2:3]
	v_mov_b64_e32 v[0:1], 0
	s_mov_b64 s[0:1], s[10:11]
	s_and_saveexec_b64 s[12:13], vcc
	s_cbranch_execz .LBB10_47
; %bb.46:
	s_mov_b32 s0, 0
	s_brev_b32 s1, 8
	v_mov_b32_e32 v18, 0x100
	v_cmp_gt_f64_e32 vcc, s[0:1], v[2:3]
	v_mov_b32_e32 v19, 0xffffff80
	v_mov_b32_e32 v20, 0x260
	v_cndmask_b32_e32 v0, 0, v18, vcc
	v_ldexp_f64 v[0:1], v[2:3], v0
	v_rsq_f64_e32 v[4:5], v[0:1]
	v_add_f64 v[6:7], v[2:3], v[2:3]
	s_mov_b32 s14, 0
	s_mov_b32 s15, 0x40080000
	v_mul_f64 v[8:9], v[0:1], v[4:5]
	v_mul_f64 v[4:5], v[4:5], 0.5
	v_fma_f64 v[10:11], -v[4:5], v[8:9], 0.5
	v_fmac_f64_e32 v[8:9], v[8:9], v[10:11]
	v_fma_f64 v[12:13], -v[8:9], v[8:9], v[0:1]
	v_fmac_f64_e32 v[4:5], v[4:5], v[10:11]
	v_fmac_f64_e32 v[8:9], v[12:13], v[4:5]
	v_fma_f64 v[10:11], -v[8:9], v[8:9], v[0:1]
	v_fmac_f64_e32 v[8:9], v[10:11], v[4:5]
	v_cndmask_b32_e32 v4, 0, v19, vcc
	v_ldexp_f64 v[4:5], v[8:9], v4
	v_cmp_class_f64_e32 vcc, v[0:1], v20
	s_nop 1
	v_cndmask_b32_e32 v5, v5, v1, vcc
	v_cndmask_b32_e32 v4, v4, v0, vcc
	v_mul_f64 v[0:1], v[6:7], v[4:5]
	v_div_scale_f64 v[6:7], s[16:17], s[14:15], s[14:15], v[0:1]
	v_rcp_f64_e32 v[8:9], v[6:7]
	s_nop 0
	v_fma_f64 v[10:11], -v[6:7], v[8:9], 1.0
	v_fmac_f64_e32 v[8:9], v[8:9], v[10:11]
	v_fma_f64 v[10:11], -v[6:7], v[8:9], 1.0
	v_fmac_f64_e32 v[8:9], v[8:9], v[10:11]
	v_div_scale_f64 v[10:11], vcc, v[0:1], s[14:15], v[0:1]
	v_mul_f64 v[12:13], v[10:11], v[8:9]
	v_fma_f64 v[6:7], -v[6:7], v[12:13], v[10:11]
	s_nop 1
	v_div_fmas_f64 v[6:7], v[6:7], v[8:9], v[12:13]
	v_div_fixup_f64 v[0:1], v[6:7], s[14:15], v[0:1]
	v_div_scale_f64 v[6:7], s[14:15], v[0:1], v[0:1], 1.0
	v_rcp_f64_e32 v[8:9], v[6:7]
	s_nop 0
	v_fma_f64 v[10:11], -v[6:7], v[8:9], 1.0
	v_fmac_f64_e32 v[8:9], v[8:9], v[10:11]
	v_fma_f64 v[10:11], -v[6:7], v[8:9], 1.0
	v_fmac_f64_e32 v[8:9], v[8:9], v[10:11]
	v_div_scale_f64 v[10:11], vcc, 1.0, v[0:1], 1.0
	v_mul_f64 v[12:13], v[10:11], v[8:9]
	v_fma_f64 v[6:7], -v[6:7], v[12:13], v[10:11]
	v_mov_b32_e32 v10, 0x871a9067
	s_nop 0
	v_div_fmas_f64 v[6:7], v[6:7], v[8:9], v[12:13]
	v_div_fixup_f64 v[6:7], v[6:7], v[0:1], 1.0
	v_mov_b32_e32 v8, 0x2537b658
	v_mov_b32_e32 v9, 0x3fd62dae
	v_fmac_f64_e32 v[8:9], 0, v[6:7]
	v_mov_b32_e32 v11, 0x402803e3
	v_fmac_f64_e32 v[10:11], v[6:7], v[8:9]
	v_mov_b32_e32 v8, 0xde2e1e3
	v_mov_b32_e32 v9, 0x405311e5
	v_fmac_f64_e32 v[8:9], v[6:7], v[10:11]
	v_mov_b32_e32 v10, 0xee40073c
	;; [unrolled: 3-line block ×12, first 2 shown]
	v_mov_b32_e32 v11, 0x402c311b
	v_fmac_f64_e32 v[10:11], v[6:7], v[12:13]
	v_fma_f64 v[10:11], v[6:7], v[10:11], 1.0
	v_fma_f64 v[6:7], v[6:7], v[8:9], 1.0
	v_div_scale_f64 v[8:9], s[14:15], v[10:11], v[10:11], v[6:7]
	v_rcp_f64_e32 v[12:13], v[8:9]
	s_nop 0
	v_fma_f64 v[14:15], -v[8:9], v[12:13], 1.0
	v_fmac_f64_e32 v[12:13], v[12:13], v[14:15]
	v_fma_f64 v[14:15], -v[8:9], v[12:13], 1.0
	v_fmac_f64_e32 v[12:13], v[12:13], v[14:15]
	v_div_scale_f64 v[14:15], vcc, v[6:7], v[10:11], v[6:7]
	v_mul_f64 v[16:17], v[14:15], v[12:13]
	v_fma_f64 v[8:9], -v[8:9], v[16:17], v[14:15]
	s_nop 1
	v_div_fmas_f64 v[8:9], v[8:9], v[12:13], v[16:17]
	v_cmp_gt_f64_e32 vcc, s[0:1], v[4:5]
	v_div_fixup_f64 v[6:7], v[8:9], v[10:11], v[6:7]
	s_mov_b32 s0, 0x50429b6d
	v_cndmask_b32_e32 v8, 0, v18, vcc
	v_ldexp_f64 v[8:9], v[4:5], v8
	v_rsq_f64_e32 v[10:11], v[8:9]
	s_mov_b32 s1, 0x3fe20dd7
	v_mul_f64 v[4:5], v[6:7], s[0:1]
	s_mov_b32 s0, 0x652b82fe
	v_mul_f64 v[6:7], v[8:9], v[10:11]
	v_mul_f64 v[10:11], v[10:11], 0.5
	v_fma_f64 v[12:13], -v[10:11], v[6:7], 0.5
	v_fmac_f64_e32 v[6:7], v[6:7], v[12:13]
	v_fma_f64 v[14:15], -v[6:7], v[6:7], v[8:9]
	v_fmac_f64_e32 v[10:11], v[10:11], v[12:13]
	v_fmac_f64_e32 v[6:7], v[14:15], v[10:11]
	v_fma_f64 v[12:13], -v[6:7], v[6:7], v[8:9]
	v_fmac_f64_e32 v[6:7], v[12:13], v[10:11]
	v_cndmask_b32_e32 v10, 0, v19, vcc
	v_ldexp_f64 v[6:7], v[6:7], v10
	v_cmp_class_f64_e32 vcc, v[8:9], v20
	s_mov_b32 s1, 0x3ff71547
	v_mov_b32_e32 v12, 0xfca7ab0c
	v_cndmask_b32_e32 v7, v7, v9, vcc
	v_cndmask_b32_e32 v6, v6, v8, vcc
	v_mul_f64 v[8:9], v[0:1], s[0:1]
	s_mov_b32 s0, 0xfefa39ef
	v_rndne_f64_e32 v[8:9], v[8:9]
	s_mov_b32 s1, 0xbfe62e42
	v_fma_f64 v[10:11], s[0:1], v[8:9], v[0:1]
	s_mov_b32 s0, 0x3b39803f
	s_mov_b32 s1, 0xbc7abc9e
	v_fmac_f64_e32 v[10:11], s[0:1], v[8:9]
	s_mov_b32 s0, 0x6a5dcb37
	v_mov_b32_e32 v13, 0x3e928af3
	s_mov_b32 s1, 0x3e5ade15
	v_fmac_f64_e32 v[12:13], s[0:1], v[10:11]
	v_mov_b32_e32 v14, 0x623fde64
	v_mov_b32_e32 v15, 0x3ec71dee
	v_fmac_f64_e32 v[14:15], v[10:11], v[12:13]
	v_mov_b32_e32 v12, 0x7c89e6b0
	v_mov_b32_e32 v13, 0x3efa0199
	;; [unrolled: 3-line block ×8, first 2 shown]
	s_mov_b32 s0, 0
	v_fmac_f64_e32 v[12:13], v[10:11], v[14:15]
	s_mov_b32 s1, 0x40900000
	v_fma_f64 v[12:13], v[10:11], v[12:13], 1.0
	v_cmp_nlt_f64_e32 vcc, s[0:1], v[0:1]
	s_mov_b32 s0, 0
	v_fma_f64 v[10:11], v[10:11], v[12:13], 1.0
	v_cvt_i32_f64_e32 v8, v[8:9]
	s_mov_b32 s1, 0xc090cc00
	v_ldexp_f64 v[8:9], v[10:11], v8
	v_mov_b32_e32 v10, 0x7ff00000
	v_cmp_ngt_f64_e64 s[0:1], s[0:1], v[0:1]
	v_cndmask_b32_e32 v9, v10, v9, vcc
	s_and_b64 vcc, s[0:1], vcc
	v_add_f64 v[6:7], v[6:7], v[6:7]
	v_cndmask_b32_e64 v1, 0, v9, s[0:1]
	v_cndmask_b32_e32 v0, 0, v8, vcc
	v_mul_f64 v[0:1], v[6:7], v[0:1]
	v_div_scale_f64 v[6:7], s[0:1], v[0:1], v[0:1], v[4:5]
	v_rcp_f64_e32 v[8:9], v[6:7]
	s_mov_b32 s0, 0xfd0a823a
	s_mov_b32 s1, 0x4020a402
	v_fma_f64 v[10:11], -v[6:7], v[8:9], 1.0
	v_fmac_f64_e32 v[8:9], v[8:9], v[10:11]
	v_fma_f64 v[10:11], -v[6:7], v[8:9], 1.0
	v_fmac_f64_e32 v[8:9], v[8:9], v[10:11]
	v_div_scale_f64 v[10:11], vcc, v[4:5], v[0:1], v[4:5]
	v_mul_f64 v[12:13], v[10:11], v[8:9]
	v_fma_f64 v[6:7], -v[6:7], v[12:13], v[10:11]
	s_nop 1
	v_div_fmas_f64 v[6:7], v[6:7], v[8:9], v[12:13]
	v_cmp_nlt_f64_e32 vcc, s[0:1], v[2:3]
	s_andn2_b64 s[0:1], s[10:11], exec
	s_and_b64 s[14:15], vcc, exec
	v_div_fixup_f64 v[0:1], v[6:7], v[0:1], v[4:5]
	s_or_b64 s[0:1], s[0:1], s[14:15]
.LBB10_47:
	s_or_b64 exec, exec, s[12:13]
	s_and_saveexec_b64 s[12:13], s[0:1]
	s_cbranch_execz .LBB10_51
; %bb.48:
	v_mul_f64 v[4:5], v[2:3], v[2:3]
	s_mov_b32 s16, 0
	v_mul_f64 v[6:7], v[2:3], v[4:5]
	v_mov_b64_e32 v[12:13], 1.0
	s_mov_b64 s[14:15], 0
	v_mov_b64_e32 v[10:11], 1.0
	s_mov_b32 s17, 0x3cb00000
	v_mov_b64_e32 v[8:9], v[2:3]
	v_mov_b64_e32 v[4:5], 1.0
.LBB10_49:                              ; =>This Inner Loop Header: Depth=1
	v_mul_f64 v[12:13], v[6:7], v[12:13]
	v_add_f64 v[14:15], v[10:11], 1.0
	v_mul_f64 v[2:3], v[6:7], v[2:3]
	v_div_scale_f64 v[16:17], s[0:1], v[14:15], v[14:15], v[12:13]
	v_add_f64 v[20:21], v[14:15], 1.0
	v_rcp_f64_e32 v[22:23], v[16:17]
	v_div_scale_f64 v[24:25], s[0:1], v[20:21], v[20:21], v[2:3]
	v_rcp_f64_e32 v[28:29], v[24:25]
	v_fma_f64 v[30:31], -v[16:17], v[22:23], 1.0
	v_fmac_f64_e32 v[22:23], v[22:23], v[30:31]
	v_fma_f64 v[32:33], -v[16:17], v[22:23], 1.0
	v_fma_f64 v[30:31], -v[24:25], v[28:29], 1.0
	v_fmac_f64_e32 v[28:29], v[28:29], v[30:31]
	v_div_scale_f64 v[18:19], vcc, v[12:13], v[14:15], v[12:13]
	v_fmac_f64_e32 v[22:23], v[22:23], v[32:33]
	v_fma_f64 v[30:31], -v[24:25], v[28:29], 1.0
	v_div_scale_f64 v[26:27], s[0:1], v[2:3], v[20:21], v[2:3]
	v_mul_f64 v[32:33], v[18:19], v[22:23]
	v_fmac_f64_e32 v[28:29], v[28:29], v[30:31]
	v_fma_f64 v[16:17], -v[16:17], v[32:33], v[18:19]
	v_mul_f64 v[18:19], v[26:27], v[28:29]
	v_div_fmas_f64 v[16:17], v[16:17], v[22:23], v[32:33]
	v_fma_f64 v[22:23], -v[24:25], v[18:19], v[26:27]
	s_mov_b64 vcc, s[0:1]
	v_div_fixup_f64 v[12:13], v[16:17], v[14:15], v[12:13]
	v_div_fmas_f64 v[14:15], v[22:23], v[28:29], v[18:19]
	v_div_fixup_f64 v[2:3], v[14:15], v[20:21], v[2:3]
	v_div_scale_f64 v[14:15], s[0:1], v[20:21], v[20:21], v[12:13]
	v_add_f64 v[10:11], v[20:21], 1.0
	v_rcp_f64_e32 v[18:19], v[14:15]
	v_div_scale_f64 v[22:23], s[0:1], v[10:11], v[10:11], v[2:3]
	v_rcp_f64_e32 v[26:27], v[22:23]
	v_fma_f64 v[28:29], -v[14:15], v[18:19], 1.0
	v_fmac_f64_e32 v[18:19], v[18:19], v[28:29]
	v_fma_f64 v[30:31], -v[14:15], v[18:19], 1.0
	v_fma_f64 v[28:29], -v[22:23], v[26:27], 1.0
	v_div_scale_f64 v[16:17], vcc, v[12:13], v[20:21], v[12:13]
	v_fmac_f64_e32 v[26:27], v[26:27], v[28:29]
	v_fmac_f64_e32 v[18:19], v[18:19], v[30:31]
	v_fma_f64 v[28:29], -v[22:23], v[26:27], 1.0
	v_mul_f64 v[30:31], v[16:17], v[18:19]
	v_div_scale_f64 v[24:25], s[0:1], v[2:3], v[10:11], v[2:3]
	v_fmac_f64_e32 v[26:27], v[26:27], v[28:29]
	v_fma_f64 v[14:15], -v[14:15], v[30:31], v[16:17]
	v_mul_f64 v[16:17], v[24:25], v[26:27]
	v_div_fmas_f64 v[14:15], v[14:15], v[18:19], v[30:31]
	v_fma_f64 v[18:19], -v[22:23], v[16:17], v[24:25]
	v_div_fixup_f64 v[12:13], v[14:15], v[20:21], v[12:13]
	s_mov_b64 vcc, s[0:1]
	v_div_fmas_f64 v[14:15], v[18:19], v[26:27], v[16:17]
	v_add_f64 v[4:5], v[4:5], v[12:13]
	v_div_fixup_f64 v[2:3], v[14:15], v[10:11], v[2:3]
	v_div_scale_f64 v[14:15], s[0:1], v[4:5], v[4:5], v[12:13]
	v_rcp_f64_e32 v[16:17], v[14:15]
	v_div_scale_f64 v[18:19], vcc, v[12:13], v[4:5], v[12:13]
	v_add_f64 v[8:9], v[8:9], v[2:3]
	v_fma_f64 v[20:21], -v[14:15], v[16:17], 1.0
	v_fmac_f64_e32 v[16:17], v[16:17], v[20:21]
	v_fma_f64 v[20:21], -v[14:15], v[16:17], 1.0
	v_fmac_f64_e32 v[16:17], v[16:17], v[20:21]
	v_mul_f64 v[20:21], v[18:19], v[16:17]
	v_fma_f64 v[14:15], -v[14:15], v[20:21], v[18:19]
	v_div_fmas_f64 v[14:15], v[14:15], v[16:17], v[20:21]
	v_div_fixup_f64 v[14:15], v[14:15], v[4:5], v[12:13]
	v_cmp_ngt_f64_e64 s[0:1], |v[14:15]|, s[16:17]
	s_or_b64 s[14:15], s[0:1], s[14:15]
	s_andn2_b64 exec, exec, s[14:15]
	s_cbranch_execnz .LBB10_49
; %bb.50:
	s_or_b64 exec, exec, s[14:15]
	s_mov_b32 s0, 0x42b70f8b
	s_mov_b32 s1, 0xbfd0907f
	v_mul_f64 v[2:3], v[8:9], s[0:1]
	s_mov_b32 s0, 0x962715b8
	s_mov_b32 s1, 0x3fd6b8c7
	v_fmac_f64_e32 v[2:3], s[0:1], v[4:5]
	v_cndmask_b32_e64 v1, v1, v3, s[10:11]
	v_cndmask_b32_e64 v0, v0, v2, s[10:11]
.LBB10_51:
	s_or_b64 exec, exec, s[12:13]
                                        ; implicit-def: $vgpr2_vgpr3
.LBB10_52:
	s_andn2_saveexec_b64 s[8:9], s[8:9]
	s_cbranch_execz .LBB10_134
; %bb.53:
	s_mov_b32 s0, 0
	s_brev_b32 s1, 9
	v_mov_b32_e32 v0, 0x100
	v_cmp_lt_f64_e32 vcc, s[0:1], v[2:3]
	s_mov_b32 s10, 0
	s_mov_b32 s11, 0x40080000
	v_cndmask_b32_e32 v0, 0, v0, vcc
	v_ldexp_f64 v[0:1], -v[2:3], v0
	v_rsq_f64_e32 v[4:5], v[0:1]
	v_mul_f64 v[2:3], v[2:3], -2.0
	s_mov_b32 s13, 0x3fe921fb
	s_mov_b32 s12, 0x54442d18
	v_mul_f64 v[6:7], v[0:1], v[4:5]
	v_mul_f64 v[4:5], v[4:5], 0.5
	v_fma_f64 v[8:9], -v[4:5], v[6:7], 0.5
	v_fmac_f64_e32 v[6:7], v[6:7], v[8:9]
	v_fma_f64 v[10:11], -v[6:7], v[6:7], v[0:1]
	v_fmac_f64_e32 v[4:5], v[4:5], v[8:9]
	v_fmac_f64_e32 v[6:7], v[10:11], v[4:5]
	v_fma_f64 v[8:9], -v[6:7], v[6:7], v[0:1]
	v_fmac_f64_e32 v[6:7], v[8:9], v[4:5]
	v_mov_b32_e32 v4, 0xffffff80
	v_cndmask_b32_e32 v4, 0, v4, vcc
	v_ldexp_f64 v[4:5], v[6:7], v4
	v_mov_b32_e32 v6, 0x260
	v_cmp_class_f64_e32 vcc, v[0:1], v6
                                        ; implicit-def: $vgpr23
                                        ; implicit-def: $vgpr12_vgpr13
	s_nop 1
	v_cndmask_b32_e32 v1, v5, v1, vcc
	v_cndmask_b32_e32 v0, v4, v0, vcc
	v_mul_f64 v[2:3], v[2:3], v[0:1]
	v_div_scale_f64 v[4:5], s[0:1], s[10:11], s[10:11], v[2:3]
	v_rcp_f64_e32 v[6:7], v[4:5]
	s_movk_i32 s0, 0xff80
	v_fma_f64 v[8:9], -v[4:5], v[6:7], 1.0
	v_fmac_f64_e32 v[6:7], v[6:7], v[8:9]
	v_fma_f64 v[8:9], -v[4:5], v[6:7], 1.0
	v_fmac_f64_e32 v[6:7], v[6:7], v[8:9]
	v_div_scale_f64 v[8:9], vcc, v[2:3], s[10:11], v[2:3]
	v_mul_f64 v[10:11], v[8:9], v[6:7]
	v_fma_f64 v[4:5], -v[4:5], v[10:11], v[8:9]
	s_nop 1
	v_div_fmas_f64 v[4:5], v[4:5], v[6:7], v[10:11]
	v_div_fixup_f64 v[8:9], v[4:5], s[10:11], v[2:3]
	s_mov_b32 s10, 0
	v_add_f64 v[2:3], v[8:9], s[12:13]
	s_mov_b32 s11, 0x41d00000
	v_cmp_nlt_f64_e64 s[10:11], |v[2:3]|, s[10:11]
	v_trig_preop_f64 v[18:19], |v[2:3]|, 0
	v_trig_preop_f64 v[16:17], |v[2:3]|, 1
	;; [unrolled: 1-line block ×3, first 2 shown]
                                        ; implicit-def: $vgpr10_vgpr11
	s_and_saveexec_b64 s[14:15], s[10:11]
	s_xor_b64 s[14:15], exec, s[14:15]
	s_cbranch_execz .LBB10_127
; %bb.54:
	s_mov_b32 s16, 0
	s_mov_b32 s17, 0x7b000000
	v_and_b32_e32 v6, 0x7fffffff, v3
	v_ldexp_f64 v[4:5], |v[2:3]|, s0
	v_cmp_ge_f64_e64 vcc, |v[2:3]|, s[16:17]
	s_mov_b32 s0, 0
	s_mov_b32 s1, 0x7ff00000
	v_cndmask_b32_e32 v5, v6, v5, vcc
	v_cndmask_b32_e32 v4, v2, v4, vcc
	v_mul_f64 v[10:11], v[18:19], v[4:5]
	v_mul_f64 v[6:7], v[16:17], v[4:5]
	v_fma_f64 v[12:13], v[18:19], v[4:5], -v[10:11]
	v_add_f64 v[20:21], v[6:7], v[12:13]
	v_add_f64 v[28:29], v[20:21], -v[6:7]
	v_add_f64 v[12:13], v[12:13], -v[28:29]
	;; [unrolled: 1-line block ×4, first 2 shown]
	v_add_f64 v[12:13], v[12:13], v[28:29]
	v_fma_f64 v[6:7], v[16:17], v[4:5], -v[6:7]
	v_mul_f64 v[28:29], v[14:15], v[4:5]
	v_add_f64 v[30:31], v[28:29], v[6:7]
	v_add_f64 v[22:23], v[10:11], v[20:21]
	;; [unrolled: 1-line block ×3, first 2 shown]
	v_ldexp_f64 v[24:25], v[22:23], -2
	v_add_f64 v[10:11], v[22:23], -v[10:11]
	v_add_f64 v[22:23], v[32:33], -v[30:31]
	v_add_f64 v[12:13], v[12:13], -v[22:23]
	v_add_f64 v[22:23], v[32:33], -v[22:23]
	v_add_f64 v[22:23], v[30:31], -v[22:23]
	v_add_f64 v[12:13], v[12:13], v[22:23]
	v_add_f64 v[22:23], v[30:31], -v[28:29]
	v_add_f64 v[6:7], v[6:7], -v[22:23]
	;; [unrolled: 1-line block ×5, first 2 shown]
	v_add_f64 v[6:7], v[6:7], v[22:23]
	v_fract_f64_e32 v[26:27], v[24:25]
	v_add_f64 v[20:21], v[10:11], v[32:33]
	v_add_f64 v[6:7], v[6:7], v[12:13]
	v_fma_f64 v[4:5], v[14:15], v[4:5], -v[28:29]
	v_add_f64 v[10:11], v[20:21], -v[10:11]
	v_add_f64 v[4:5], v[4:5], v[6:7]
	v_ldexp_f64 v[6:7], v[26:27], 2
	v_cmp_neq_f64_e64 vcc, |v[24:25]|, s[0:1]
	v_add_f64 v[10:11], v[32:33], -v[10:11]
	v_add_f64 v[4:5], v[10:11], v[4:5]
	v_cndmask_b32_e32 v7, 0, v7, vcc
	v_cndmask_b32_e32 v6, 0, v6, vcc
	v_add_f64 v[10:11], v[20:21], v[6:7]
	v_mov_b32_e32 v12, 0x40100000
	v_cmp_gt_f64_e32 vcc, 0, v[10:11]
	v_mov_b32_e32 v10, 0
	s_mov_b32 s13, 0x3ff921fb
	v_cndmask_b32_e32 v11, 0, v12, vcc
	v_add_f64 v[6:7], v[6:7], v[10:11]
	v_add_f64 v[12:13], v[20:21], v[6:7]
	v_cvt_i32_f64_e32 v11, v[12:13]
	v_cvt_f64_i32_e32 v[12:13], v11
	v_add_f64 v[6:7], v[6:7], -v[12:13]
	v_add_f64 v[12:13], v[20:21], v[6:7]
	v_add_f64 v[6:7], v[12:13], -v[6:7]
	v_add_f64 v[6:7], v[20:21], -v[6:7]
	v_add_f64 v[4:5], v[4:5], v[6:7]
	v_cmp_le_f64_e32 vcc, 0.5, v[12:13]
	v_mov_b32_e32 v6, 0x3ff00000
	s_nop 0
	v_addc_co_u32_e64 v23, s[0:1], 0, v11, vcc
	v_cndmask_b32_e32 v11, 0, v6, vcc
	v_add_f64 v[6:7], v[12:13], -v[10:11]
	v_add_f64 v[10:11], v[6:7], v[4:5]
	v_add_f64 v[6:7], v[10:11], -v[6:7]
	v_add_f64 v[4:5], v[4:5], -v[6:7]
	v_mul_f64 v[6:7], v[10:11], s[12:13]
	s_mov_b32 s0, 0x33145c07
	v_fma_f64 v[12:13], v[10:11], s[12:13], -v[6:7]
	s_mov_b32 s1, 0x3c91a626
	v_fmac_f64_e32 v[12:13], s[0:1], v[10:11]
	v_fmac_f64_e32 v[12:13], s[12:13], v[4:5]
	v_add_f64 v[10:11], v[6:7], v[12:13]
	v_add_f64 v[4:5], v[10:11], -v[6:7]
	v_add_f64 v[12:13], v[12:13], -v[4:5]
	s_andn2_saveexec_b64 s[0:1], s[14:15]
	s_cbranch_execz .LBB10_129
	s_branch .LBB10_128
.LBB10_55:
	s_andn2_saveexec_b64 s[0:1], s[0:1]
	s_cbranch_execz .LBB10_41
.LBB10_56:
	v_mov_b32_e32 v2, 4
	v_cmp_gt_i16_sdwa s[2:3], v4, v2 src0_sel:BYTE_0 src1_sel:DWORD
                                        ; implicit-def: $vgpr2_vgpr3
	s_and_saveexec_b64 s[6:7], s[2:3]
	s_xor_b64 s[2:3], exec, s[6:7]
	s_cbranch_execz .LBB10_78
; %bb.57:
	v_mov_b32_e32 v2, 7
	v_cmp_gt_i16_sdwa s[6:7], v4, v2 src0_sel:BYTE_0 src1_sel:DWORD
                                        ; implicit-def: $vgpr2_vgpr3
	s_and_saveexec_b64 s[8:9], s[6:7]
	s_xor_b64 s[6:7], exec, s[8:9]
	s_cbranch_execz .LBB10_67
; %bb.58:
	;; [unrolled: 7-line block ×4, first 2 shown]
	flat_load_dwordx2 v[2:3], v[0:1]
                                        ; implicit-def: $vgpr0_vgpr1
.LBB10_61:
	s_andn2_saveexec_b64 s[10:11], s[10:11]
	s_cbranch_execz .LBB10_63
; %bb.62:
	flat_load_dword v0, v[0:1]
	s_waitcnt vmcnt(0) lgkmcnt(0)
	v_cvt_f64_f32_e32 v[2:3], v0
.LBB10_63:
	s_or_b64 exec, exec, s[10:11]
                                        ; implicit-def: $vgpr0_vgpr1
.LBB10_64:
	s_andn2_saveexec_b64 s[8:9], s[8:9]
	s_cbranch_execz .LBB10_66
; %bb.65:
	flat_load_dword v0, v[0:1]
	s_waitcnt vmcnt(0) lgkmcnt(0)
	v_cvt_f32_f16_e32 v0, v0
	v_cvt_f64_f32_e32 v[2:3], v0
.LBB10_66:
	s_or_b64 exec, exec, s[8:9]
                                        ; implicit-def: $vgpr0_vgpr1
                                        ; implicit-def: $vgpr4
.LBB10_67:
	s_andn2_saveexec_b64 s[6:7], s[6:7]
	s_cbranch_execz .LBB10_77
; %bb.68:
	s_waitcnt vmcnt(0) lgkmcnt(0)
	v_mov_b32_e32 v2, 5
	v_cmp_gt_i16_sdwa s[8:9], v4, v2 src0_sel:BYTE_0 src1_sel:DWORD
                                        ; implicit-def: $vgpr2_vgpr3
	s_and_saveexec_b64 s[10:11], s[8:9]
	s_xor_b64 s[8:9], exec, s[10:11]
	s_cbranch_execz .LBB10_74
; %bb.69:
	v_mov_b32_e32 v2, 6
	v_cmp_gt_i16_sdwa s[10:11], v4, v2 src0_sel:BYTE_0 src1_sel:DWORD
                                        ; implicit-def: $vgpr2_vgpr3
	s_and_saveexec_b64 s[12:13], s[10:11]
	s_xor_b64 s[10:11], exec, s[12:13]
	s_cbranch_execz .LBB10_71
; %bb.70:
	flat_load_dwordx2 v[2:3], v[0:1]
                                        ; implicit-def: $vgpr0_vgpr1
.LBB10_71:
	s_andn2_saveexec_b64 s[10:11], s[10:11]
	s_cbranch_execz .LBB10_73
; %bb.72:
	flat_load_dword v0, v[0:1]
	s_waitcnt vmcnt(0) lgkmcnt(0)
	v_cvt_f64_f32_e32 v[2:3], v0
.LBB10_73:
	s_or_b64 exec, exec, s[10:11]
                                        ; implicit-def: $vgpr0_vgpr1
.LBB10_74:
	s_andn2_saveexec_b64 s[8:9], s[8:9]
	s_cbranch_execz .LBB10_76
; %bb.75:
	flat_load_ushort v0, v[0:1]
	s_waitcnt vmcnt(0) lgkmcnt(0)
	v_cvt_f32_f16_e32 v0, v0
	v_cvt_f64_f32_e32 v[2:3], v0
.LBB10_76:
	s_or_b64 exec, exec, s[8:9]
.LBB10_77:
	s_or_b64 exec, exec, s[6:7]
                                        ; implicit-def: $vgpr4
                                        ; implicit-def: $vgpr0_vgpr1
.LBB10_78:
	s_andn2_saveexec_b64 s[2:3], s[2:3]
	s_cbranch_execz .LBB10_96
; %bb.79:
	s_waitcnt vmcnt(0) lgkmcnt(0)
	v_mov_b32_e32 v2, 1
	v_cmp_gt_i16_sdwa s[6:7], v4, v2 src0_sel:BYTE_0 src1_sel:DWORD
                                        ; implicit-def: $vgpr2_vgpr3
	s_and_saveexec_b64 s[8:9], s[6:7]
	s_xor_b64 s[6:7], exec, s[8:9]
	s_cbranch_execz .LBB10_89
; %bb.80:
	v_mov_b32_e32 v2, 2
	v_cmp_gt_i16_sdwa s[8:9], v4, v2 src0_sel:BYTE_0 src1_sel:DWORD
                                        ; implicit-def: $vgpr2_vgpr3
	s_and_saveexec_b64 s[10:11], s[8:9]
	s_xor_b64 s[8:9], exec, s[10:11]
	s_cbranch_execz .LBB10_86
; %bb.81:
	;; [unrolled: 7-line block ×3, first 2 shown]
	flat_load_dwordx2 v[0:1], v[0:1]
	s_waitcnt vmcnt(0) lgkmcnt(0)
	v_cvt_f64_i32_e32 v[2:3], v1
	v_ldexp_f64 v[2:3], v[2:3], 32
	v_cvt_f64_u32_e32 v[0:1], v0
	v_add_f64 v[2:3], v[2:3], v[0:1]
                                        ; implicit-def: $vgpr0_vgpr1
.LBB10_83:
	s_andn2_saveexec_b64 s[10:11], s[10:11]
	s_cbranch_execz .LBB10_85
; %bb.84:
	flat_load_dword v0, v[0:1]
	s_waitcnt vmcnt(0) lgkmcnt(0)
	v_cvt_f64_i32_e32 v[2:3], v0
.LBB10_85:
	s_or_b64 exec, exec, s[10:11]
                                        ; implicit-def: $vgpr0_vgpr1
.LBB10_86:
	s_andn2_saveexec_b64 s[8:9], s[8:9]
	s_cbranch_execz .LBB10_88
; %bb.87:
	flat_load_sshort v0, v[0:1]
	s_waitcnt vmcnt(0) lgkmcnt(0)
	v_cvt_f64_i32_e32 v[2:3], v0
.LBB10_88:
	s_or_b64 exec, exec, s[8:9]
                                        ; implicit-def: $vgpr0_vgpr1
                                        ; implicit-def: $vgpr4
.LBB10_89:
	s_andn2_saveexec_b64 s[6:7], s[6:7]
	s_cbranch_execz .LBB10_95
; %bb.90:
	v_mov_b32_e32 v2, 0
	v_cmp_gt_i16_sdwa s[8:9], v4, v2 src0_sel:BYTE_0 src1_sel:DWORD
                                        ; implicit-def: $vgpr2_vgpr3
	s_and_saveexec_b64 s[10:11], s[8:9]
	s_xor_b64 s[8:9], exec, s[10:11]
	s_cbranch_execz .LBB10_92
; %bb.91:
	flat_load_sbyte v0, v[0:1]
	s_waitcnt vmcnt(0) lgkmcnt(0)
	v_cvt_f64_i32_e32 v[2:3], v0
                                        ; implicit-def: $vgpr0_vgpr1
.LBB10_92:
	s_andn2_saveexec_b64 s[8:9], s[8:9]
	s_cbranch_execz .LBB10_94
; %bb.93:
	flat_load_ubyte v0, v[0:1]
	s_waitcnt vmcnt(0) lgkmcnt(0)
	v_cvt_f64_u32_e32 v[2:3], v0
.LBB10_94:
	s_or_b64 exec, exec, s[8:9]
.LBB10_95:
	s_or_b64 exec, exec, s[6:7]
.LBB10_96:
	s_or_b64 exec, exec, s[2:3]
	s_or_b64 s[4:5], s[4:5], exec
	s_or_b64 exec, exec, s[0:1]
                                        ; implicit-def: $vgpr0_vgpr1
	s_and_saveexec_b64 s[2:3], s[4:5]
	s_cbranch_execnz .LBB10_42
.LBB10_97:
	s_or_b64 exec, exec, s[2:3]
	s_waitcnt vmcnt(0) lgkmcnt(0)
	s_setpc_b64 s[30:31]
.LBB10_98:
	s_andn2_saveexec_b64 s[6:7], s[6:7]
	s_cbranch_execz .LBB10_37
.LBB10_99:
	v_mov_b32_e32 v2, 22
	v_cmp_gt_i16_sdwa s[2:3], v4, v2 src0_sel:BYTE_0 src1_sel:DWORD
	s_mov_b64 s[10:11], s[4:5]
                                        ; implicit-def: $vgpr2_vgpr3
	s_and_saveexec_b64 s[12:13], s[2:3]
	s_xor_b64 s[2:3], exec, s[12:13]
	s_cbranch_execz .LBB10_117
; %bb.100:
	v_mov_b32_e32 v2, 23
	v_cmp_gt_i16_sdwa s[10:11], v4, v2 src0_sel:BYTE_0 src1_sel:DWORD
                                        ; implicit-def: $vgpr2_vgpr3
	s_and_saveexec_b64 s[12:13], s[10:11]
	s_xor_b64 s[10:11], exec, s[12:13]
	s_cbranch_execz .LBB10_114
; %bb.101:
	v_mov_b32_e32 v2, 24
	v_cmp_gt_i16_sdwa s[12:13], v4, v2 src0_sel:BYTE_0 src1_sel:DWORD
                                        ; implicit-def: $vgpr2_vgpr3
	s_and_saveexec_b64 s[14:15], s[12:13]
	s_xor_b64 s[12:13], exec, s[14:15]
	s_cbranch_execz .LBB10_111
; %bb.102:
	flat_load_ubyte v4, v[0:1]
	s_movk_i32 s14, 0x7f
	s_waitcnt vmcnt(0) lgkmcnt(0)
	v_cmp_lt_i16_e32 vcc, s14, v4
	s_mov_b64 s[14:15], 0
	s_and_saveexec_b64 s[16:17], vcc
	s_xor_b64 s[16:17], exec, s[16:17]
	s_cbranch_execz .LBB10_106
; %bb.103:
	s_movk_i32 s14, 0x80
	v_cmp_eq_u16_e32 vcc, s14, v4
	s_mov_b64 s[14:15], -1
	s_and_saveexec_b64 s[18:19], vcc
; %bb.104:
	s_xor_b64 s[14:15], exec, -1
; %bb.105:
	s_or_b64 exec, exec, s[18:19]
	s_and_b64 s[14:15], s[14:15], exec
.LBB10_106:
	s_or_saveexec_b64 s[16:17], s[16:17]
	v_bfrev_b32_e32 v2, 4
	v_mov_b32_e32 v3, 0x7ff80000
	s_xor_b64 exec, exec, s[16:17]
; %bb.107:
	v_cmp_ne_u16_e32 vcc, 0, v4
	s_andn2_b64 s[14:15], s[14:15], exec
	s_and_b64 s[18:19], vcc, exec
	v_mov_b64_e32 v[2:3], 0
	s_or_b64 s[14:15], s[14:15], s[18:19]
; %bb.108:
	s_or_b64 exec, exec, s[16:17]
	s_and_saveexec_b64 s[16:17], s[14:15]
	s_cbranch_execz .LBB10_110
; %bb.109:
	v_and_b32_e32 v3, 0xffff, v4
	v_lshlrev_b32_e32 v2, 24, v4
	v_and_b32_e32 v4, 3, v3
	v_ffbh_u32_e32 v6, v4
	v_min_u32_e32 v6, 32, v6
	v_subrev_u32_e32 v7, 29, v6
	v_bfe_u32 v5, v3, 2, 5
	v_lshlrev_b32_e32 v3, v7, v3
	v_sub_u32_e32 v6, 30, v6
	v_and_b32_e32 v3, 3, v3
	v_cmp_eq_u32_e32 vcc, 0, v5
	v_and_b32_e32 v2, 0x80000000, v2
	s_nop 0
	v_cndmask_b32_e32 v5, v5, v6, vcc
	v_cndmask_b32_e32 v3, v4, v3, vcc
	v_mov_b32_e32 v4, 0x37800000
	v_lshlrev_b32_e32 v3, 21, v3
	v_lshl_add_u32 v4, v5, 23, v4
	v_or3_b32 v2, v2, v4, v3
	v_cvt_f64_f32_e32 v[2:3], v2
.LBB10_110:
	s_or_b64 exec, exec, s[16:17]
.LBB10_111:
	s_andn2_saveexec_b64 s[12:13], s[12:13]
	s_cbranch_execz .LBB10_113
; %bb.112:
	flat_load_ubyte v2, v[0:1]
	s_mov_b32 s14, 0x7f800000
	s_waitcnt vmcnt(0) lgkmcnt(0)
	v_lshlrev_b32_e32 v2, 24, v2
	v_and_b32_e32 v3, 0x7f000000, v2
	v_ffbh_u32_e32 v4, v3
	v_min_u32_e32 v4, 32, v4
	v_sub_u32_e64 v4, v4, 4 clamp
	v_lshlrev_b32_e32 v6, v4, v3
	v_lshlrev_b32_e32 v4, 23, v4
	v_lshrrev_b32_e32 v6, 4, v6
	v_add_u32_e32 v5, 0x1000000, v3
	v_sub_u32_e32 v4, v6, v4
	v_ashrrev_i32_e32 v5, 8, v5
	v_add_u32_e32 v4, 0x3c000000, v4
	v_and_or_b32 v4, v5, s14, v4
	v_cmp_ne_u32_e32 vcc, 0, v3
	s_brev_b32 s14, 1
	s_nop 0
	v_cndmask_b32_e32 v3, 0, v4, vcc
	v_and_or_b32 v2, v2, s14, v3
	v_cvt_f64_f32_e32 v[2:3], v2
.LBB10_113:
	s_or_b64 exec, exec, s[12:13]
.LBB10_114:
	s_andn2_saveexec_b64 s[10:11], s[10:11]
	s_cbranch_execz .LBB10_116
; %bb.115:
	flat_load_ubyte v2, v[0:1]
	s_movk_i32 s12, 0x7f00
	s_brev_b32 s13, 16
	s_waitcnt vmcnt(0) lgkmcnt(0)
	v_lshlrev_b16_e32 v3, 8, v2
	v_lshlrev_b32_e32 v2, 25, v2
	v_lshrrev_b32_e32 v4, 4, v2
	v_and_or_b32 v5, v3, s12, 0.5
	v_or_b32_e32 v4, 0x70000000, v4
	v_add_f32_e32 v5, -0.5, v5
	v_mul_f32_e32 v4, 0x7800000, v4
	v_cmp_gt_u32_e32 vcc, s13, v2
	v_bfe_i32 v3, v3, 0, 16
	s_brev_b32 s12, 1
	v_cndmask_b32_e32 v2, v4, v5, vcc
	v_and_or_b32 v2, v3, s12, v2
	v_cvt_f64_f32_e32 v[2:3], v2
.LBB10_116:
	s_or_b64 exec, exec, s[10:11]
	s_or_b64 s[10:11], s[4:5], exec
                                        ; implicit-def: $vgpr4
.LBB10_117:
	s_or_saveexec_b64 s[2:3], s[2:3]
	s_mov_b64 s[14:15], 0
	s_mov_b64 s[12:13], s[8:9]
	s_xor_b64 exec, exec, s[2:3]
	s_cbranch_execz .LBB10_125
; %bb.118:
	v_mov_b32_e32 v2, 14
	v_cmp_gt_i16_sdwa s[16:17], v4, v2 src0_sel:BYTE_0 src1_sel:DWORD
	s_mov_b64 s[12:13], s[8:9]
	s_mov_b64 s[14:15], s[10:11]
                                        ; implicit-def: $vgpr2_vgpr3
	s_and_saveexec_b64 s[18:19], s[16:17]
	s_xor_b64 s[16:17], exec, s[18:19]
	s_cbranch_execz .LBB10_122
; %bb.119:
	v_mov_b32_e32 v2, 15
	v_cmp_eq_u16_sdwa s[20:21], v4, v2 src0_sel:BYTE_0 src1_sel:DWORD
	s_mov_b64 s[12:13], -1
	s_mov_b64 s[14:15], s[10:11]
                                        ; implicit-def: $vgpr2_vgpr3
	s_and_saveexec_b64 s[18:19], s[20:21]
	s_cbranch_execz .LBB10_121
; %bb.120:
	flat_load_ushort v2, v[0:1]
	s_or_b64 s[14:15], s[10:11], exec
	s_xor_b64 s[12:13], exec, -1
	s_waitcnt vmcnt(0) lgkmcnt(0)
	v_lshlrev_b32_e32 v2, 16, v2
	v_cvt_f64_f32_e32 v[2:3], v2
.LBB10_121:
	s_or_b64 exec, exec, s[18:19]
	s_andn2_b64 s[18:19], s[10:11], exec
	s_and_b64 s[14:15], s[14:15], exec
	s_or_b64 s[14:15], s[18:19], s[14:15]
	s_andn2_b64 s[18:19], s[8:9], exec
	s_and_b64 s[12:13], s[12:13], exec
	s_or_b64 s[12:13], s[18:19], s[12:13]
                                        ; implicit-def: $vgpr4
.LBB10_122:
	s_or_saveexec_b64 s[16:17], s[16:17]
	s_mov_b64 s[18:19], 0
	s_xor_b64 exec, exec, s[16:17]
; %bb.123:
	v_mov_b32_e32 v5, 11
	v_cmp_ne_u16_sdwa s[20:21], v4, v5 src0_sel:BYTE_0 src1_sel:DWORD
	s_andn2_b64 s[12:13], s[12:13], exec
	s_and_b64 s[20:21], s[20:21], exec
	s_mov_b64 s[18:19], exec
	s_or_b64 s[12:13], s[12:13], s[20:21]
; %bb.124:
	s_or_b64 exec, exec, s[16:17]
	s_andn2_b64 s[10:11], s[10:11], exec
	s_and_b64 s[14:15], s[14:15], exec
	s_andn2_b64 s[16:17], s[8:9], exec
	s_and_b64 s[12:13], s[12:13], exec
	s_or_b64 s[10:11], s[10:11], s[14:15]
	s_and_b64 s[14:15], s[18:19], exec
	s_or_b64 s[12:13], s[16:17], s[12:13]
.LBB10_125:
	s_or_b64 exec, exec, s[2:3]
	s_andn2_b64 s[2:3], s[4:5], exec
	s_and_b64 s[4:5], s[10:11], exec
	s_andn2_b64 s[8:9], s[8:9], exec
	s_and_b64 s[10:11], s[12:13], exec
	s_or_b64 s[4:5], s[2:3], s[4:5]
	s_and_b64 s[2:3], s[14:15], exec
	s_or_b64 s[8:9], s[8:9], s[10:11]
	s_or_b64 exec, exec, s[6:7]
	s_and_saveexec_b64 s[6:7], s[8:9]
	s_cbranch_execz .LBB10_38
.LBB10_126:
	s_trap 2
	; divergent unreachable
	s_andn2_b64 s[2:3], s[2:3], exec
	s_or_b64 exec, exec, s[6:7]
	s_and_saveexec_b64 s[6:7], s[2:3]
	s_xor_b64 s[2:3], exec, s[6:7]
	s_cbranch_execnz .LBB10_39
	s_branch .LBB10_40
.LBB10_127:
	s_andn2_saveexec_b64 s[0:1], s[14:15]
	s_cbranch_execz .LBB10_129
.LBB10_128:
	s_mov_b32 s12, 0x6dc9c883
	s_mov_b32 s13, 0x3fe45f30
	v_mul_f64 v[4:5], |v[2:3]|, s[12:13]
	s_mov_b32 s12, 0x54442d18
	v_rndne_f64_e32 v[4:5], v[4:5]
	s_mov_b32 s13, 0xbff921fb
	v_fma_f64 v[6:7], v[4:5], s[12:13], |v[2:3]|
	s_mov_b32 s13, 0xbc91a626
	s_mov_b32 s12, 0x33145c00
	v_mul_f64 v[10:11], v[4:5], s[12:13]
	v_add_f64 v[22:23], v[6:7], v[10:11]
	v_fma_f64 v[12:13], s[12:13], v[4:5], v[6:7]
	s_mov_b32 s13, 0x3c91a626
	v_add_f64 v[6:7], v[6:7], -v[22:23]
	v_fma_f64 v[20:21], s[12:13], v[4:5], v[10:11]
	v_add_f64 v[6:7], v[6:7], v[10:11]
	v_add_f64 v[10:11], v[22:23], -v[12:13]
	v_add_f64 v[6:7], v[10:11], v[6:7]
	s_mov_b32 s12, 0x252049c0
	v_add_f64 v[6:7], v[6:7], -v[20:21]
	s_mov_b32 s13, 0xb97b839a
	v_fmac_f64_e32 v[6:7], s[12:13], v[4:5]
	v_add_f64 v[10:11], v[12:13], v[6:7]
	v_add_f64 v[12:13], v[10:11], -v[12:13]
	v_add_f64 v[12:13], v[6:7], -v[12:13]
	v_cvt_i32_f64_e32 v23, v[4:5]
.LBB10_129:
	s_or_b64 exec, exec, s[0:1]
                                        ; implicit-def: $vgpr22
                                        ; implicit-def: $vgpr4_vgpr5
                                        ; implicit-def: $vgpr6_vgpr7
	s_and_saveexec_b64 s[0:1], s[10:11]
	s_xor_b64 s[10:11], exec, s[0:1]
	s_cbranch_execz .LBB10_131
; %bb.130:
	s_mov_b32 s0, 0
	s_mov_b32 s1, 0x7b000000
	s_movk_i32 s12, 0xff80
	v_and_b32_e32 v6, 0x7fffffff, v3
	v_ldexp_f64 v[4:5], |v[2:3]|, s12
	v_cmp_ge_f64_e64 vcc, |v[2:3]|, s[0:1]
	s_mov_b32 s0, 0
	s_mov_b32 s1, 0x7ff00000
	v_cndmask_b32_e32 v5, v6, v5, vcc
	v_cndmask_b32_e32 v4, v2, v4, vcc
	v_mul_f64 v[20:21], v[18:19], v[4:5]
	v_mul_f64 v[6:7], v[16:17], v[4:5]
	v_fma_f64 v[18:19], v[18:19], v[4:5], -v[20:21]
	v_add_f64 v[24:25], v[6:7], v[18:19]
	v_add_f64 v[32:33], v[24:25], -v[6:7]
	v_add_f64 v[18:19], v[18:19], -v[32:33]
	;; [unrolled: 1-line block ×4, first 2 shown]
	v_fma_f64 v[6:7], v[16:17], v[4:5], -v[6:7]
	v_mul_f64 v[16:17], v[14:15], v[4:5]
	v_add_f64 v[18:19], v[18:19], v[32:33]
	v_add_f64 v[32:33], v[16:17], v[6:7]
	;; [unrolled: 1-line block ×4, first 2 shown]
	v_ldexp_f64 v[28:29], v[26:27], -2
	v_add_f64 v[20:21], v[26:27], -v[20:21]
	v_add_f64 v[26:27], v[34:35], -v[32:33]
	;; [unrolled: 1-line block ×5, first 2 shown]
	v_add_f64 v[18:19], v[18:19], v[26:27]
	v_add_f64 v[26:27], v[32:33], -v[16:17]
	v_add_f64 v[6:7], v[6:7], -v[26:27]
	;; [unrolled: 1-line block ×4, first 2 shown]
	v_add_f64 v[6:7], v[6:7], v[26:27]
	v_fract_f64_e32 v[30:31], v[28:29]
	v_add_f64 v[6:7], v[6:7], v[18:19]
	v_fma_f64 v[4:5], v[14:15], v[4:5], -v[16:17]
	v_add_f64 v[20:21], v[24:25], -v[20:21]
	v_add_f64 v[4:5], v[4:5], v[6:7]
	v_ldexp_f64 v[6:7], v[30:31], 2
	v_cmp_neq_f64_e64 vcc, |v[28:29]|, s[0:1]
	v_add_f64 v[24:25], v[20:21], v[34:35]
	v_mov_b32_e32 v16, 0x40100000
	v_cndmask_b32_e32 v7, 0, v7, vcc
	v_cndmask_b32_e32 v6, 0, v6, vcc
	v_add_f64 v[14:15], v[24:25], v[6:7]
	v_cmp_gt_f64_e32 vcc, 0, v[14:15]
	v_mov_b32_e32 v14, 0
	v_add_f64 v[20:21], v[24:25], -v[20:21]
	v_cndmask_b32_e32 v15, 0, v16, vcc
	v_add_f64 v[6:7], v[6:7], v[14:15]
	v_add_f64 v[16:17], v[24:25], v[6:7]
	v_cvt_i32_f64_e32 v15, v[16:17]
	v_cvt_f64_i32_e32 v[16:17], v15
	v_add_f64 v[6:7], v[6:7], -v[16:17]
	v_add_f64 v[16:17], v[24:25], v[6:7]
	v_add_f64 v[20:21], v[34:35], -v[20:21]
	v_add_f64 v[6:7], v[16:17], -v[6:7]
	v_add_f64 v[4:5], v[20:21], v[4:5]
	v_add_f64 v[6:7], v[24:25], -v[6:7]
	v_add_f64 v[4:5], v[4:5], v[6:7]
	v_cmp_le_f64_e32 vcc, 0.5, v[16:17]
	v_mov_b32_e32 v6, 0x3ff00000
	s_mov_b32 s12, 0x33145c07
	v_addc_co_u32_e64 v22, s[0:1], 0, v15, vcc
	v_cndmask_b32_e32 v15, 0, v6, vcc
	v_add_f64 v[6:7], v[16:17], -v[14:15]
	v_add_f64 v[14:15], v[6:7], v[4:5]
	s_mov_b32 s0, 0x54442d18
	v_add_f64 v[6:7], v[14:15], -v[6:7]
	s_mov_b32 s1, 0x3ff921fb
	v_add_f64 v[4:5], v[4:5], -v[6:7]
	v_mul_f64 v[6:7], v[14:15], s[0:1]
	v_fma_f64 v[16:17], v[14:15], s[0:1], -v[6:7]
	s_mov_b32 s13, 0x3c91a626
	v_fmac_f64_e32 v[16:17], s[12:13], v[14:15]
	v_fmac_f64_e32 v[16:17], s[0:1], v[4:5]
	v_add_f64 v[4:5], v[6:7], v[16:17]
	v_add_f64 v[6:7], v[4:5], -v[6:7]
	v_add_f64 v[6:7], v[16:17], -v[6:7]
	s_andn2_saveexec_b64 s[0:1], s[10:11]
	s_cbranch_execnz .LBB10_132
	s_branch .LBB10_133
.LBB10_131:
	s_andn2_saveexec_b64 s[0:1], s[10:11]
	s_cbranch_execz .LBB10_133
.LBB10_132:
	s_mov_b32 s10, 0x6dc9c883
	s_mov_b32 s11, 0x3fe45f30
	v_mul_f64 v[4:5], |v[2:3]|, s[10:11]
	s_mov_b32 s10, 0x54442d18
	v_rndne_f64_e32 v[14:15], v[4:5]
	s_mov_b32 s11, 0xbff921fb
	v_fma_f64 v[4:5], v[14:15], s[10:11], |v[2:3]|
	s_mov_b32 s11, 0xbc91a626
	s_mov_b32 s10, 0x33145c00
	v_mul_f64 v[16:17], v[14:15], s[10:11]
	v_add_f64 v[20:21], v[4:5], v[16:17]
	v_fma_f64 v[6:7], s[10:11], v[14:15], v[4:5]
	s_mov_b32 s11, 0x3c91a626
	v_add_f64 v[4:5], v[4:5], -v[20:21]
	v_fma_f64 v[18:19], s[10:11], v[14:15], v[16:17]
	v_add_f64 v[4:5], v[4:5], v[16:17]
	v_add_f64 v[16:17], v[20:21], -v[6:7]
	v_add_f64 v[4:5], v[16:17], v[4:5]
	s_mov_b32 s10, 0x252049c0
	v_add_f64 v[16:17], v[4:5], -v[18:19]
	s_mov_b32 s11, 0xb97b839a
	v_fmac_f64_e32 v[16:17], s[10:11], v[14:15]
	v_add_f64 v[4:5], v[6:7], v[16:17]
	v_add_f64 v[6:7], v[4:5], -v[6:7]
	v_add_f64 v[6:7], v[16:17], -v[6:7]
	v_cvt_i32_f64_e32 v22, v[14:15]
.LBB10_133:
	s_or_b64 exec, exec, s[0:1]
	v_div_scale_f64 v[14:15], s[0:1], v[8:9], v[8:9], 1.0
	v_rcp_f64_e32 v[16:17], v[14:15]
	v_div_scale_f64 v[18:19], vcc, 1.0, v[8:9], 1.0
	v_mov_b32_e32 v24, 0xaf76e73b
	v_fma_f64 v[20:21], -v[14:15], v[16:17], 1.0
	v_fmac_f64_e32 v[16:17], v[16:17], v[20:21]
	v_fma_f64 v[20:21], -v[14:15], v[16:17], 1.0
	v_fmac_f64_e32 v[16:17], v[16:17], v[20:21]
	v_mul_f64 v[20:21], v[18:19], v[16:17]
	v_fma_f64 v[14:15], -v[14:15], v[20:21], v[18:19]
	v_div_fmas_f64 v[14:15], v[14:15], v[16:17], v[20:21]
	v_div_fixup_f64 v[8:9], v[14:15], v[8:9], 1.0
	v_mul_f64 v[14:15], v[8:9], v[8:9]
	v_mov_b32_e32 v16, 0xd50ae6fb
	v_mov_b32_e32 v17, 0xbfc0db6c
	v_fmac_f64_e32 v[16:17], 0, v[14:15]
	v_mov_b32_e32 v18, 0x98566852
	v_mov_b32_e32 v19, 0xbfe40bee
	v_fmac_f64_e32 v[18:19], v[14:15], v[16:17]
	;; [unrolled: 3-line block ×15, first 2 shown]
	v_mov_b32_e32 v25, 0x3f13c8d7
	v_fmac_f64_e32 v[24:25], v[14:15], v[16:17]
	v_mov_b32_e32 v20, 0xb99518a7
	v_mov_b32_e32 v21, 0x3e9e52b9
	v_mul_f64 v[26:27], v[10:11], v[10:11]
	v_fmac_f64_e32 v[20:21], v[14:15], v[24:25]
	v_mov_b32_e32 v24, 0xf68ea2d2
	v_mov_b32_e32 v25, 0xbe52041c
	v_mul_f64 v[16:17], v[26:27], 0.5
	v_fmac_f64_e32 v[24:25], v[14:15], v[18:19]
	v_add_f64 v[18:19], -v[16:17], 1.0
	s_mov_b32 s0, 0x9037ab78
	v_add_f64 v[28:29], -v[18:19], 1.0
	s_mov_b32 s1, 0x3e21eeb6
	s_mov_b32 s10, 0x46cc5e42
	v_add_f64 v[28:29], v[28:29], -v[16:17]
	s_mov_b32 s11, 0xbda907db
	v_mov_b64_e32 v[16:17], s[0:1]
	s_mov_b32 s12, 0xa17f65f6
	v_fma_f64 v[32:33], s[10:11], v[26:27], v[16:17]
	s_mov_b32 s13, 0xbe927e4f
	s_mov_b32 s14, 0x19f4ec90
	v_fma_f64 v[32:33], v[26:27], v[32:33], s[12:13]
	s_mov_b32 s15, 0x3efa01a0
	;; [unrolled: 3-line block ×4, first 2 shown]
	v_mul_f64 v[30:31], v[26:27], v[26:27]
	v_fma_f64 v[32:33], v[26:27], v[32:33], s[18:19]
	v_fma_f64 v[28:29], v[10:11], -v[12:13], v[28:29]
	s_mov_b32 s0, 0xb42fdfa7
	v_fmac_f64_e32 v[28:29], v[30:31], v[32:33]
	s_mov_b32 s1, 0xbe5ae600
	s_mov_b32 s20, 0xf9a43bb8
	v_add_f64 v[28:29], v[18:19], v[28:29]
	s_mov_b32 s21, 0x3de5e0b2
	v_mov_b64_e32 v[18:19], s[0:1]
	s_mov_b32 s22, 0x796cde01
	v_fma_f64 v[30:31], s[20:21], v[26:27], v[18:19]
	s_mov_b32 s23, 0x3ec71de3
	s_mov_b32 s24, 0x19e83e5c
	v_fma_f64 v[30:31], v[26:27], v[30:31], s[22:23]
	s_mov_b32 s25, 0xbf2a01a0
	;; [unrolled: 3-line block ×3, first 2 shown]
	v_fma_f64 v[30:31], v[26:27], v[30:31], s[26:27]
	v_mul_f64 v[32:33], v[10:11], -v[26:27]
	v_mul_f64 v[34:35], v[12:13], 0.5
	v_fmac_f64_e32 v[34:35], v[32:33], v[30:31]
	v_fma_f64 v[12:13], v[26:27], v[34:35], -v[12:13]
	s_mov_b32 s29, 0xbfc55555
	s_mov_b32 s28, s18
	v_fmac_f64_e32 v[12:13], s[28:29], v[32:33]
	v_add_f64 v[10:11], v[10:11], -v[12:13]
	v_and_b32_e32 v12, 1, v23
	v_cmp_eq_u32_e32 vcc, 0, v12
	s_brev_b32 s40, 1
	s_movk_i32 s41, 0x1f8
	v_cndmask_b32_e32 v26, v28, v10, vcc
	v_cndmask_b32_e32 v10, v29, v11, vcc
	v_lshlrev_b32_e32 v11, 30, v23
	v_xor_b32_e32 v11, v11, v3
	v_bitop3_b32 v23, v10, v11, s40 bitop3:0x78
	v_mul_f64 v[10:11], v[14:15], v[24:25]
	v_div_scale_f64 v[12:13], s[0:1], v[20:21], v[20:21], v[10:11]
	v_rcp_f64_e32 v[24:25], v[12:13]
	v_cmp_class_f64_e64 s[0:1], v[2:3], s41
	s_mov_b32 s42, 0
	s_brev_b32 s43, 8
	v_cndmask_b32_e64 v2, 0, v26, s[0:1]
	v_fma_f64 v[26:27], -v[12:13], v[24:25], 1.0
	v_fmac_f64_e32 v[24:25], v[24:25], v[26:27]
	v_fma_f64 v[26:27], -v[12:13], v[24:25], 1.0
	v_fmac_f64_e32 v[24:25], v[24:25], v[26:27]
	v_div_scale_f64 v[26:27], vcc, v[10:11], v[20:21], v[10:11]
	v_mul_f64 v[28:29], v[26:27], v[24:25]
	v_fma_f64 v[12:13], -v[12:13], v[28:29], v[26:27]
	v_mov_b32_e32 v26, 0xdb0724e8
	s_nop 0
	v_div_fmas_f64 v[12:13], v[12:13], v[24:25], v[28:29]
	v_div_fixup_f64 v[10:11], v[12:13], v[20:21], v[10:11]
	v_mov_b32_e32 v12, 0xddcfbbde
	v_mov_b32_e32 v13, 0x3f943525
	v_fmac_f64_e32 v[12:13], 0, v[14:15]
	v_mov_b32_e32 v20, 0x6437b7
	v_mov_b32_e32 v21, 0x3fd907d5
	v_fmac_f64_e32 v[20:21], v[14:15], v[12:13]
	;; [unrolled: 3-line block ×19, first 2 shown]
	v_mov_b32_e32 v20, 0x100
	v_cmp_gt_f64_e32 vcc, s[42:43], v[0:1]
	v_mov_b32_e32 v27, 0x3eb3a845
	v_fmac_f64_e32 v[26:27], v[14:15], v[24:25]
	v_cndmask_b32_e32 v20, 0, v20, vcc
	v_ldexp_f64 v[0:1], v[0:1], v20
	v_rsq_f64_e32 v[20:21], v[0:1]
	v_mov_b32_e32 v32, 0x7ff80000
	v_cndmask_b32_e64 v3, v32, v23, s[0:1]
	v_mov_b32_e32 v23, 0x260
	v_mul_f64 v[24:25], v[0:1], v[20:21]
	v_mul_f64 v[20:21], v[20:21], 0.5
	v_fma_f64 v[28:29], -v[20:21], v[24:25], 0.5
	v_fmac_f64_e32 v[24:25], v[24:25], v[28:29]
	v_fma_f64 v[30:31], -v[24:25], v[24:25], v[0:1]
	v_fmac_f64_e32 v[20:21], v[20:21], v[28:29]
	v_fmac_f64_e32 v[24:25], v[30:31], v[20:21]
	v_fma_f64 v[28:29], -v[24:25], v[24:25], v[0:1]
	v_fmac_f64_e32 v[24:25], v[28:29], v[20:21]
	v_mov_b32_e32 v20, 0xffffff80
	v_cndmask_b32_e32 v20, 0, v20, vcc
	v_ldexp_f64 v[20:21], v[24:25], v20
	v_cmp_class_f64_e32 vcc, v[0:1], v23
	s_mov_b32 s42, 0x50429b6d
	s_mov_b32 s43, 0x3fe20dd7
	v_cndmask_b32_e32 v1, v21, v1, vcc
	v_cndmask_b32_e32 v0, v20, v0, vcc
	v_div_scale_f64 v[20:21], s[44:45], v[0:1], v[0:1], s[42:43]
	v_rcp_f64_e32 v[24:25], v[20:21]
	v_mov_b32_e32 v28, 0x3dd589d4
	v_mov_b32_e32 v29, 0x3e351fc7
	v_fmac_f64_e32 v[28:29], v[14:15], v[26:27]
	v_fma_f64 v[14:15], -v[20:21], v[24:25], 1.0
	v_fmac_f64_e32 v[24:25], v[24:25], v[14:15]
	v_fma_f64 v[14:15], -v[20:21], v[24:25], 1.0
	v_fmac_f64_e32 v[24:25], v[24:25], v[14:15]
	v_div_scale_f64 v[14:15], vcc, s[42:43], v[0:1], s[42:43]
	v_mul_f64 v[26:27], v[14:15], v[24:25]
	v_fma_f64 v[14:15], -v[20:21], v[26:27], v[14:15]
	v_add_f64 v[10:11], v[10:11], 1.0
	s_nop 0
	v_div_fmas_f64 v[14:15], v[14:15], v[24:25], v[26:27]
	v_div_fixup_f64 v[0:1], v[14:15], v[0:1], s[42:43]
	v_mul_f64 v[14:15], v[4:5], v[4:5]
	v_mul_f64 v[20:21], v[14:15], 0.5
	v_fmac_f64_e32 v[16:17], s[10:11], v[14:15]
	v_add_f64 v[24:25], -v[20:21], 1.0
	v_fma_f64 v[16:17], v[14:15], v[16:17], s[12:13]
	v_add_f64 v[26:27], -v[24:25], 1.0
	v_fma_f64 v[16:17], v[14:15], v[16:17], s[14:15]
	v_add_f64 v[20:21], v[26:27], -v[20:21]
	v_fma_f64 v[16:17], v[14:15], v[16:17], s[16:17]
	v_fmac_f64_e32 v[18:19], s[20:21], v[14:15]
	v_mul_f64 v[26:27], v[14:15], v[14:15]
	v_fma_f64 v[16:17], v[14:15], v[16:17], s[18:19]
	v_fma_f64 v[20:21], v[4:5], -v[6:7], v[20:21]
	v_fma_f64 v[18:19], v[14:15], v[18:19], s[22:23]
	v_fmac_f64_e32 v[20:21], v[26:27], v[16:17]
	v_fma_f64 v[18:19], v[14:15], v[18:19], s[24:25]
	v_add_f64 v[16:17], v[24:25], v[20:21]
	v_fma_f64 v[18:19], v[14:15], v[18:19], s[26:27]
	v_mul_f64 v[20:21], v[4:5], -v[14:15]
	v_mul_f64 v[24:25], v[6:7], 0.5
	v_fmac_f64_e32 v[24:25], v[20:21], v[18:19]
	v_fma_f64 v[6:7], v[14:15], v[24:25], -v[6:7]
	v_fmac_f64_e32 v[6:7], s[28:29], v[20:21]
	v_add_f64 v[4:5], v[4:5], -v[6:7]
	v_and_b32_e32 v6, 1, v22
	v_xor_b32_e32 v5, 0x80000000, v5
	v_cmp_eq_u32_e32 vcc, 0, v6
	s_nop 1
	v_cndmask_b32_e32 v14, v4, v16, vcc
	v_cndmask_b32_e32 v15, v5, v17, vcc
	v_mul_f64 v[4:5], v[8:9], v[12:13]
	v_div_scale_f64 v[6:7], s[10:11], v[28:29], v[28:29], v[4:5]
	v_rcp_f64_e32 v[8:9], v[6:7]
	v_lshlrev_b32_e32 v16, 30, v22
	v_bitop3_b32 v13, v15, v16, s40 bitop3:0x78
	v_cndmask_b32_e64 v12, 0, v14, s[0:1]
	v_fma_f64 v[14:15], -v[6:7], v[8:9], 1.0
	v_fmac_f64_e32 v[8:9], v[8:9], v[14:15]
	v_fma_f64 v[14:15], -v[6:7], v[8:9], 1.0
	v_fmac_f64_e32 v[8:9], v[8:9], v[14:15]
	v_div_scale_f64 v[14:15], vcc, v[4:5], v[28:29], v[4:5]
	v_mul_f64 v[16:17], v[14:15], v[8:9]
	v_fma_f64 v[6:7], -v[6:7], v[16:17], v[14:15]
	v_cndmask_b32_e64 v13, v32, v13, s[0:1]
	s_nop 0
	v_div_fmas_f64 v[6:7], v[6:7], v[8:9], v[16:17]
	v_div_fixup_f64 v[4:5], v[6:7], v[28:29], v[4:5]
	v_mul_f64 v[4:5], v[4:5], v[12:13]
	v_fma_f64 v[2:3], v[10:11], v[2:3], -v[4:5]
	v_mul_f64 v[0:1], v[0:1], v[2:3]
.LBB10_134:
	s_or_b64 exec, exec, s[8:9]
.LBB10_135:
	s_or_b64 exec, exec, s[6:7]
.LBB10_136:
	s_or_b64 exec, exec, s[4:5]
	s_or_b64 exec, exec, s[2:3]
	s_setpc_b64 s[30:31]
.Lfunc_end10:
	.size	_ZN2at6native6invokeIZZZNS0_12_GLOBAL__N_119airy_ai_kernel_cudaERNS_18TensorIteratorBaseEENKUlvE_clEvENKUlvE_clEvEUldE_j15function_traitsIS7_EEENT1_11result_typeERKT_PrKPcPKT0_PKN3c1010ScalarTypeEi, .Lfunc_end10-_ZN2at6native6invokeIZZZNS0_12_GLOBAL__N_119airy_ai_kernel_cudaERNS_18TensorIteratorBaseEENKUlvE_clEvENKUlvE_clEvEUldE_j15function_traitsIS7_EEENT1_11result_typeERKT_PrKPcPKT0_PKN3c1010ScalarTypeEi
                                        ; -- End function
	.set .L_ZN2at6native6invokeIZZZNS0_12_GLOBAL__N_119airy_ai_kernel_cudaERNS_18TensorIteratorBaseEENKUlvE_clEvENKUlvE_clEvEUldE_j15function_traitsIS7_EEENT1_11result_typeERKT_PrKPcPKT0_PKN3c1010ScalarTypeEi.num_vgpr, 36
	.set .L_ZN2at6native6invokeIZZZNS0_12_GLOBAL__N_119airy_ai_kernel_cudaERNS_18TensorIteratorBaseEENKUlvE_clEvENKUlvE_clEvEUldE_j15function_traitsIS7_EEENT1_11result_typeERKT_PrKPcPKT0_PKN3c1010ScalarTypeEi.num_agpr, 0
	.set .L_ZN2at6native6invokeIZZZNS0_12_GLOBAL__N_119airy_ai_kernel_cudaERNS_18TensorIteratorBaseEENKUlvE_clEvENKUlvE_clEvEUldE_j15function_traitsIS7_EEENT1_11result_typeERKT_PrKPcPKT0_PKN3c1010ScalarTypeEi.numbered_sgpr, 46
	.set .L_ZN2at6native6invokeIZZZNS0_12_GLOBAL__N_119airy_ai_kernel_cudaERNS_18TensorIteratorBaseEENKUlvE_clEvENKUlvE_clEvEUldE_j15function_traitsIS7_EEENT1_11result_typeERKT_PrKPcPKT0_PKN3c1010ScalarTypeEi.num_named_barrier, 0
	.set .L_ZN2at6native6invokeIZZZNS0_12_GLOBAL__N_119airy_ai_kernel_cudaERNS_18TensorIteratorBaseEENKUlvE_clEvENKUlvE_clEvEUldE_j15function_traitsIS7_EEENT1_11result_typeERKT_PrKPcPKT0_PKN3c1010ScalarTypeEi.private_seg_size, 0
	.set .L_ZN2at6native6invokeIZZZNS0_12_GLOBAL__N_119airy_ai_kernel_cudaERNS_18TensorIteratorBaseEENKUlvE_clEvENKUlvE_clEvEUldE_j15function_traitsIS7_EEENT1_11result_typeERKT_PrKPcPKT0_PKN3c1010ScalarTypeEi.uses_vcc, 1
	.set .L_ZN2at6native6invokeIZZZNS0_12_GLOBAL__N_119airy_ai_kernel_cudaERNS_18TensorIteratorBaseEENKUlvE_clEvENKUlvE_clEvEUldE_j15function_traitsIS7_EEENT1_11result_typeERKT_PrKPcPKT0_PKN3c1010ScalarTypeEi.uses_flat_scratch, 0
	.set .L_ZN2at6native6invokeIZZZNS0_12_GLOBAL__N_119airy_ai_kernel_cudaERNS_18TensorIteratorBaseEENKUlvE_clEvENKUlvE_clEvEUldE_j15function_traitsIS7_EEENT1_11result_typeERKT_PrKPcPKT0_PKN3c1010ScalarTypeEi.has_dyn_sized_stack, 0
	.set .L_ZN2at6native6invokeIZZZNS0_12_GLOBAL__N_119airy_ai_kernel_cudaERNS_18TensorIteratorBaseEENKUlvE_clEvENKUlvE_clEvEUldE_j15function_traitsIS7_EEENT1_11result_typeERKT_PrKPcPKT0_PKN3c1010ScalarTypeEi.has_recursion, 0
	.set .L_ZN2at6native6invokeIZZZNS0_12_GLOBAL__N_119airy_ai_kernel_cudaERNS_18TensorIteratorBaseEENKUlvE_clEvENKUlvE_clEvEUldE_j15function_traitsIS7_EEENT1_11result_typeERKT_PrKPcPKT0_PKN3c1010ScalarTypeEi.has_indirect_call, 0
	.section	.AMDGPU.csdata,"",@progbits
; Function info:
; codeLenInByte = 8392
; TotalNumSgprs: 52
; NumVgprs: 36
; NumAgprs: 0
; TotalNumVgprs: 36
; ScratchSize: 0
; MemoryBound: 1
	.section	.text._ZN2at6native32elementwise_kernel_manual_unrollILi128ELi4EZNS0_15gpu_kernel_implIZZZNS0_12_GLOBAL__N_119airy_ai_kernel_cudaERNS_18TensorIteratorBaseEENKUlvE_clEvENKUlvE_clEvEUldE_EEvS5_RKT_EUlibE0_EEviT1_,"axG",@progbits,_ZN2at6native32elementwise_kernel_manual_unrollILi128ELi4EZNS0_15gpu_kernel_implIZZZNS0_12_GLOBAL__N_119airy_ai_kernel_cudaERNS_18TensorIteratorBaseEENKUlvE_clEvENKUlvE_clEvEUldE_EEvS5_RKT_EUlibE0_EEviT1_,comdat
	.globl	_ZN2at6native32elementwise_kernel_manual_unrollILi128ELi4EZNS0_15gpu_kernel_implIZZZNS0_12_GLOBAL__N_119airy_ai_kernel_cudaERNS_18TensorIteratorBaseEENKUlvE_clEvENKUlvE_clEvEUldE_EEvS5_RKT_EUlibE0_EEviT1_ ; -- Begin function _ZN2at6native32elementwise_kernel_manual_unrollILi128ELi4EZNS0_15gpu_kernel_implIZZZNS0_12_GLOBAL__N_119airy_ai_kernel_cudaERNS_18TensorIteratorBaseEENKUlvE_clEvENKUlvE_clEvEUldE_EEvS5_RKT_EUlibE0_EEviT1_
	.p2align	8
	.type	_ZN2at6native32elementwise_kernel_manual_unrollILi128ELi4EZNS0_15gpu_kernel_implIZZZNS0_12_GLOBAL__N_119airy_ai_kernel_cudaERNS_18TensorIteratorBaseEENKUlvE_clEvENKUlvE_clEvEUldE_EEvS5_RKT_EUlibE0_EEviT1_,@function
_ZN2at6native32elementwise_kernel_manual_unrollILi128ELi4EZNS0_15gpu_kernel_implIZZZNS0_12_GLOBAL__N_119airy_ai_kernel_cudaERNS_18TensorIteratorBaseEENKUlvE_clEvENKUlvE_clEvEUldE_EEvS5_RKT_EUlibE0_EEviT1_: ; @_ZN2at6native32elementwise_kernel_manual_unrollILi128ELi4EZNS0_15gpu_kernel_implIZZZNS0_12_GLOBAL__N_119airy_ai_kernel_cudaERNS_18TensorIteratorBaseEENKUlvE_clEvENKUlvE_clEvEUldE_EEvS5_RKT_EUlibE0_EEviT1_
; %bb.0:
	s_load_dword s82, s[0:1], 0x0
	s_load_dword s33, s[0:1], 0x8
	s_mov_b64 s[34:35], s[0:1]
	s_add_u32 s46, s34, 8
	s_addc_u32 s47, s35, 0
	v_lshl_or_b32 v40, s2, 9, v0
	s_waitcnt lgkmcnt(0)
	s_add_i32 s84, s33, -1
	v_or_b32_e32 v6, 0x180, v40
	s_cmp_gt_u32 s84, 1
	v_cmp_le_i32_e32 vcc, s82, v6
	s_cselect_b64 s[58:59], -1, 0
	s_mov_b64 s[56:57], 0
	s_mov_b64 s[48:49], 0
	s_mov_b32 s32, 0
	s_and_saveexec_b64 s[0:1], vcc
	s_xor_b64 s[60:61], exec, s[0:1]
	s_cbranch_execz .LBB11_570
; %bb.1:
	v_mov_b32_e32 v0, 0
	global_load_ushort v0, v0, s[46:47] offset:345
	s_load_dwordx4 s[52:55], s[46:47], 0x4
	s_load_dwordx2 s[62:63], s[46:47], 0x14
	s_load_dwordx4 s[48:51], s[46:47], 0xc4
	s_load_dwordx4 s[36:39], s[46:47], 0x148
	s_cmp_lg_u32 s33, 0
	s_cselect_b64 s[68:69], -1, 0
	s_add_u32 s66, s46, 0xc4
	s_addc_u32 s67, s47, 0
	s_min_u32 s86, s84, 15
	v_mov_b32_e32 v1, 8
	s_cmp_gt_u32 s33, 1
	v_cmp_gt_i32_e32 vcc, s82, v40
	s_mov_b64 s[0:1], -1
	s_mov_b64 s[76:77], 0
	s_cselect_b64 s[64:65], -1, 0
	s_mov_b64 s[70:71], 0
	s_waitcnt vmcnt(0)
	v_readfirstlane_b32 s85, v0
	v_lshrrev_b32_sdwa v36, v1, v0 dst_sel:DWORD dst_unused:UNUSED_PAD src0_sel:DWORD src1_sel:WORD_0
	s_and_saveexec_b64 s[72:73], vcc
                                        ; implicit-def: $vgpr2_vgpr3
	s_cbranch_execz .LBB11_139
; %bb.2:
	s_andn2_b64 vcc, exec, s[58:59]
	s_cbranch_vccnz .LBB11_8
; %bb.3:
	s_andn2_b64 vcc, exec, s[68:69]
	s_cbranch_vccnz .LBB11_9
; %bb.4:
	s_add_i32 s25, s86, 1
	s_cmp_eq_u32 s84, 2
	s_cbranch_scc1 .LBB11_10
; %bb.5:
	s_and_b32 s24, s25, 28
	s_mov_b32 s26, 0
	v_mov_b32_e32 v38, 0
	v_mov_b32_e32 v2, 0
	s_mov_b64 s[20:21], s[46:47]
	s_mov_b64 s[22:23], s[66:67]
	v_mov_b32_e32 v0, v40
.LBB11_6:                               ; =>This Inner Loop Header: Depth=1
	s_load_dwordx8 s[8:15], s[20:21], 0x4
	s_load_dwordx4 s[16:19], s[20:21], 0x24
	s_load_dwordx8 s[0:7], s[22:23], 0x0
	s_add_u32 s20, s20, 48
	s_addc_u32 s21, s21, 0
	s_waitcnt lgkmcnt(0)
	v_mul_hi_u32 v1, s9, v0
	v_add_u32_e32 v1, v0, v1
	v_lshrrev_b32_e32 v1, s10, v1
	v_mul_lo_u32 v3, v1, s8
	v_mul_hi_u32 v4, s12, v1
	v_sub_u32_e32 v0, v0, v3
	v_add_u32_e32 v3, v1, v4
	v_lshrrev_b32_e32 v3, s13, v3
	v_mul_lo_u32 v5, v3, s11
	v_mul_hi_u32 v6, s15, v3
	v_sub_u32_e32 v1, v1, v5
	v_add_u32_e32 v5, v3, v6
	v_mul_lo_u32 v4, v0, s1
	v_mul_lo_u32 v0, v0, s0
	;; [unrolled: 1-line block ×4, first 2 shown]
	v_lshrrev_b32_e32 v5, s16, v5
	v_add3_u32 v1, v0, v38, v1
	v_add3_u32 v2, v4, v2, v6
	v_mul_lo_u32 v0, v5, s14
	v_mul_hi_u32 v4, s18, v5
	v_sub_u32_e32 v0, v3, v0
	v_add_u32_e32 v3, v5, v4
	v_mul_lo_u32 v4, v0, s4
	v_mul_lo_u32 v6, v0, s5
	v_lshrrev_b32_e32 v0, s19, v3
	s_add_i32 s26, s26, 4
	v_mul_lo_u32 v3, v0, s17
	s_add_u32 s22, s22, 32
	v_sub_u32_e32 v3, v5, v3
	s_addc_u32 s23, s23, 0
	v_mul_lo_u32 v5, v3, s6
	v_mul_lo_u32 v3, v3, s7
	s_cmp_lg_u32 s24, s26
	v_add3_u32 v2, v6, v2, v3
	v_add3_u32 v38, v4, v1, v5
	s_cbranch_scc1 .LBB11_6
; %bb.7:
	v_mov_b32_e32 v1, v2
	s_branch .LBB11_11
.LBB11_8:
                                        ; implicit-def: $vgpr2
                                        ; implicit-def: $vgpr38
	s_andn2_b64 vcc, exec, s[0:1]
	s_cbranch_vccz .LBB11_15
	s_branch .LBB11_17
.LBB11_9:
	v_mov_b32_e32 v2, 0
	v_mov_b32_e32 v38, 0
	s_branch .LBB11_14
.LBB11_10:
	v_mov_b32_e32 v38, 0
	s_mov_b32 s24, 0
	v_mov_b32_e32 v1, v38
                                        ; implicit-def: $vgpr2
	v_mov_b32_e32 v0, v40
.LBB11_11:
	s_and_b32 s4, s25, 3
	s_cmp_eq_u32 s4, 0
	s_cbranch_scc1 .LBB11_14
; %bb.12:
	s_lshl_b32 s0, s24, 3
	s_add_u32 s0, s46, s0
	s_addc_u32 s1, s47, 0
	s_add_u32 s0, s0, 0xc4
	s_addc_u32 s1, s1, 0
	s_mul_i32 s2, s24, 12
	s_add_u32 s2, s46, s2
	s_addc_u32 s3, s47, 0
.LBB11_13:                              ; =>This Inner Loop Header: Depth=1
	s_load_dwordx2 s[6:7], s[2:3], 0x4
	s_load_dword s5, s[2:3], 0xc
	s_load_dwordx2 s[8:9], s[0:1], 0x0
	v_mov_b32_e32 v2, v1
	s_add_u32 s2, s2, 12
	s_waitcnt lgkmcnt(0)
	v_mul_hi_u32 v1, s7, v0
	v_add_u32_e32 v1, v0, v1
	v_lshrrev_b32_e32 v1, s5, v1
	s_addc_u32 s3, s3, 0
	v_mul_lo_u32 v3, v1, s6
	s_add_u32 s0, s0, 8
	v_sub_u32_e32 v4, v0, v3
	s_addc_u32 s1, s1, 0
	s_add_i32 s4, s4, -1
	v_mad_u64_u32 v[2:3], s[6:7], v4, s9, v[2:3]
	s_cmp_lg_u32 s4, 0
	v_mov_b32_e32 v0, v1
	v_mad_u64_u32 v[38:39], s[6:7], v4, s8, v[38:39]
	v_mov_b32_e32 v1, v2
	s_cbranch_scc1 .LBB11_13
.LBB11_14:
	s_cbranch_execnz .LBB11_17
.LBB11_15:
	s_waitcnt lgkmcnt(0)
	v_mul_hi_u32 v0, s53, v40
	v_add_u32_e32 v0, v40, v0
	v_lshrrev_b32_e32 v0, s54, v0
	v_mul_lo_u32 v1, v0, s52
	v_sub_u32_e32 v1, v40, v1
	v_mul_lo_u32 v2, v1, s49
	s_andn2_b64 vcc, exec, s[64:65]
	v_mul_lo_u32 v38, v1, s48
	s_cbranch_vccnz .LBB11_17
; %bb.16:
	v_mul_hi_u32 v1, s62, v0
	v_add_u32_e32 v1, v0, v1
	v_lshrrev_b32_e32 v1, s63, v1
	v_mul_lo_u32 v1, v1, s55
	v_sub_u32_e32 v0, v0, v1
	v_mad_u64_u32 v[38:39], s[0:1], v0, s50, v[38:39]
	v_mad_u64_u32 v[2:3], s[0:1], v0, s51, v[2:3]
.LBB11_17:
	s_getpc_b64 s[0:1]
	s_add_u32 s0, s0, _ZN2at6native6invokeIZZZNS0_12_GLOBAL__N_119airy_ai_kernel_cudaERNS_18TensorIteratorBaseEENKUlvE_clEvENKUlvE_clEvEUldE_j15function_traitsIS7_EEENT1_11result_typeERKT_PrKPcPKT0_PKN3c1010ScalarTypeEi@rel32@lo+4
	s_addc_u32 s1, s1, _ZN2at6native6invokeIZZZNS0_12_GLOBAL__N_119airy_ai_kernel_cudaERNS_18TensorIteratorBaseEENKUlvE_clEvENKUlvE_clEvEUldE_j15function_traitsIS7_EEENT1_11result_typeERKT_PrKPcPKT0_PKN3c1010ScalarTypeEi@rel32@hi+12
	s_waitcnt lgkmcnt(0)
	v_mov_b32_e32 v0, s38
	v_mov_b32_e32 v1, s39
	;; [unrolled: 1-line block ×3, first 2 shown]
	s_swappc_b64 s[30:31], s[0:1]
	v_mov_b32_e32 v39, 0
	s_and_b32 s8, s85, 0xff
	s_cmp_lt_i32 s8, 11
	v_lshl_add_u64 v[4:5], s[36:37], 0, v[38:39]
	s_cbranch_scc1 .LBB11_24
; %bb.18:
	s_and_b32 s9, 0xffff, s8
	s_cmp_gt_i32 s9, 25
	s_cbranch_scc0 .LBB11_27
; %bb.19:
	s_cmp_gt_i32 s9, 28
	s_cbranch_scc0 .LBB11_28
; %bb.20:
	;; [unrolled: 3-line block ×4, first 2 shown]
	s_mov_b64 s[4:5], 0
	s_mov_b64 s[0:1], -1
	s_cmp_eq_u32 s9, 46
	s_mov_b64 s[2:3], 0
	s_cbranch_scc0 .LBB11_31
; %bb.23:
	v_cvt_f32_f64_e32 v2, v[0:1]
	v_bfe_u32 v3, v2, 16, 1
	s_movk_i32 s0, 0x7fff
	v_add3_u32 v3, v2, v3, s0
	v_cmp_o_f32_e32 vcc, v2, v2
	v_mov_b32_e32 v2, 0x7fc0
	s_mov_b64 s[2:3], -1
	v_cndmask_b32_sdwa v2, v2, v3, vcc dst_sel:DWORD dst_unused:UNUSED_PAD src0_sel:DWORD src1_sel:WORD_1
	global_store_dword v[4:5], v2, off
	s_mov_b64 s[0:1], 0
	s_branch .LBB11_31
.LBB11_24:
	s_mov_b64 s[0:1], 0
	s_mov_b64 s[2:3], 0
	s_cbranch_execnz .LBB11_99
.LBB11_25:
	s_andn2_b64 vcc, exec, s[2:3]
	s_cbranch_vccnz .LBB11_137
.LBB11_26:
	v_add_u32_e32 v40, 0x80, v40
	s_mov_b64 s[2:3], -1
	s_branch .LBB11_138
.LBB11_27:
	s_mov_b64 s[0:1], 0
	s_mov_b64 s[2:3], 0
	s_cbranch_execnz .LBB11_58
	s_branch .LBB11_98
.LBB11_28:
	s_mov_b64 s[4:5], -1
	s_mov_b64 s[0:1], 0
	s_mov_b64 s[2:3], 0
	s_branch .LBB11_41
.LBB11_29:
	s_mov_b64 s[4:5], -1
	s_mov_b64 s[0:1], 0
	s_mov_b64 s[2:3], 0
	s_branch .LBB11_37
.LBB11_30:
	s_mov_b64 s[4:5], -1
	s_mov_b64 s[0:1], 0
	s_mov_b64 s[2:3], 0
.LBB11_31:
	s_and_b64 vcc, exec, s[4:5]
	s_cbranch_vccz .LBB11_36
; %bb.32:
	s_cmp_eq_u32 s9, 44
	s_mov_b64 s[0:1], -1
	s_cbranch_scc0 .LBB11_36
; %bb.33:
	v_cvt_f32_f64_e32 v2, v[0:1]
	v_bfe_u32 v3, v2, 23, 8
	s_movk_i32 s0, 0xff
	v_cmp_ne_u32_e32 vcc, s0, v3
	v_mov_b32_e32 v6, 0xff
	s_and_saveexec_b64 s[2:3], vcc
; %bb.34:
	s_mov_b32 s0, 0x3fffff
	v_lshrrev_b32_e32 v6, 23, v2
	v_and_b32_e32 v7, 0x400000, v2
	v_and_or_b32 v2, v2, s0, v3
	v_cmp_ne_u32_e32 vcc, 0, v7
	v_cmp_ne_u32_e64 s[0:1], 0, v2
	s_and_b64 s[0:1], vcc, s[0:1]
	s_nop 0
	v_cndmask_b32_e64 v2, 0, 1, s[0:1]
	v_add_u32_e32 v6, v6, v2
; %bb.35:
	s_or_b64 exec, exec, s[2:3]
	s_mov_b64 s[2:3], -1
	s_mov_b64 s[0:1], 0
	global_store_byte v[4:5], v6, off
.LBB11_36:
	s_mov_b64 s[4:5], 0
.LBB11_37:
	s_and_b64 vcc, exec, s[4:5]
	s_cbranch_vccz .LBB11_40
; %bb.38:
	s_cmp_eq_u32 s9, 29
	s_mov_b64 s[0:1], -1
	s_cbranch_scc0 .LBB11_40
; %bb.39:
	v_trunc_f64_e32 v[2:3], v[0:1]
	s_movk_i32 s0, 0xffe0
	v_ldexp_f64 v[6:7], v[2:3], s0
	v_floor_f64_e32 v[6:7], v[6:7]
	v_fmac_f64_e32 v[2:3], 0xc1f00000, v[6:7]
	v_cvt_u32_f64_e32 v9, v[6:7]
	v_cvt_u32_f64_e32 v8, v[2:3]
	global_store_dwordx2 v[4:5], v[8:9], off
	s_mov_b64 s[2:3], -1
	s_mov_b64 s[0:1], 0
.LBB11_40:
	s_mov_b64 s[4:5], 0
.LBB11_41:
	s_and_b64 vcc, exec, s[4:5]
	s_cbranch_vccz .LBB11_57
; %bb.42:
	s_cmp_lt_i32 s9, 27
	s_mov_b64 s[2:3], -1
	s_cbranch_scc1 .LBB11_48
; %bb.43:
	s_cmp_gt_i32 s9, 27
	s_cbranch_scc0 .LBB11_45
; %bb.44:
	v_cvt_u32_f64_e32 v2, v[0:1]
	s_mov_b64 s[2:3], 0
	global_store_dword v[4:5], v2, off
.LBB11_45:
	s_andn2_b64 vcc, exec, s[2:3]
	s_cbranch_vccnz .LBB11_47
; %bb.46:
	v_cvt_u32_f64_e32 v2, v[0:1]
	global_store_short v[4:5], v2, off
.LBB11_47:
	s_mov_b64 s[2:3], 0
.LBB11_48:
	s_andn2_b64 vcc, exec, s[2:3]
	s_cbranch_vccnz .LBB11_56
; %bb.49:
	v_cvt_f32_f64_e32 v2, v[0:1]
	v_and_b32_e32 v3, 0x7fffffff, v2
	s_mov_b32 s2, 0x43800000
	v_cmp_gt_u32_e32 vcc, s2, v3
	v_mov_b32_e32 v6, 0x80
	s_and_saveexec_b64 s[2:3], vcc
	s_cbranch_execz .LBB11_55
; %bb.50:
	s_mov_b32 s4, 0x3bffffff
	v_cmp_lt_u32_e32 vcc, s4, v3
	s_mov_b64 s[4:5], 0
                                        ; implicit-def: $vgpr3
	s_and_saveexec_b64 s[6:7], vcc
	s_xor_b64 s[6:7], exec, s[6:7]
	s_cbranch_execz .LBB11_171
; %bb.51:
	v_bfe_u32 v3, v2, 20, 1
	s_mov_b32 s10, 0x487ffff
	v_add3_u32 v3, v2, v3, s10
	s_mov_b64 s[4:5], exec
	v_lshrrev_b32_e32 v3, 20, v3
	s_andn2_saveexec_b64 s[6:7], s[6:7]
	s_cbranch_execnz .LBB11_172
.LBB11_52:
	s_or_b64 exec, exec, s[6:7]
	v_mov_b32_e32 v6, 0
	s_and_saveexec_b64 s[6:7], s[4:5]
.LBB11_53:
	v_lshrrev_b32_e32 v2, 24, v2
	s_movk_i32 s4, 0x80
	v_and_or_b32 v6, v2, s4, v3
.LBB11_54:
	s_or_b64 exec, exec, s[6:7]
.LBB11_55:
	s_or_b64 exec, exec, s[2:3]
	global_store_byte v[4:5], v6, off
.LBB11_56:
	s_mov_b64 s[2:3], -1
.LBB11_57:
	s_branch .LBB11_98
.LBB11_58:
	s_cmp_gt_i32 s9, 22
	s_mov_b64 s[4:5], -1
	s_cbranch_scc0 .LBB11_90
; %bb.59:
	s_cmp_lt_i32 s9, 24
	s_mov_b64 s[2:3], -1
	s_cbranch_scc1 .LBB11_79
; %bb.60:
	s_cmp_gt_i32 s9, 24
	s_cbranch_scc0 .LBB11_68
; %bb.61:
	v_cvt_f32_f64_e32 v2, v[0:1]
	v_and_b32_e32 v3, 0x7fffffff, v2
	s_mov_b32 s2, 0x47800000
	v_cmp_gt_u32_e32 vcc, s2, v3
	v_mov_b32_e32 v6, 0x80
	s_and_saveexec_b64 s[2:3], vcc
	s_cbranch_execz .LBB11_67
; %bb.62:
	s_mov_b32 s4, 0x37ffffff
	v_cmp_lt_u32_e32 vcc, s4, v3
	s_mov_b64 s[4:5], 0
                                        ; implicit-def: $vgpr3
	s_and_saveexec_b64 s[6:7], vcc
	s_xor_b64 s[6:7], exec, s[6:7]
	s_cbranch_execz .LBB11_174
; %bb.63:
	v_bfe_u32 v3, v2, 21, 1
	s_mov_b32 s10, 0x88fffff
	v_add3_u32 v3, v2, v3, s10
	s_mov_b64 s[4:5], exec
	v_lshrrev_b32_e32 v3, 21, v3
	s_andn2_saveexec_b64 s[6:7], s[6:7]
	s_cbranch_execnz .LBB11_175
.LBB11_64:
	s_or_b64 exec, exec, s[6:7]
	v_mov_b32_e32 v6, 0
	s_and_saveexec_b64 s[6:7], s[4:5]
.LBB11_65:
	v_lshrrev_b32_e32 v2, 24, v2
	s_movk_i32 s4, 0x80
	v_and_or_b32 v6, v2, s4, v3
.LBB11_66:
	s_or_b64 exec, exec, s[6:7]
.LBB11_67:
	s_or_b64 exec, exec, s[2:3]
	s_mov_b64 s[2:3], 0
	global_store_byte v[4:5], v6, off
.LBB11_68:
	s_and_b64 vcc, exec, s[2:3]
	s_cbranch_vccz .LBB11_78
; %bb.69:
	v_cvt_f32_f64_e32 v2, v[0:1]
	v_and_b32_e32 v6, 0x7fffffff, v2
	s_mov_b32 s2, 0x43f00000
	v_cmp_gt_u32_e32 vcc, s2, v6
                                        ; implicit-def: $vgpr3
	s_and_saveexec_b64 s[2:3], vcc
	s_xor_b64 s[2:3], exec, s[2:3]
	s_cbranch_execz .LBB11_75
; %bb.70:
	s_mov_b32 s4, 0x3c7fffff
	v_cmp_lt_u32_e32 vcc, s4, v6
                                        ; implicit-def: $vgpr3
	s_and_saveexec_b64 s[4:5], vcc
	s_xor_b64 s[4:5], exec, s[4:5]
; %bb.71:
	v_bfe_u32 v3, v2, 20, 1
	s_mov_b32 s6, 0x407ffff
	v_add3_u32 v3, v2, v3, s6
	v_lshrrev_b32_e32 v6, 20, v3
	v_and_b32_e32 v3, 0xff00000, v3
	s_mov_b32 s6, 0x7f00000
	v_mov_b32_e32 v7, 0x7e
	v_cmp_ne_u32_e32 vcc, s6, v3
	s_nop 1
	v_cndmask_b32_e32 v3, v7, v6, vcc
; %bb.72:
	s_andn2_saveexec_b64 s[4:5], s[4:5]
; %bb.73:
	s_mov_b32 s6, 0x46800000
	v_add_f32_e64 v3, |v2|, s6
; %bb.74:
	s_or_b64 exec, exec, s[4:5]
                                        ; implicit-def: $vgpr6
.LBB11_75:
	s_andn2_saveexec_b64 s[2:3], s[2:3]
; %bb.76:
	s_mov_b32 s4, 0x7f800000
	v_mov_b32_e32 v3, 0x7e
	v_mov_b32_e32 v7, 0x7f
	v_cmp_lt_u32_e32 vcc, s4, v6
	s_nop 1
	v_cndmask_b32_e32 v3, v3, v7, vcc
; %bb.77:
	s_or_b64 exec, exec, s[2:3]
	v_lshrrev_b32_e32 v2, 24, v2
	s_movk_i32 s2, 0x80
	v_and_or_b32 v2, v2, s2, v3
	global_store_byte v[4:5], v2, off
.LBB11_78:
	s_mov_b64 s[2:3], 0
.LBB11_79:
	s_andn2_b64 vcc, exec, s[2:3]
	s_cbranch_vccnz .LBB11_89
; %bb.80:
	v_cvt_f32_f64_e32 v2, v[0:1]
	v_and_b32_e32 v6, 0x7fffffff, v2
	s_mov_b32 s2, 0x47800000
	v_cmp_gt_u32_e32 vcc, s2, v6
                                        ; implicit-def: $vgpr3
	s_and_saveexec_b64 s[2:3], vcc
	s_xor_b64 s[2:3], exec, s[2:3]
	s_cbranch_execz .LBB11_86
; %bb.81:
	s_mov_b32 s4, 0x387fffff
	v_cmp_lt_u32_e32 vcc, s4, v6
                                        ; implicit-def: $vgpr3
	s_and_saveexec_b64 s[4:5], vcc
	s_xor_b64 s[4:5], exec, s[4:5]
; %bb.82:
	v_bfe_u32 v3, v2, 21, 1
	s_mov_b32 s6, 0x80fffff
	v_add3_u32 v3, v2, v3, s6
	v_lshrrev_b32_e32 v3, 21, v3
; %bb.83:
	s_andn2_saveexec_b64 s[4:5], s[4:5]
; %bb.84:
	s_mov_b32 s6, 0x43000000
	v_add_f32_e64 v3, |v2|, s6
; %bb.85:
	s_or_b64 exec, exec, s[4:5]
                                        ; implicit-def: $vgpr6
.LBB11_86:
	s_andn2_saveexec_b64 s[2:3], s[2:3]
; %bb.87:
	s_mov_b32 s4, 0x7f800000
	v_mov_b32_e32 v3, 0x7c
	v_mov_b32_e32 v7, 0x7f
	v_cmp_lt_u32_e32 vcc, s4, v6
	s_nop 1
	v_cndmask_b32_e32 v3, v3, v7, vcc
; %bb.88:
	s_or_b64 exec, exec, s[2:3]
	v_lshrrev_b32_e32 v2, 24, v2
	s_movk_i32 s2, 0x80
	v_and_or_b32 v2, v2, s2, v3
	global_store_byte v[4:5], v2, off
.LBB11_89:
	s_mov_b64 s[4:5], 0
	s_mov_b64 s[2:3], -1
.LBB11_90:
	s_andn2_b64 vcc, exec, s[4:5]
	s_cbranch_vccnz .LBB11_98
; %bb.91:
	s_cmp_gt_i32 s9, 14
	s_mov_b64 s[4:5], -1
	s_cbranch_scc0 .LBB11_95
; %bb.92:
	s_cmp_eq_u32 s9, 15
	s_mov_b64 s[0:1], -1
	s_cbranch_scc0 .LBB11_94
; %bb.93:
	v_cvt_f32_f64_e32 v2, v[0:1]
	v_bfe_u32 v3, v2, 16, 1
	s_movk_i32 s0, 0x7fff
	v_add3_u32 v3, v2, v3, s0
	v_cmp_o_f32_e32 vcc, v2, v2
	v_mov_b32_e32 v2, 0x7fc0
	s_mov_b64 s[2:3], -1
	v_cndmask_b32_sdwa v2, v2, v3, vcc dst_sel:DWORD dst_unused:UNUSED_PAD src0_sel:DWORD src1_sel:WORD_1
	global_store_short v[4:5], v2, off
	s_mov_b64 s[0:1], 0
.LBB11_94:
	s_mov_b64 s[4:5], 0
.LBB11_95:
	s_and_b64 vcc, exec, s[4:5]
	s_cbranch_vccz .LBB11_98
; %bb.96:
	s_cmp_eq_u32 s9, 11
	s_mov_b64 s[0:1], -1
	s_cbranch_scc0 .LBB11_98
; %bb.97:
	v_cmp_neq_f64_e32 vcc, 0, v[0:1]
	s_mov_b64 s[0:1], 0
	s_mov_b64 s[2:3], -1
	v_cndmask_b32_e64 v2, 0, 1, vcc
	global_store_byte v[4:5], v2, off
.LBB11_98:
	s_branch .LBB11_25
.LBB11_99:
	s_and_b32 s4, 0xffff, s8
	s_cmp_lt_i32 s4, 5
	s_mov_b64 s[2:3], -1
	s_cbranch_scc1 .LBB11_120
; %bb.100:
	s_cmp_lt_i32 s4, 8
	s_cbranch_scc1 .LBB11_110
; %bb.101:
	s_cmp_lt_i32 s4, 9
	s_cbranch_scc1 .LBB11_107
; %bb.102:
	s_cmp_gt_i32 s4, 9
	s_cbranch_scc0 .LBB11_104
; %bb.103:
	v_mov_b32_e32 v2, 0
	v_mov_b32_e32 v3, v2
	global_store_dwordx4 v[4:5], v[0:3], off
	s_mov_b64 s[2:3], 0
.LBB11_104:
	s_andn2_b64 vcc, exec, s[2:3]
	s_cbranch_vccnz .LBB11_106
; %bb.105:
	v_cvt_f32_f64_e32 v2, v[0:1]
	v_mov_b32_e32 v3, 0
	global_store_dwordx2 v[4:5], v[2:3], off
.LBB11_106:
	s_mov_b64 s[2:3], 0
.LBB11_107:
	s_andn2_b64 vcc, exec, s[2:3]
	s_cbranch_vccnz .LBB11_109
; %bb.108:
	s_movk_i32 s2, 0x1ff
	v_and_or_b32 v2, v1, s2, v0
	v_cmp_ne_u32_e32 vcc, 0, v2
	v_lshrrev_b32_e32 v3, 8, v1
	s_movk_i32 s2, 0xffe
	v_cndmask_b32_e64 v2, 0, 1, vcc
	v_bfe_u32 v6, v1, 20, 11
	v_and_or_b32 v2, v3, s2, v2
	v_sub_u32_e32 v7, 0x3f1, v6
	v_or_b32_e32 v3, 0x1000, v2
	v_med3_i32 v7, v7, 0, 13
	v_lshrrev_b32_e32 v8, v7, v3
	v_lshlrev_b32_e32 v7, v7, v8
	v_cmp_ne_u32_e32 vcc, v7, v3
	v_add_u32_e32 v6, 0xfffffc10, v6
	v_lshl_or_b32 v7, v6, 12, v2
	v_cndmask_b32_e64 v3, 0, 1, vcc
	v_or_b32_e32 v3, v8, v3
	v_cmp_gt_i32_e32 vcc, 1, v6
	s_movk_i32 s2, 0x40f
	s_nop 0
	v_cndmask_b32_e32 v3, v7, v3, vcc
	v_and_b32_e32 v7, 7, v3
	v_cmp_lt_i32_e32 vcc, 5, v7
	v_lshrrev_b32_e32 v3, 2, v3
	s_nop 0
	v_cndmask_b32_e64 v8, 0, 1, vcc
	v_cmp_eq_u32_e32 vcc, 3, v7
	s_nop 1
	v_cndmask_b32_e64 v7, 0, 1, vcc
	v_or_b32_e32 v7, v7, v8
	v_add_u32_e32 v3, v3, v7
	v_mov_b32_e32 v7, 0x7c00
	v_cmp_gt_i32_e32 vcc, 31, v6
	v_mov_b32_e32 v8, 0x7e00
	s_nop 0
	v_cndmask_b32_e32 v3, v7, v3, vcc
	v_cmp_ne_u32_e32 vcc, 0, v2
	s_nop 1
	v_cndmask_b32_e32 v2, v7, v8, vcc
	v_cmp_eq_u32_e32 vcc, s2, v6
	s_mov_b32 s2, 0x8000
	s_nop 0
	v_cndmask_b32_e32 v2, v3, v2, vcc
	v_and_b32_sdwa v3, v1, s2 dst_sel:DWORD dst_unused:UNUSED_PAD src0_sel:WORD_1 src1_sel:DWORD
	s_mov_b32 s2, 0xffff
	v_bitop3_b32 v2, v3, s2, v2 bitop3:0xc8
	global_store_dword v[4:5], v2, off
.LBB11_109:
	s_mov_b64 s[2:3], 0
.LBB11_110:
	s_andn2_b64 vcc, exec, s[2:3]
	s_cbranch_vccnz .LBB11_119
; %bb.111:
	s_cmp_lt_i32 s4, 6
	s_mov_b64 s[2:3], -1
	s_cbranch_scc1 .LBB11_117
; %bb.112:
	s_cmp_gt_i32 s4, 6
	s_cbranch_scc0 .LBB11_114
; %bb.113:
	global_store_dwordx2 v[4:5], v[0:1], off
	s_mov_b64 s[2:3], 0
.LBB11_114:
	s_andn2_b64 vcc, exec, s[2:3]
	s_cbranch_vccnz .LBB11_116
; %bb.115:
	v_cvt_f32_f64_e32 v2, v[0:1]
	global_store_dword v[4:5], v2, off
.LBB11_116:
	s_mov_b64 s[2:3], 0
.LBB11_117:
	s_andn2_b64 vcc, exec, s[2:3]
	s_cbranch_vccnz .LBB11_119
; %bb.118:
	s_movk_i32 s2, 0x1ff
	v_and_or_b32 v2, v1, s2, v0
	v_cmp_ne_u32_e32 vcc, 0, v2
	v_lshrrev_b32_e32 v3, 8, v1
	s_movk_i32 s2, 0xffe
	v_cndmask_b32_e64 v2, 0, 1, vcc
	v_bfe_u32 v6, v1, 20, 11
	v_and_or_b32 v2, v3, s2, v2
	v_sub_u32_e32 v7, 0x3f1, v6
	v_or_b32_e32 v3, 0x1000, v2
	v_med3_i32 v7, v7, 0, 13
	v_lshrrev_b32_e32 v8, v7, v3
	v_lshlrev_b32_e32 v7, v7, v8
	v_cmp_ne_u32_e32 vcc, v7, v3
	v_add_u32_e32 v6, 0xfffffc10, v6
	v_lshl_or_b32 v7, v6, 12, v2
	v_cndmask_b32_e64 v3, 0, 1, vcc
	v_or_b32_e32 v3, v8, v3
	v_cmp_gt_i32_e32 vcc, 1, v6
	s_movk_i32 s2, 0x40f
	s_nop 0
	v_cndmask_b32_e32 v3, v7, v3, vcc
	v_and_b32_e32 v7, 7, v3
	v_cmp_lt_i32_e32 vcc, 5, v7
	v_lshrrev_b32_e32 v3, 2, v3
	s_nop 0
	v_cndmask_b32_e64 v8, 0, 1, vcc
	v_cmp_eq_u32_e32 vcc, 3, v7
	s_nop 1
	v_cndmask_b32_e64 v7, 0, 1, vcc
	v_or_b32_e32 v7, v7, v8
	v_add_u32_e32 v3, v3, v7
	v_mov_b32_e32 v7, 0x7c00
	v_cmp_gt_i32_e32 vcc, 31, v6
	v_mov_b32_e32 v8, 0x7e00
	s_nop 0
	v_cndmask_b32_e32 v3, v7, v3, vcc
	v_cmp_ne_u32_e32 vcc, 0, v2
	s_nop 1
	v_cndmask_b32_e32 v2, v7, v8, vcc
	v_cmp_eq_u32_e32 vcc, s2, v6
	s_mov_b32 s2, 0x8000
	s_nop 0
	v_cndmask_b32_e32 v2, v3, v2, vcc
	v_lshrrev_b32_e32 v3, 16, v1
	v_and_or_b32 v2, v3, s2, v2
	global_store_short v[4:5], v2, off
.LBB11_119:
	s_mov_b64 s[2:3], 0
.LBB11_120:
	s_andn2_b64 vcc, exec, s[2:3]
	s_cbranch_vccnz .LBB11_136
; %bb.121:
	s_cmp_lt_i32 s4, 2
	s_mov_b64 s[2:3], -1
	s_cbranch_scc1 .LBB11_131
; %bb.122:
	s_cmp_lt_i32 s4, 3
	s_cbranch_scc1 .LBB11_128
; %bb.123:
	s_cmp_gt_i32 s4, 3
	s_cbranch_scc0 .LBB11_125
; %bb.124:
	v_trunc_f64_e32 v[2:3], v[0:1]
	s_movk_i32 s2, 0xffe0
	v_ldexp_f64 v[6:7], v[2:3], s2
	v_floor_f64_e32 v[6:7], v[6:7]
	v_fmac_f64_e32 v[2:3], 0xc1f00000, v[6:7]
	v_cvt_i32_f64_e32 v9, v[6:7]
	v_cvt_u32_f64_e32 v8, v[2:3]
	global_store_dwordx2 v[4:5], v[8:9], off
	s_mov_b64 s[2:3], 0
.LBB11_125:
	s_andn2_b64 vcc, exec, s[2:3]
	s_cbranch_vccnz .LBB11_127
; %bb.126:
	v_cvt_i32_f64_e32 v2, v[0:1]
	global_store_dword v[4:5], v2, off
.LBB11_127:
	s_mov_b64 s[2:3], 0
.LBB11_128:
	s_andn2_b64 vcc, exec, s[2:3]
	s_cbranch_vccnz .LBB11_130
; %bb.129:
	v_cvt_i32_f64_e32 v2, v[0:1]
	global_store_short v[4:5], v2, off
.LBB11_130:
	s_mov_b64 s[2:3], 0
.LBB11_131:
	s_andn2_b64 vcc, exec, s[2:3]
	s_cbranch_vccnz .LBB11_136
; %bb.132:
	s_cmp_gt_i32 s4, 0
	s_mov_b64 s[2:3], -1
	s_cbranch_scc0 .LBB11_134
; %bb.133:
	v_cvt_i32_f64_e32 v2, v[0:1]
	global_store_byte v[4:5], v2, off
	s_mov_b64 s[2:3], 0
.LBB11_134:
	s_andn2_b64 vcc, exec, s[2:3]
	s_cbranch_vccnz .LBB11_136
; %bb.135:
	v_trunc_f64_e32 v[0:1], v[0:1]
	s_movk_i32 s2, 0xffe0
	v_ldexp_f64 v[2:3], v[0:1], s2
	v_floor_f64_e32 v[2:3], v[2:3]
	v_fmac_f64_e32 v[0:1], 0xc1f00000, v[2:3]
	v_cvt_u32_f64_e32 v0, v[0:1]
	global_store_byte v[4:5], v0, off
.LBB11_136:
	s_branch .LBB11_26
.LBB11_137:
	s_mov_b64 s[2:3], 0
                                        ; implicit-def: $vgpr40
.LBB11_138:
	s_and_b64 s[70:71], s[0:1], exec
	s_orn2_b64 s[0:1], s[2:3], exec
.LBB11_139:
	s_or_b64 exec, exec, s[72:73]
	s_mov_b64 s[2:3], 0
                                        ; implicit-def: $sgpr10
                                        ; implicit-def: $vgpr4_vgpr5
                                        ; implicit-def: $vgpr0_vgpr1
	s_and_saveexec_b64 s[72:73], s[0:1]
	s_cbranch_execz .LBB11_147
; %bb.140:
	v_cmp_gt_i32_e32 vcc, s82, v40
	s_mov_b64 s[4:5], -1
	s_mov_b64 s[74:75], s[70:71]
	s_and_saveexec_b64 s[76:77], vcc
	s_cbranch_execz .LBB11_286
; %bb.141:
	s_andn2_b64 vcc, exec, s[58:59]
	s_cbranch_vccnz .LBB11_150
; %bb.142:
	s_andn2_b64 vcc, exec, s[68:69]
	s_cbranch_vccnz .LBB11_151
; %bb.143:
	s_add_i32 s25, s86, 1
	s_cmp_eq_u32 s84, 2
	s_cbranch_scc1 .LBB11_152
; %bb.144:
	s_and_b32 s24, s25, 28
	s_mov_b32 s26, 0
	v_mov_b32_e32 v38, 0
	v_mov_b32_e32 v2, 0
	s_mov_b64 s[20:21], s[46:47]
	s_mov_b64 s[22:23], s[66:67]
	v_mov_b32_e32 v0, v40
.LBB11_145:                             ; =>This Inner Loop Header: Depth=1
	s_load_dwordx8 s[8:15], s[20:21], 0x4
	s_load_dwordx4 s[16:19], s[20:21], 0x24
	s_load_dwordx8 s[0:7], s[22:23], 0x0
	s_add_u32 s20, s20, 48
	s_addc_u32 s21, s21, 0
	s_waitcnt lgkmcnt(0)
	v_mul_hi_u32 v1, s9, v0
	v_add_u32_e32 v1, v0, v1
	v_lshrrev_b32_e32 v1, s10, v1
	v_mul_lo_u32 v3, v1, s8
	v_mul_hi_u32 v4, s12, v1
	v_sub_u32_e32 v0, v0, v3
	v_add_u32_e32 v3, v1, v4
	v_lshrrev_b32_e32 v3, s13, v3
	v_mul_lo_u32 v5, v3, s11
	v_mul_hi_u32 v6, s15, v3
	v_sub_u32_e32 v1, v1, v5
	v_add_u32_e32 v5, v3, v6
	v_mul_lo_u32 v4, v0, s1
	v_mul_lo_u32 v0, v0, s0
	;; [unrolled: 1-line block ×4, first 2 shown]
	v_lshrrev_b32_e32 v5, s16, v5
	v_add3_u32 v1, v0, v38, v1
	v_add3_u32 v2, v4, v2, v6
	v_mul_lo_u32 v0, v5, s14
	v_mul_hi_u32 v4, s18, v5
	v_sub_u32_e32 v0, v3, v0
	v_add_u32_e32 v3, v5, v4
	v_mul_lo_u32 v4, v0, s4
	v_mul_lo_u32 v6, v0, s5
	v_lshrrev_b32_e32 v0, s19, v3
	s_add_i32 s26, s26, 4
	v_mul_lo_u32 v3, v0, s17
	s_add_u32 s22, s22, 32
	v_sub_u32_e32 v3, v5, v3
	s_addc_u32 s23, s23, 0
	v_mul_lo_u32 v5, v3, s6
	v_mul_lo_u32 v3, v3, s7
	s_cmp_eq_u32 s24, s26
	v_add3_u32 v2, v6, v2, v3
	v_add3_u32 v38, v4, v1, v5
	s_cbranch_scc0 .LBB11_145
; %bb.146:
	v_mov_b32_e32 v1, v2
	s_branch .LBB11_153
.LBB11_147:
	s_or_b64 exec, exec, s[72:73]
	s_mov_b64 s[0:1], 0
	s_and_saveexec_b64 s[4:5], s[70:71]
	s_cbranch_execnz .LBB11_530
.LBB11_148:
	s_or_b64 exec, exec, s[4:5]
	s_and_saveexec_b64 s[4:5], s[76:77]
	s_xor_b64 s[4:5], exec, s[4:5]
	s_cbranch_execz .LBB11_531
.LBB11_149:
	v_cmp_neq_f64_e32 vcc, 0, v[0:1]
	s_nop 1
	v_cndmask_b32_e64 v2, 0, 1, vcc
	global_store_byte v[4:5], v2, off
	s_or_b64 exec, exec, s[4:5]
	s_and_saveexec_b64 s[4:5], s[2:3]
	s_xor_b64 s[2:3], exec, s[4:5]
	s_cbranch_execz .LBB11_569
	s_branch .LBB11_532
.LBB11_150:
                                        ; implicit-def: $vgpr2
                                        ; implicit-def: $vgpr38
	s_branch .LBB11_157
.LBB11_151:
	v_mov_b32_e32 v2, 0
	v_mov_b32_e32 v38, 0
	s_branch .LBB11_156
.LBB11_152:
	v_mov_b32_e32 v38, 0
	s_mov_b32 s24, 0
	v_mov_b32_e32 v1, v38
                                        ; implicit-def: $vgpr2
	v_mov_b32_e32 v0, v40
.LBB11_153:
	s_and_b32 s4, s25, 3
	s_cmp_eq_u32 s4, 0
	s_cbranch_scc1 .LBB11_156
; %bb.154:
	s_lshl_b32 s0, s24, 3
	s_add_u32 s0, s46, s0
	s_addc_u32 s1, s47, 0
	s_add_u32 s0, s0, 0xc4
	s_addc_u32 s1, s1, 0
	s_mul_i32 s2, s24, 12
	s_add_u32 s2, s46, s2
	s_addc_u32 s3, s47, 0
.LBB11_155:                             ; =>This Inner Loop Header: Depth=1
	s_load_dwordx2 s[6:7], s[2:3], 0x4
	s_load_dword s5, s[2:3], 0xc
	s_load_dwordx2 s[8:9], s[0:1], 0x0
	v_mov_b32_e32 v2, v1
	s_add_u32 s2, s2, 12
	s_waitcnt lgkmcnt(0)
	v_mul_hi_u32 v1, s7, v0
	v_add_u32_e32 v1, v0, v1
	v_lshrrev_b32_e32 v1, s5, v1
	s_addc_u32 s3, s3, 0
	v_mul_lo_u32 v3, v1, s6
	s_add_u32 s0, s0, 8
	v_sub_u32_e32 v4, v0, v3
	s_addc_u32 s1, s1, 0
	s_add_i32 s4, s4, -1
	v_mad_u64_u32 v[2:3], s[6:7], v4, s9, v[2:3]
	s_cmp_lg_u32 s4, 0
	v_mov_b32_e32 v0, v1
	v_mad_u64_u32 v[38:39], s[6:7], v4, s8, v[38:39]
	v_mov_b32_e32 v1, v2
	s_cbranch_scc1 .LBB11_155
.LBB11_156:
	s_cbranch_execnz .LBB11_159
.LBB11_157:
	s_waitcnt lgkmcnt(0)
	v_mul_hi_u32 v0, s53, v40
	v_add_u32_e32 v0, v40, v0
	v_lshrrev_b32_e32 v0, s54, v0
	v_mul_lo_u32 v1, v0, s52
	v_sub_u32_e32 v1, v40, v1
	v_mul_lo_u32 v2, v1, s49
	s_andn2_b64 vcc, exec, s[64:65]
	v_mul_lo_u32 v38, v1, s48
	s_cbranch_vccnz .LBB11_159
; %bb.158:
	v_mul_hi_u32 v1, s62, v0
	v_add_u32_e32 v1, v0, v1
	v_lshrrev_b32_e32 v1, s63, v1
	v_mul_lo_u32 v1, v1, s55
	v_sub_u32_e32 v0, v0, v1
	v_mad_u64_u32 v[38:39], s[0:1], v0, s50, v[38:39]
	v_mad_u64_u32 v[2:3], s[0:1], v0, s51, v[2:3]
.LBB11_159:
	s_getpc_b64 s[0:1]
	s_add_u32 s0, s0, _ZN2at6native6invokeIZZZNS0_12_GLOBAL__N_119airy_ai_kernel_cudaERNS_18TensorIteratorBaseEENKUlvE_clEvENKUlvE_clEvEUldE_j15function_traitsIS7_EEENT1_11result_typeERKT_PrKPcPKT0_PKN3c1010ScalarTypeEi@rel32@lo+4
	s_addc_u32 s1, s1, _ZN2at6native6invokeIZZZNS0_12_GLOBAL__N_119airy_ai_kernel_cudaERNS_18TensorIteratorBaseEENKUlvE_clEvENKUlvE_clEvEUldE_j15function_traitsIS7_EEENT1_11result_typeERKT_PrKPcPKT0_PKN3c1010ScalarTypeEi@rel32@hi+12
	s_waitcnt lgkmcnt(0)
	v_mov_b32_e32 v0, s38
	v_mov_b32_e32 v1, s39
	;; [unrolled: 1-line block ×3, first 2 shown]
	s_swappc_b64 s[30:31], s[0:1]
	v_mov_b32_e32 v39, 0
	s_and_b32 s8, s85, 0xff
	s_cmp_lt_i32 s8, 11
	v_lshl_add_u64 v[4:5], s[36:37], 0, v[38:39]
	s_cbranch_scc1 .LBB11_166
; %bb.160:
	s_and_b32 s9, 0xffff, s8
	s_cmp_gt_i32 s9, 25
	s_cbranch_scc0 .LBB11_169
; %bb.161:
	s_cmp_gt_i32 s9, 28
	s_cbranch_scc0 .LBB11_170
; %bb.162:
	;; [unrolled: 3-line block ×4, first 2 shown]
	s_mov_b64 s[4:5], 0
	s_mov_b64 s[0:1], -1
	s_cmp_eq_u32 s9, 46
	s_mov_b64 s[2:3], 0
	s_cbranch_scc0 .LBB11_177
; %bb.165:
	v_cvt_f32_f64_e32 v2, v[0:1]
	v_bfe_u32 v3, v2, 16, 1
	s_movk_i32 s0, 0x7fff
	v_add3_u32 v3, v2, v3, s0
	v_cmp_o_f32_e32 vcc, v2, v2
	v_mov_b32_e32 v2, 0x7fc0
	s_mov_b64 s[2:3], -1
	v_cndmask_b32_sdwa v2, v2, v3, vcc dst_sel:DWORD dst_unused:UNUSED_PAD src0_sel:DWORD src1_sel:WORD_1
	global_store_dword v[4:5], v2, off
	s_mov_b64 s[0:1], 0
	s_branch .LBB11_177
.LBB11_166:
	s_mov_b64 s[2:3], 0
	s_mov_b64 s[0:1], s[70:71]
	s_cbranch_execnz .LBB11_246
.LBB11_167:
	s_andn2_b64 vcc, exec, s[2:3]
	s_cbranch_vccnz .LBB11_284
.LBB11_168:
	v_add_u32_e32 v40, 0x80, v40
	s_mov_b64 s[2:3], -1
	s_branch .LBB11_285
.LBB11_169:
	s_mov_b64 s[4:5], -1
	s_mov_b64 s[2:3], 0
	s_mov_b64 s[0:1], s[70:71]
	s_branch .LBB11_204
.LBB11_170:
	s_mov_b64 s[4:5], -1
	s_mov_b64 s[2:3], 0
	s_mov_b64 s[0:1], s[70:71]
	s_branch .LBB11_187
.LBB11_171:
	s_andn2_saveexec_b64 s[6:7], s[6:7]
	s_cbranch_execz .LBB11_52
.LBB11_172:
	s_mov_b32 s10, 0x46000000
	v_add_f32_e64 v3, |v2|, s10
	v_and_b32_e32 v3, 0xff, v3
	v_cmp_ne_u32_e32 vcc, 0, v3
	s_andn2_b64 s[4:5], s[4:5], exec
	s_and_b64 s[10:11], vcc, exec
	s_or_b64 s[4:5], s[4:5], s[10:11]
	s_or_b64 exec, exec, s[6:7]
	v_mov_b32_e32 v6, 0
	s_and_saveexec_b64 s[6:7], s[4:5]
	s_cbranch_execnz .LBB11_53
	s_branch .LBB11_54
.LBB11_173:
	s_mov_b64 s[4:5], -1
	s_mov_b64 s[2:3], 0
	s_mov_b64 s[0:1], s[70:71]
	s_branch .LBB11_183
.LBB11_174:
	s_andn2_saveexec_b64 s[6:7], s[6:7]
	s_cbranch_execz .LBB11_64
.LBB11_175:
	s_mov_b32 s10, 0x42800000
	v_add_f32_e64 v3, |v2|, s10
	v_and_b32_e32 v3, 0xff, v3
	v_cmp_ne_u32_e32 vcc, 0, v3
	s_andn2_b64 s[4:5], s[4:5], exec
	s_and_b64 s[10:11], vcc, exec
	s_or_b64 s[4:5], s[4:5], s[10:11]
	s_or_b64 exec, exec, s[6:7]
	v_mov_b32_e32 v6, 0
	s_and_saveexec_b64 s[6:7], s[4:5]
	s_cbranch_execnz .LBB11_65
	s_branch .LBB11_66
.LBB11_176:
	s_mov_b64 s[4:5], -1
	s_mov_b64 s[2:3], 0
	s_mov_b64 s[0:1], s[70:71]
.LBB11_177:
	s_and_b64 vcc, exec, s[4:5]
	s_cbranch_vccz .LBB11_182
; %bb.178:
	s_cmp_eq_u32 s9, 44
	s_mov_b64 s[0:1], -1
	s_cbranch_scc0 .LBB11_182
; %bb.179:
	v_cvt_f32_f64_e32 v2, v[0:1]
	v_bfe_u32 v3, v2, 23, 8
	s_movk_i32 s0, 0xff
	v_cmp_ne_u32_e32 vcc, s0, v3
	v_mov_b32_e32 v6, 0xff
	s_and_saveexec_b64 s[2:3], vcc
; %bb.180:
	s_mov_b32 s0, 0x3fffff
	v_lshrrev_b32_e32 v6, 23, v2
	v_and_b32_e32 v7, 0x400000, v2
	v_and_or_b32 v2, v2, s0, v3
	v_cmp_ne_u32_e32 vcc, 0, v7
	v_cmp_ne_u32_e64 s[0:1], 0, v2
	s_and_b64 s[0:1], vcc, s[0:1]
	s_nop 0
	v_cndmask_b32_e64 v2, 0, 1, s[0:1]
	v_add_u32_e32 v6, v6, v2
; %bb.181:
	s_or_b64 exec, exec, s[2:3]
	s_mov_b64 s[2:3], -1
	s_mov_b64 s[0:1], 0
	global_store_byte v[4:5], v6, off
.LBB11_182:
	s_mov_b64 s[4:5], 0
.LBB11_183:
	s_and_b64 vcc, exec, s[4:5]
	s_cbranch_vccz .LBB11_186
; %bb.184:
	s_cmp_eq_u32 s9, 29
	s_mov_b64 s[0:1], -1
	s_cbranch_scc0 .LBB11_186
; %bb.185:
	v_trunc_f64_e32 v[2:3], v[0:1]
	s_movk_i32 s0, 0xffe0
	v_ldexp_f64 v[6:7], v[2:3], s0
	v_floor_f64_e32 v[6:7], v[6:7]
	v_fmac_f64_e32 v[2:3], 0xc1f00000, v[6:7]
	v_cvt_u32_f64_e32 v9, v[6:7]
	v_cvt_u32_f64_e32 v8, v[2:3]
	global_store_dwordx2 v[4:5], v[8:9], off
	s_mov_b64 s[2:3], -1
	s_mov_b64 s[0:1], 0
.LBB11_186:
	s_mov_b64 s[4:5], 0
.LBB11_187:
	s_and_b64 vcc, exec, s[4:5]
	s_cbranch_vccz .LBB11_203
; %bb.188:
	s_cmp_lt_i32 s9, 27
	s_mov_b64 s[2:3], -1
	s_cbranch_scc1 .LBB11_194
; %bb.189:
	s_cmp_gt_i32 s9, 27
	v_cvt_u32_f64_e32 v2, v[0:1]
	s_cbranch_scc0 .LBB11_191
; %bb.190:
	s_mov_b64 s[2:3], 0
	global_store_dword v[4:5], v2, off
.LBB11_191:
	s_andn2_b64 vcc, exec, s[2:3]
	s_cbranch_vccnz .LBB11_193
; %bb.192:
	global_store_short v[4:5], v2, off
.LBB11_193:
	s_mov_b64 s[2:3], 0
.LBB11_194:
	s_andn2_b64 vcc, exec, s[2:3]
	s_cbranch_vccnz .LBB11_202
; %bb.195:
	v_cvt_f32_f64_e32 v2, v[0:1]
	v_and_b32_e32 v3, 0x7fffffff, v2
	s_mov_b32 s2, 0x43800000
	v_cmp_gt_u32_e32 vcc, s2, v3
	v_mov_b32_e32 v6, 0x80
	s_and_saveexec_b64 s[2:3], vcc
	s_cbranch_execz .LBB11_201
; %bb.196:
	s_mov_b32 s4, 0x3bffffff
	v_cmp_lt_u32_e32 vcc, s4, v3
	s_mov_b64 s[4:5], 0
                                        ; implicit-def: $vgpr3
	s_and_saveexec_b64 s[6:7], vcc
	s_xor_b64 s[6:7], exec, s[6:7]
	s_cbranch_execz .LBB11_314
; %bb.197:
	v_bfe_u32 v3, v2, 20, 1
	s_mov_b32 s10, 0x487ffff
	v_add3_u32 v3, v2, v3, s10
	s_mov_b64 s[4:5], exec
	v_lshrrev_b32_e32 v3, 20, v3
	s_andn2_saveexec_b64 s[6:7], s[6:7]
	s_cbranch_execnz .LBB11_315
.LBB11_198:
	s_or_b64 exec, exec, s[6:7]
	v_mov_b32_e32 v6, 0
	s_and_saveexec_b64 s[6:7], s[4:5]
.LBB11_199:
	v_lshrrev_b32_e32 v2, 24, v2
	s_movk_i32 s4, 0x80
	v_and_or_b32 v6, v2, s4, v3
.LBB11_200:
	s_or_b64 exec, exec, s[6:7]
.LBB11_201:
	s_or_b64 exec, exec, s[2:3]
	global_store_byte v[4:5], v6, off
.LBB11_202:
	s_mov_b64 s[2:3], -1
.LBB11_203:
	s_mov_b64 s[4:5], 0
.LBB11_204:
	s_and_b64 vcc, exec, s[4:5]
	s_cbranch_vccz .LBB11_245
; %bb.205:
	s_cmp_gt_i32 s9, 22
	s_mov_b64 s[4:5], -1
	s_cbranch_scc0 .LBB11_237
; %bb.206:
	s_cmp_lt_i32 s9, 24
	s_mov_b64 s[2:3], -1
	s_cbranch_scc1 .LBB11_226
; %bb.207:
	s_cmp_gt_i32 s9, 24
	s_cbranch_scc0 .LBB11_215
; %bb.208:
	v_cvt_f32_f64_e32 v2, v[0:1]
	v_and_b32_e32 v3, 0x7fffffff, v2
	s_mov_b32 s2, 0x47800000
	v_cmp_gt_u32_e32 vcc, s2, v3
	v_mov_b32_e32 v6, 0x80
	s_and_saveexec_b64 s[2:3], vcc
	s_cbranch_execz .LBB11_214
; %bb.209:
	s_mov_b32 s4, 0x37ffffff
	v_cmp_lt_u32_e32 vcc, s4, v3
	s_mov_b64 s[4:5], 0
                                        ; implicit-def: $vgpr3
	s_and_saveexec_b64 s[6:7], vcc
	s_xor_b64 s[6:7], exec, s[6:7]
	s_cbranch_execz .LBB11_317
; %bb.210:
	v_bfe_u32 v3, v2, 21, 1
	s_mov_b32 s10, 0x88fffff
	v_add3_u32 v3, v2, v3, s10
	s_mov_b64 s[4:5], exec
	v_lshrrev_b32_e32 v3, 21, v3
	s_andn2_saveexec_b64 s[6:7], s[6:7]
	s_cbranch_execnz .LBB11_318
.LBB11_211:
	s_or_b64 exec, exec, s[6:7]
	v_mov_b32_e32 v6, 0
	s_and_saveexec_b64 s[6:7], s[4:5]
.LBB11_212:
	v_lshrrev_b32_e32 v2, 24, v2
	s_movk_i32 s4, 0x80
	v_and_or_b32 v6, v2, s4, v3
.LBB11_213:
	s_or_b64 exec, exec, s[6:7]
.LBB11_214:
	s_or_b64 exec, exec, s[2:3]
	s_mov_b64 s[2:3], 0
	global_store_byte v[4:5], v6, off
.LBB11_215:
	s_and_b64 vcc, exec, s[2:3]
	s_cbranch_vccz .LBB11_225
; %bb.216:
	v_cvt_f32_f64_e32 v2, v[0:1]
	v_and_b32_e32 v6, 0x7fffffff, v2
	s_mov_b32 s2, 0x43f00000
	v_cmp_gt_u32_e32 vcc, s2, v6
                                        ; implicit-def: $vgpr3
	s_and_saveexec_b64 s[2:3], vcc
	s_xor_b64 s[2:3], exec, s[2:3]
	s_cbranch_execz .LBB11_222
; %bb.217:
	s_mov_b32 s4, 0x3c7fffff
	v_cmp_lt_u32_e32 vcc, s4, v6
                                        ; implicit-def: $vgpr3
	s_and_saveexec_b64 s[4:5], vcc
	s_xor_b64 s[4:5], exec, s[4:5]
; %bb.218:
	v_bfe_u32 v3, v2, 20, 1
	s_mov_b32 s6, 0x407ffff
	v_add3_u32 v3, v2, v3, s6
	v_lshrrev_b32_e32 v6, 20, v3
	v_and_b32_e32 v3, 0xff00000, v3
	s_mov_b32 s6, 0x7f00000
	v_mov_b32_e32 v7, 0x7e
	v_cmp_ne_u32_e32 vcc, s6, v3
	s_nop 1
	v_cndmask_b32_e32 v3, v7, v6, vcc
; %bb.219:
	s_andn2_saveexec_b64 s[4:5], s[4:5]
; %bb.220:
	s_mov_b32 s6, 0x46800000
	v_add_f32_e64 v3, |v2|, s6
; %bb.221:
	s_or_b64 exec, exec, s[4:5]
                                        ; implicit-def: $vgpr6
.LBB11_222:
	s_andn2_saveexec_b64 s[2:3], s[2:3]
; %bb.223:
	s_mov_b32 s4, 0x7f800000
	v_mov_b32_e32 v3, 0x7e
	v_mov_b32_e32 v7, 0x7f
	v_cmp_lt_u32_e32 vcc, s4, v6
	s_nop 1
	v_cndmask_b32_e32 v3, v3, v7, vcc
; %bb.224:
	s_or_b64 exec, exec, s[2:3]
	v_lshrrev_b32_e32 v2, 24, v2
	s_movk_i32 s2, 0x80
	v_and_or_b32 v2, v2, s2, v3
	global_store_byte v[4:5], v2, off
.LBB11_225:
	s_mov_b64 s[2:3], 0
.LBB11_226:
	s_andn2_b64 vcc, exec, s[2:3]
	s_cbranch_vccnz .LBB11_236
; %bb.227:
	v_cvt_f32_f64_e32 v2, v[0:1]
	v_and_b32_e32 v6, 0x7fffffff, v2
	s_mov_b32 s2, 0x47800000
	v_cmp_gt_u32_e32 vcc, s2, v6
                                        ; implicit-def: $vgpr3
	s_and_saveexec_b64 s[2:3], vcc
	s_xor_b64 s[2:3], exec, s[2:3]
	s_cbranch_execz .LBB11_233
; %bb.228:
	s_mov_b32 s4, 0x387fffff
	v_cmp_lt_u32_e32 vcc, s4, v6
                                        ; implicit-def: $vgpr3
	s_and_saveexec_b64 s[4:5], vcc
	s_xor_b64 s[4:5], exec, s[4:5]
; %bb.229:
	v_bfe_u32 v3, v2, 21, 1
	s_mov_b32 s6, 0x80fffff
	v_add3_u32 v3, v2, v3, s6
	v_lshrrev_b32_e32 v3, 21, v3
; %bb.230:
	s_andn2_saveexec_b64 s[4:5], s[4:5]
; %bb.231:
	s_mov_b32 s6, 0x43000000
	v_add_f32_e64 v3, |v2|, s6
; %bb.232:
	s_or_b64 exec, exec, s[4:5]
                                        ; implicit-def: $vgpr6
.LBB11_233:
	s_andn2_saveexec_b64 s[2:3], s[2:3]
; %bb.234:
	s_mov_b32 s4, 0x7f800000
	v_mov_b32_e32 v3, 0x7c
	v_mov_b32_e32 v7, 0x7f
	v_cmp_lt_u32_e32 vcc, s4, v6
	s_nop 1
	v_cndmask_b32_e32 v3, v3, v7, vcc
; %bb.235:
	s_or_b64 exec, exec, s[2:3]
	v_lshrrev_b32_e32 v2, 24, v2
	s_movk_i32 s2, 0x80
	v_and_or_b32 v2, v2, s2, v3
	global_store_byte v[4:5], v2, off
.LBB11_236:
	s_mov_b64 s[4:5], 0
	s_mov_b64 s[2:3], -1
.LBB11_237:
	s_andn2_b64 vcc, exec, s[4:5]
	s_cbranch_vccnz .LBB11_245
; %bb.238:
	s_cmp_gt_i32 s9, 14
	s_mov_b64 s[4:5], -1
	s_cbranch_scc0 .LBB11_242
; %bb.239:
	s_cmp_eq_u32 s9, 15
	s_mov_b64 s[0:1], -1
	s_cbranch_scc0 .LBB11_241
; %bb.240:
	v_cvt_f32_f64_e32 v2, v[0:1]
	v_bfe_u32 v3, v2, 16, 1
	s_movk_i32 s0, 0x7fff
	v_add3_u32 v3, v2, v3, s0
	v_cmp_o_f32_e32 vcc, v2, v2
	v_mov_b32_e32 v2, 0x7fc0
	s_mov_b64 s[2:3], -1
	v_cndmask_b32_sdwa v2, v2, v3, vcc dst_sel:DWORD dst_unused:UNUSED_PAD src0_sel:DWORD src1_sel:WORD_1
	global_store_short v[4:5], v2, off
	s_mov_b64 s[0:1], 0
.LBB11_241:
	s_mov_b64 s[4:5], 0
.LBB11_242:
	s_and_b64 vcc, exec, s[4:5]
	s_cbranch_vccz .LBB11_245
; %bb.243:
	s_cmp_eq_u32 s9, 11
	s_mov_b64 s[0:1], -1
	s_cbranch_scc0 .LBB11_245
; %bb.244:
	v_cmp_neq_f64_e32 vcc, 0, v[0:1]
	s_mov_b64 s[0:1], 0
	s_mov_b64 s[2:3], -1
	v_cndmask_b32_e64 v2, 0, 1, vcc
	global_store_byte v[4:5], v2, off
.LBB11_245:
	s_branch .LBB11_167
.LBB11_246:
	s_and_b32 s4, 0xffff, s8
	s_cmp_lt_i32 s4, 5
	s_mov_b64 s[2:3], -1
	s_cbranch_scc1 .LBB11_267
; %bb.247:
	s_cmp_lt_i32 s4, 8
	s_cbranch_scc1 .LBB11_257
; %bb.248:
	s_cmp_lt_i32 s4, 9
	s_cbranch_scc1 .LBB11_254
; %bb.249:
	s_cmp_gt_i32 s4, 9
	s_cbranch_scc0 .LBB11_251
; %bb.250:
	v_mov_b32_e32 v2, 0
	v_mov_b32_e32 v3, v2
	s_mov_b64 s[2:3], 0
	global_store_dwordx4 v[4:5], v[0:3], off
.LBB11_251:
	s_andn2_b64 vcc, exec, s[2:3]
	s_cbranch_vccnz .LBB11_253
; %bb.252:
	v_cvt_f32_f64_e32 v2, v[0:1]
	v_mov_b32_e32 v3, 0
	global_store_dwordx2 v[4:5], v[2:3], off
.LBB11_253:
	s_mov_b64 s[2:3], 0
.LBB11_254:
	s_andn2_b64 vcc, exec, s[2:3]
	s_cbranch_vccnz .LBB11_256
; %bb.255:
	s_movk_i32 s2, 0x1ff
	v_and_or_b32 v2, v1, s2, v0
	v_cmp_ne_u32_e32 vcc, 0, v2
	v_lshrrev_b32_e32 v3, 8, v1
	s_movk_i32 s2, 0xffe
	v_cndmask_b32_e64 v2, 0, 1, vcc
	v_bfe_u32 v6, v1, 20, 11
	v_and_or_b32 v2, v3, s2, v2
	v_sub_u32_e32 v7, 0x3f1, v6
	v_or_b32_e32 v3, 0x1000, v2
	v_med3_i32 v7, v7, 0, 13
	v_lshrrev_b32_e32 v8, v7, v3
	v_lshlrev_b32_e32 v7, v7, v8
	v_cmp_ne_u32_e32 vcc, v7, v3
	v_add_u32_e32 v6, 0xfffffc10, v6
	v_lshl_or_b32 v7, v6, 12, v2
	v_cndmask_b32_e64 v3, 0, 1, vcc
	v_or_b32_e32 v3, v8, v3
	v_cmp_gt_i32_e32 vcc, 1, v6
	s_movk_i32 s2, 0x40f
	s_nop 0
	v_cndmask_b32_e32 v3, v7, v3, vcc
	v_and_b32_e32 v7, 7, v3
	v_cmp_lt_i32_e32 vcc, 5, v7
	v_lshrrev_b32_e32 v3, 2, v3
	s_nop 0
	v_cndmask_b32_e64 v8, 0, 1, vcc
	v_cmp_eq_u32_e32 vcc, 3, v7
	s_nop 1
	v_cndmask_b32_e64 v7, 0, 1, vcc
	v_or_b32_e32 v7, v7, v8
	v_add_u32_e32 v3, v3, v7
	v_mov_b32_e32 v7, 0x7c00
	v_cmp_gt_i32_e32 vcc, 31, v6
	v_mov_b32_e32 v8, 0x7e00
	s_nop 0
	v_cndmask_b32_e32 v3, v7, v3, vcc
	v_cmp_ne_u32_e32 vcc, 0, v2
	s_nop 1
	v_cndmask_b32_e32 v2, v7, v8, vcc
	v_cmp_eq_u32_e32 vcc, s2, v6
	s_mov_b32 s2, 0x8000
	s_nop 0
	v_cndmask_b32_e32 v2, v3, v2, vcc
	v_and_b32_sdwa v3, v1, s2 dst_sel:DWORD dst_unused:UNUSED_PAD src0_sel:WORD_1 src1_sel:DWORD
	s_mov_b32 s2, 0xffff
	v_bitop3_b32 v2, v3, s2, v2 bitop3:0xc8
	global_store_dword v[4:5], v2, off
.LBB11_256:
	s_mov_b64 s[2:3], 0
.LBB11_257:
	s_andn2_b64 vcc, exec, s[2:3]
	s_cbranch_vccnz .LBB11_266
; %bb.258:
	s_cmp_lt_i32 s4, 6
	s_mov_b64 s[2:3], -1
	s_cbranch_scc1 .LBB11_264
; %bb.259:
	s_cmp_gt_i32 s4, 6
	s_cbranch_scc0 .LBB11_261
; %bb.260:
	s_mov_b64 s[2:3], 0
	global_store_dwordx2 v[4:5], v[0:1], off
.LBB11_261:
	s_andn2_b64 vcc, exec, s[2:3]
	s_cbranch_vccnz .LBB11_263
; %bb.262:
	v_cvt_f32_f64_e32 v2, v[0:1]
	global_store_dword v[4:5], v2, off
.LBB11_263:
	s_mov_b64 s[2:3], 0
.LBB11_264:
	s_andn2_b64 vcc, exec, s[2:3]
	s_cbranch_vccnz .LBB11_266
; %bb.265:
	s_movk_i32 s2, 0x1ff
	v_and_or_b32 v2, v1, s2, v0
	v_cmp_ne_u32_e32 vcc, 0, v2
	v_lshrrev_b32_e32 v3, 8, v1
	s_movk_i32 s2, 0xffe
	v_cndmask_b32_e64 v2, 0, 1, vcc
	v_bfe_u32 v6, v1, 20, 11
	v_and_or_b32 v2, v3, s2, v2
	v_sub_u32_e32 v7, 0x3f1, v6
	v_or_b32_e32 v3, 0x1000, v2
	v_med3_i32 v7, v7, 0, 13
	v_lshrrev_b32_e32 v8, v7, v3
	v_lshlrev_b32_e32 v7, v7, v8
	v_cmp_ne_u32_e32 vcc, v7, v3
	v_add_u32_e32 v6, 0xfffffc10, v6
	v_lshl_or_b32 v7, v6, 12, v2
	v_cndmask_b32_e64 v3, 0, 1, vcc
	v_or_b32_e32 v3, v8, v3
	v_cmp_gt_i32_e32 vcc, 1, v6
	s_movk_i32 s2, 0x40f
	s_nop 0
	v_cndmask_b32_e32 v3, v7, v3, vcc
	v_and_b32_e32 v7, 7, v3
	v_cmp_lt_i32_e32 vcc, 5, v7
	v_lshrrev_b32_e32 v3, 2, v3
	s_nop 0
	v_cndmask_b32_e64 v8, 0, 1, vcc
	v_cmp_eq_u32_e32 vcc, 3, v7
	s_nop 1
	v_cndmask_b32_e64 v7, 0, 1, vcc
	v_or_b32_e32 v7, v7, v8
	v_add_u32_e32 v3, v3, v7
	v_mov_b32_e32 v7, 0x7c00
	v_cmp_gt_i32_e32 vcc, 31, v6
	v_mov_b32_e32 v8, 0x7e00
	s_nop 0
	v_cndmask_b32_e32 v3, v7, v3, vcc
	v_cmp_ne_u32_e32 vcc, 0, v2
	s_nop 1
	v_cndmask_b32_e32 v2, v7, v8, vcc
	v_cmp_eq_u32_e32 vcc, s2, v6
	s_mov_b32 s2, 0x8000
	s_nop 0
	v_cndmask_b32_e32 v2, v3, v2, vcc
	v_lshrrev_b32_e32 v3, 16, v1
	v_and_or_b32 v2, v3, s2, v2
	global_store_short v[4:5], v2, off
.LBB11_266:
	s_mov_b64 s[2:3], 0
.LBB11_267:
	s_andn2_b64 vcc, exec, s[2:3]
	s_cbranch_vccnz .LBB11_283
; %bb.268:
	s_cmp_lt_i32 s4, 2
	s_mov_b64 s[2:3], -1
	s_cbranch_scc1 .LBB11_278
; %bb.269:
	s_cmp_lt_i32 s4, 3
	s_cbranch_scc1 .LBB11_275
; %bb.270:
	s_cmp_gt_i32 s4, 3
	s_cbranch_scc0 .LBB11_272
; %bb.271:
	v_trunc_f64_e32 v[2:3], v[0:1]
	s_movk_i32 s2, 0xffe0
	v_ldexp_f64 v[6:7], v[2:3], s2
	v_floor_f64_e32 v[6:7], v[6:7]
	v_fmac_f64_e32 v[2:3], 0xc1f00000, v[6:7]
	v_cvt_i32_f64_e32 v9, v[6:7]
	v_cvt_u32_f64_e32 v8, v[2:3]
	s_mov_b64 s[2:3], 0
	global_store_dwordx2 v[4:5], v[8:9], off
.LBB11_272:
	s_andn2_b64 vcc, exec, s[2:3]
	s_cbranch_vccnz .LBB11_274
; %bb.273:
	v_cvt_i32_f64_e32 v2, v[0:1]
	global_store_dword v[4:5], v2, off
.LBB11_274:
	s_mov_b64 s[2:3], 0
.LBB11_275:
	s_andn2_b64 vcc, exec, s[2:3]
	s_cbranch_vccnz .LBB11_277
; %bb.276:
	v_cvt_i32_f64_e32 v2, v[0:1]
	global_store_short v[4:5], v2, off
.LBB11_277:
	s_mov_b64 s[2:3], 0
.LBB11_278:
	s_andn2_b64 vcc, exec, s[2:3]
	s_cbranch_vccnz .LBB11_283
; %bb.279:
	s_cmp_gt_i32 s4, 0
	s_mov_b64 s[2:3], -1
	s_cbranch_scc0 .LBB11_281
; %bb.280:
	v_cvt_i32_f64_e32 v2, v[0:1]
	s_mov_b64 s[2:3], 0
	global_store_byte v[4:5], v2, off
.LBB11_281:
	s_andn2_b64 vcc, exec, s[2:3]
	s_cbranch_vccnz .LBB11_283
; %bb.282:
	v_trunc_f64_e32 v[0:1], v[0:1]
	s_movk_i32 s2, 0xffe0
	v_ldexp_f64 v[2:3], v[0:1], s2
	v_floor_f64_e32 v[2:3], v[2:3]
	v_fmac_f64_e32 v[0:1], 0xc1f00000, v[2:3]
	v_cvt_u32_f64_e32 v0, v[0:1]
	global_store_byte v[4:5], v0, off
.LBB11_283:
	s_branch .LBB11_168
.LBB11_284:
	s_mov_b64 s[2:3], 0
                                        ; implicit-def: $vgpr40
.LBB11_285:
	s_andn2_b64 s[4:5], s[70:71], exec
	s_and_b64 s[0:1], s[0:1], exec
	s_or_b64 s[74:75], s[4:5], s[0:1]
	s_orn2_b64 s[4:5], s[2:3], exec
.LBB11_286:
	s_or_b64 exec, exec, s[76:77]
	s_mov_b64 s[0:1], 0
	s_mov_b64 s[2:3], 0
                                        ; implicit-def: $sgpr10
                                        ; implicit-def: $vgpr4_vgpr5
                                        ; implicit-def: $vgpr0_vgpr1
	s_and_saveexec_b64 s[76:77], s[4:5]
	s_cbranch_execz .LBB11_529
; %bb.287:
	v_cmp_gt_i32_e32 vcc, s82, v40
	s_mov_b64 s[2:3], -1
	s_mov_b64 s[80:81], s[74:75]
	s_and_saveexec_b64 s[78:79], vcc
	s_cbranch_execz .LBB11_432
; %bb.288:
	s_andn2_b64 vcc, exec, s[58:59]
	s_cbranch_vccnz .LBB11_294
; %bb.289:
	s_andn2_b64 vcc, exec, s[68:69]
	s_cbranch_vccnz .LBB11_295
; %bb.290:
	s_add_i32 s25, s86, 1
	s_cmp_eq_u32 s84, 2
	s_cbranch_scc1 .LBB11_296
; %bb.291:
	s_and_b32 s24, s25, 28
	s_mov_b32 s26, 0
	v_mov_b32_e32 v38, 0
	v_mov_b32_e32 v2, 0
	s_mov_b64 s[20:21], s[46:47]
	s_mov_b64 s[22:23], s[66:67]
	v_mov_b32_e32 v0, v40
.LBB11_292:                             ; =>This Inner Loop Header: Depth=1
	s_load_dwordx8 s[8:15], s[20:21], 0x4
	s_load_dwordx4 s[16:19], s[20:21], 0x24
	s_load_dwordx8 s[0:7], s[22:23], 0x0
	s_add_u32 s20, s20, 48
	s_addc_u32 s21, s21, 0
	s_waitcnt lgkmcnt(0)
	v_mul_hi_u32 v1, s9, v0
	v_add_u32_e32 v1, v0, v1
	v_lshrrev_b32_e32 v1, s10, v1
	v_mul_lo_u32 v3, v1, s8
	v_mul_hi_u32 v4, s12, v1
	v_sub_u32_e32 v0, v0, v3
	v_add_u32_e32 v3, v1, v4
	v_lshrrev_b32_e32 v3, s13, v3
	v_mul_lo_u32 v5, v3, s11
	v_mul_hi_u32 v6, s15, v3
	v_sub_u32_e32 v1, v1, v5
	v_add_u32_e32 v5, v3, v6
	v_mul_lo_u32 v4, v0, s1
	v_mul_lo_u32 v0, v0, s0
	;; [unrolled: 1-line block ×4, first 2 shown]
	v_lshrrev_b32_e32 v5, s16, v5
	v_add3_u32 v1, v0, v38, v1
	v_add3_u32 v2, v4, v2, v6
	v_mul_lo_u32 v0, v5, s14
	v_mul_hi_u32 v4, s18, v5
	v_sub_u32_e32 v0, v3, v0
	v_add_u32_e32 v3, v5, v4
	v_mul_lo_u32 v4, v0, s4
	v_mul_lo_u32 v6, v0, s5
	v_lshrrev_b32_e32 v0, s19, v3
	s_add_i32 s26, s26, 4
	v_mul_lo_u32 v3, v0, s17
	s_add_u32 s22, s22, 32
	v_sub_u32_e32 v3, v5, v3
	s_addc_u32 s23, s23, 0
	v_mul_lo_u32 v5, v3, s6
	v_mul_lo_u32 v3, v3, s7
	s_cmp_eq_u32 s24, s26
	v_add3_u32 v2, v6, v2, v3
	v_add3_u32 v38, v4, v1, v5
	s_cbranch_scc0 .LBB11_292
; %bb.293:
	v_mov_b32_e32 v1, v2
	s_branch .LBB11_297
.LBB11_294:
	s_mov_b64 s[0:1], -1
                                        ; implicit-def: $vgpr2
                                        ; implicit-def: $vgpr38
	s_branch .LBB11_301
.LBB11_295:
	v_mov_b32_e32 v2, 0
	v_mov_b32_e32 v38, 0
	s_branch .LBB11_300
.LBB11_296:
	v_mov_b32_e32 v38, 0
	s_mov_b32 s24, 0
	v_mov_b32_e32 v1, v38
                                        ; implicit-def: $vgpr2
	v_mov_b32_e32 v0, v40
.LBB11_297:
	s_and_b32 s4, s25, 3
	s_cmp_eq_u32 s4, 0
	s_cbranch_scc1 .LBB11_300
; %bb.298:
	s_lshl_b32 s0, s24, 3
	s_add_u32 s0, s46, s0
	s_addc_u32 s1, s47, 0
	s_add_u32 s0, s0, 0xc4
	s_addc_u32 s1, s1, 0
	s_mul_i32 s2, s24, 12
	s_add_u32 s2, s46, s2
	s_addc_u32 s3, s47, 0
.LBB11_299:                             ; =>This Inner Loop Header: Depth=1
	s_load_dwordx2 s[6:7], s[2:3], 0x4
	s_load_dword s5, s[2:3], 0xc
	s_load_dwordx2 s[8:9], s[0:1], 0x0
	v_mov_b32_e32 v2, v1
	s_add_u32 s2, s2, 12
	s_waitcnt lgkmcnt(0)
	v_mul_hi_u32 v1, s7, v0
	v_add_u32_e32 v1, v0, v1
	v_lshrrev_b32_e32 v1, s5, v1
	s_addc_u32 s3, s3, 0
	v_mul_lo_u32 v3, v1, s6
	s_add_u32 s0, s0, 8
	v_sub_u32_e32 v4, v0, v3
	s_addc_u32 s1, s1, 0
	s_add_i32 s4, s4, -1
	v_mad_u64_u32 v[2:3], s[6:7], v4, s9, v[2:3]
	s_cmp_lg_u32 s4, 0
	v_mov_b32_e32 v0, v1
	v_mad_u64_u32 v[38:39], s[6:7], v4, s8, v[38:39]
	v_mov_b32_e32 v1, v2
	s_cbranch_scc1 .LBB11_299
.LBB11_300:
	s_mov_b64 s[0:1], 0
.LBB11_301:
	s_andn2_b64 vcc, exec, s[0:1]
	s_cbranch_vccnz .LBB11_304
; %bb.302:
	s_waitcnt lgkmcnt(0)
	v_mul_hi_u32 v0, s53, v40
	v_add_u32_e32 v0, v40, v0
	v_lshrrev_b32_e32 v0, s54, v0
	v_mul_lo_u32 v1, v0, s52
	v_sub_u32_e32 v1, v40, v1
	v_mul_lo_u32 v2, v1, s49
	s_andn2_b64 vcc, exec, s[64:65]
	v_mul_lo_u32 v38, v1, s48
	s_cbranch_vccnz .LBB11_304
; %bb.303:
	v_mul_hi_u32 v1, s62, v0
	v_add_u32_e32 v1, v0, v1
	v_lshrrev_b32_e32 v1, s63, v1
	v_mul_lo_u32 v1, v1, s55
	v_sub_u32_e32 v0, v0, v1
	v_mad_u64_u32 v[38:39], s[0:1], v0, s50, v[38:39]
	v_mad_u64_u32 v[2:3], s[0:1], v0, s51, v[2:3]
.LBB11_304:
	s_getpc_b64 s[0:1]
	s_add_u32 s0, s0, _ZN2at6native6invokeIZZZNS0_12_GLOBAL__N_119airy_ai_kernel_cudaERNS_18TensorIteratorBaseEENKUlvE_clEvENKUlvE_clEvEUldE_j15function_traitsIS7_EEENT1_11result_typeERKT_PrKPcPKT0_PKN3c1010ScalarTypeEi@rel32@lo+4
	s_addc_u32 s1, s1, _ZN2at6native6invokeIZZZNS0_12_GLOBAL__N_119airy_ai_kernel_cudaERNS_18TensorIteratorBaseEENKUlvE_clEvENKUlvE_clEvEUldE_j15function_traitsIS7_EEENT1_11result_typeERKT_PrKPcPKT0_PKN3c1010ScalarTypeEi@rel32@hi+12
	s_waitcnt lgkmcnt(0)
	v_mov_b32_e32 v0, s38
	v_mov_b32_e32 v1, s39
	;; [unrolled: 1-line block ×3, first 2 shown]
	s_swappc_b64 s[30:31], s[0:1]
	v_mov_b32_e32 v39, 0
	s_and_b32 s8, s85, 0xff
	s_cmp_lt_i32 s8, 11
	v_lshl_add_u64 v[4:5], s[36:37], 0, v[38:39]
	s_cbranch_scc1 .LBB11_311
; %bb.305:
	s_and_b32 s9, 0xffff, s8
	s_cmp_gt_i32 s9, 25
	s_cbranch_scc0 .LBB11_312
; %bb.306:
	s_cmp_gt_i32 s9, 28
	s_cbranch_scc0 .LBB11_313
; %bb.307:
	;; [unrolled: 3-line block ×4, first 2 shown]
	s_mov_b64 s[4:5], 0
	s_mov_b64 s[0:1], -1
	s_cmp_eq_u32 s9, 46
	s_mov_b64 s[2:3], 0
	s_cbranch_scc0 .LBB11_320
; %bb.310:
	v_cvt_f32_f64_e32 v2, v[0:1]
	v_bfe_u32 v3, v2, 16, 1
	s_movk_i32 s0, 0x7fff
	v_add3_u32 v3, v2, v3, s0
	v_cmp_o_f32_e32 vcc, v2, v2
	v_mov_b32_e32 v2, 0x7fc0
	s_mov_b64 s[2:3], -1
	v_cndmask_b32_sdwa v2, v2, v3, vcc dst_sel:DWORD dst_unused:UNUSED_PAD src0_sel:DWORD src1_sel:WORD_1
	global_store_dword v[4:5], v2, off
	s_mov_b64 s[0:1], 0
	s_branch .LBB11_320
.LBB11_311:
	s_mov_b64 s[4:5], -1
	s_mov_b64 s[2:3], 0
	s_mov_b64 s[0:1], s[74:75]
	s_branch .LBB11_389
.LBB11_312:
	s_mov_b64 s[4:5], -1
	s_mov_b64 s[2:3], 0
	s_mov_b64 s[0:1], s[74:75]
	s_branch .LBB11_347
.LBB11_313:
	s_mov_b64 s[4:5], -1
	s_mov_b64 s[2:3], 0
	s_mov_b64 s[0:1], s[74:75]
	s_branch .LBB11_330
.LBB11_314:
	s_andn2_saveexec_b64 s[6:7], s[6:7]
	s_cbranch_execz .LBB11_198
.LBB11_315:
	s_mov_b32 s10, 0x46000000
	v_add_f32_e64 v3, |v2|, s10
	v_and_b32_e32 v3, 0xff, v3
	v_cmp_ne_u32_e32 vcc, 0, v3
	s_andn2_b64 s[4:5], s[4:5], exec
	s_and_b64 s[10:11], vcc, exec
	s_or_b64 s[4:5], s[4:5], s[10:11]
	s_or_b64 exec, exec, s[6:7]
	v_mov_b32_e32 v6, 0
	s_and_saveexec_b64 s[6:7], s[4:5]
	s_cbranch_execnz .LBB11_199
	s_branch .LBB11_200
.LBB11_316:
	s_mov_b64 s[4:5], -1
	s_mov_b64 s[2:3], 0
	s_mov_b64 s[0:1], s[74:75]
	s_branch .LBB11_326
.LBB11_317:
	s_andn2_saveexec_b64 s[6:7], s[6:7]
	s_cbranch_execz .LBB11_211
.LBB11_318:
	s_mov_b32 s10, 0x42800000
	v_add_f32_e64 v3, |v2|, s10
	v_and_b32_e32 v3, 0xff, v3
	v_cmp_ne_u32_e32 vcc, 0, v3
	s_andn2_b64 s[4:5], s[4:5], exec
	s_and_b64 s[10:11], vcc, exec
	s_or_b64 s[4:5], s[4:5], s[10:11]
	s_or_b64 exec, exec, s[6:7]
	v_mov_b32_e32 v6, 0
	s_and_saveexec_b64 s[6:7], s[4:5]
	s_cbranch_execnz .LBB11_212
	s_branch .LBB11_213
.LBB11_319:
	s_mov_b64 s[4:5], -1
	s_mov_b64 s[2:3], 0
	s_mov_b64 s[0:1], s[74:75]
.LBB11_320:
	s_and_b64 vcc, exec, s[4:5]
	s_cbranch_vccz .LBB11_325
; %bb.321:
	s_cmp_eq_u32 s9, 44
	s_mov_b64 s[0:1], -1
	s_cbranch_scc0 .LBB11_325
; %bb.322:
	v_cvt_f32_f64_e32 v2, v[0:1]
	v_bfe_u32 v3, v2, 23, 8
	s_movk_i32 s0, 0xff
	v_cmp_ne_u32_e32 vcc, s0, v3
	v_mov_b32_e32 v6, 0xff
	s_and_saveexec_b64 s[2:3], vcc
; %bb.323:
	s_mov_b32 s0, 0x3fffff
	v_lshrrev_b32_e32 v6, 23, v2
	v_and_b32_e32 v7, 0x400000, v2
	v_and_or_b32 v2, v2, s0, v3
	v_cmp_ne_u32_e32 vcc, 0, v7
	v_cmp_ne_u32_e64 s[0:1], 0, v2
	s_and_b64 s[0:1], vcc, s[0:1]
	s_nop 0
	v_cndmask_b32_e64 v2, 0, 1, s[0:1]
	v_add_u32_e32 v6, v6, v2
; %bb.324:
	s_or_b64 exec, exec, s[2:3]
	s_mov_b64 s[2:3], -1
	s_mov_b64 s[0:1], 0
	global_store_byte v[4:5], v6, off
.LBB11_325:
	s_mov_b64 s[4:5], 0
.LBB11_326:
	s_and_b64 vcc, exec, s[4:5]
	s_cbranch_vccz .LBB11_329
; %bb.327:
	s_cmp_eq_u32 s9, 29
	s_mov_b64 s[0:1], -1
	s_cbranch_scc0 .LBB11_329
; %bb.328:
	v_trunc_f64_e32 v[2:3], v[0:1]
	s_movk_i32 s0, 0xffe0
	v_ldexp_f64 v[6:7], v[2:3], s0
	v_floor_f64_e32 v[6:7], v[6:7]
	v_fmac_f64_e32 v[2:3], 0xc1f00000, v[6:7]
	v_cvt_u32_f64_e32 v9, v[6:7]
	v_cvt_u32_f64_e32 v8, v[2:3]
	global_store_dwordx2 v[4:5], v[8:9], off
	s_mov_b64 s[2:3], -1
	s_mov_b64 s[0:1], 0
.LBB11_329:
	s_mov_b64 s[4:5], 0
.LBB11_330:
	s_and_b64 vcc, exec, s[4:5]
	s_cbranch_vccz .LBB11_346
; %bb.331:
	s_cmp_lt_i32 s9, 27
	s_mov_b64 s[2:3], -1
	s_cbranch_scc1 .LBB11_337
; %bb.332:
	s_cmp_gt_i32 s9, 27
	v_cvt_u32_f64_e32 v2, v[0:1]
	s_cbranch_scc0 .LBB11_334
; %bb.333:
	s_mov_b64 s[2:3], 0
	global_store_dword v[4:5], v2, off
.LBB11_334:
	s_andn2_b64 vcc, exec, s[2:3]
	s_cbranch_vccnz .LBB11_336
; %bb.335:
	global_store_short v[4:5], v2, off
.LBB11_336:
	s_mov_b64 s[2:3], 0
.LBB11_337:
	s_andn2_b64 vcc, exec, s[2:3]
	s_cbranch_vccnz .LBB11_345
; %bb.338:
	v_cvt_f32_f64_e32 v2, v[0:1]
	v_and_b32_e32 v3, 0x7fffffff, v2
	s_mov_b32 s2, 0x43800000
	v_cmp_gt_u32_e32 vcc, s2, v3
	v_mov_b32_e32 v6, 0x80
	s_and_saveexec_b64 s[2:3], vcc
	s_cbranch_execz .LBB11_344
; %bb.339:
	s_mov_b32 s4, 0x3bffffff
	v_cmp_lt_u32_e32 vcc, s4, v3
	s_mov_b64 s[4:5], 0
                                        ; implicit-def: $vgpr3
	s_and_saveexec_b64 s[6:7], vcc
	s_xor_b64 s[6:7], exec, s[6:7]
	s_cbranch_execz .LBB11_1116
; %bb.340:
	v_bfe_u32 v3, v2, 20, 1
	s_mov_b32 s10, 0x487ffff
	v_add3_u32 v3, v2, v3, s10
	s_mov_b64 s[4:5], exec
	v_lshrrev_b32_e32 v3, 20, v3
	s_andn2_saveexec_b64 s[6:7], s[6:7]
	s_cbranch_execnz .LBB11_1117
.LBB11_341:
	s_or_b64 exec, exec, s[6:7]
	v_mov_b32_e32 v6, 0
	s_and_saveexec_b64 s[6:7], s[4:5]
.LBB11_342:
	v_lshrrev_b32_e32 v2, 24, v2
	s_movk_i32 s4, 0x80
	v_and_or_b32 v6, v2, s4, v3
.LBB11_343:
	s_or_b64 exec, exec, s[6:7]
.LBB11_344:
	s_or_b64 exec, exec, s[2:3]
	global_store_byte v[4:5], v6, off
.LBB11_345:
	s_mov_b64 s[2:3], -1
.LBB11_346:
	s_mov_b64 s[4:5], 0
.LBB11_347:
	s_and_b64 vcc, exec, s[4:5]
	s_cbranch_vccz .LBB11_388
; %bb.348:
	s_cmp_gt_i32 s9, 22
	s_mov_b64 s[4:5], -1
	s_cbranch_scc0 .LBB11_380
; %bb.349:
	s_cmp_lt_i32 s9, 24
	s_mov_b64 s[2:3], -1
	s_cbranch_scc1 .LBB11_369
; %bb.350:
	s_cmp_gt_i32 s9, 24
	s_cbranch_scc0 .LBB11_358
; %bb.351:
	v_cvt_f32_f64_e32 v2, v[0:1]
	v_and_b32_e32 v3, 0x7fffffff, v2
	s_mov_b32 s2, 0x47800000
	v_cmp_gt_u32_e32 vcc, s2, v3
	v_mov_b32_e32 v6, 0x80
	s_and_saveexec_b64 s[2:3], vcc
	s_cbranch_execz .LBB11_357
; %bb.352:
	s_mov_b32 s4, 0x37ffffff
	v_cmp_lt_u32_e32 vcc, s4, v3
	s_mov_b64 s[4:5], 0
                                        ; implicit-def: $vgpr3
	s_and_saveexec_b64 s[6:7], vcc
	s_xor_b64 s[6:7], exec, s[6:7]
	s_cbranch_execz .LBB11_1123
; %bb.353:
	v_bfe_u32 v3, v2, 21, 1
	s_mov_b32 s10, 0x88fffff
	v_add3_u32 v3, v2, v3, s10
	s_mov_b64 s[4:5], exec
	v_lshrrev_b32_e32 v3, 21, v3
	s_andn2_saveexec_b64 s[6:7], s[6:7]
	s_cbranch_execnz .LBB11_1124
.LBB11_354:
	s_or_b64 exec, exec, s[6:7]
	v_mov_b32_e32 v6, 0
	s_and_saveexec_b64 s[6:7], s[4:5]
.LBB11_355:
	v_lshrrev_b32_e32 v2, 24, v2
	s_movk_i32 s4, 0x80
	v_and_or_b32 v6, v2, s4, v3
.LBB11_356:
	s_or_b64 exec, exec, s[6:7]
.LBB11_357:
	s_or_b64 exec, exec, s[2:3]
	s_mov_b64 s[2:3], 0
	global_store_byte v[4:5], v6, off
.LBB11_358:
	s_and_b64 vcc, exec, s[2:3]
	s_cbranch_vccz .LBB11_368
; %bb.359:
	v_cvt_f32_f64_e32 v2, v[0:1]
	v_and_b32_e32 v6, 0x7fffffff, v2
	s_mov_b32 s2, 0x43f00000
	v_cmp_gt_u32_e32 vcc, s2, v6
                                        ; implicit-def: $vgpr3
	s_and_saveexec_b64 s[2:3], vcc
	s_xor_b64 s[2:3], exec, s[2:3]
	s_cbranch_execz .LBB11_365
; %bb.360:
	s_mov_b32 s4, 0x3c7fffff
	v_cmp_lt_u32_e32 vcc, s4, v6
                                        ; implicit-def: $vgpr3
	s_and_saveexec_b64 s[4:5], vcc
	s_xor_b64 s[4:5], exec, s[4:5]
; %bb.361:
	v_bfe_u32 v3, v2, 20, 1
	s_mov_b32 s6, 0x407ffff
	v_add3_u32 v3, v2, v3, s6
	v_lshrrev_b32_e32 v6, 20, v3
	v_and_b32_e32 v3, 0xff00000, v3
	s_mov_b32 s6, 0x7f00000
	v_mov_b32_e32 v7, 0x7e
	v_cmp_ne_u32_e32 vcc, s6, v3
	s_nop 1
	v_cndmask_b32_e32 v3, v7, v6, vcc
; %bb.362:
	s_andn2_saveexec_b64 s[4:5], s[4:5]
; %bb.363:
	s_mov_b32 s6, 0x46800000
	v_add_f32_e64 v3, |v2|, s6
; %bb.364:
	s_or_b64 exec, exec, s[4:5]
                                        ; implicit-def: $vgpr6
.LBB11_365:
	s_andn2_saveexec_b64 s[2:3], s[2:3]
; %bb.366:
	s_mov_b32 s4, 0x7f800000
	v_mov_b32_e32 v3, 0x7e
	v_mov_b32_e32 v7, 0x7f
	v_cmp_lt_u32_e32 vcc, s4, v6
	s_nop 1
	v_cndmask_b32_e32 v3, v3, v7, vcc
; %bb.367:
	s_or_b64 exec, exec, s[2:3]
	v_lshrrev_b32_e32 v2, 24, v2
	s_movk_i32 s2, 0x80
	v_and_or_b32 v2, v2, s2, v3
	global_store_byte v[4:5], v2, off
.LBB11_368:
	s_mov_b64 s[2:3], 0
.LBB11_369:
	s_andn2_b64 vcc, exec, s[2:3]
	s_cbranch_vccnz .LBB11_379
; %bb.370:
	v_cvt_f32_f64_e32 v2, v[0:1]
	v_and_b32_e32 v6, 0x7fffffff, v2
	s_mov_b32 s2, 0x47800000
	v_cmp_gt_u32_e32 vcc, s2, v6
                                        ; implicit-def: $vgpr3
	s_and_saveexec_b64 s[2:3], vcc
	s_xor_b64 s[2:3], exec, s[2:3]
	s_cbranch_execz .LBB11_376
; %bb.371:
	s_mov_b32 s4, 0x387fffff
	v_cmp_lt_u32_e32 vcc, s4, v6
                                        ; implicit-def: $vgpr3
	s_and_saveexec_b64 s[4:5], vcc
	s_xor_b64 s[4:5], exec, s[4:5]
; %bb.372:
	v_bfe_u32 v3, v2, 21, 1
	s_mov_b32 s6, 0x80fffff
	v_add3_u32 v3, v2, v3, s6
	v_lshrrev_b32_e32 v3, 21, v3
; %bb.373:
	s_andn2_saveexec_b64 s[4:5], s[4:5]
; %bb.374:
	s_mov_b32 s6, 0x43000000
	v_add_f32_e64 v3, |v2|, s6
; %bb.375:
	s_or_b64 exec, exec, s[4:5]
                                        ; implicit-def: $vgpr6
.LBB11_376:
	s_andn2_saveexec_b64 s[2:3], s[2:3]
; %bb.377:
	s_mov_b32 s4, 0x7f800000
	v_mov_b32_e32 v3, 0x7c
	v_mov_b32_e32 v7, 0x7f
	v_cmp_lt_u32_e32 vcc, s4, v6
	s_nop 1
	v_cndmask_b32_e32 v3, v3, v7, vcc
; %bb.378:
	s_or_b64 exec, exec, s[2:3]
	v_lshrrev_b32_e32 v2, 24, v2
	s_movk_i32 s2, 0x80
	v_and_or_b32 v2, v2, s2, v3
	global_store_byte v[4:5], v2, off
.LBB11_379:
	s_mov_b64 s[4:5], 0
	s_mov_b64 s[2:3], -1
.LBB11_380:
	s_andn2_b64 vcc, exec, s[4:5]
	s_cbranch_vccnz .LBB11_388
; %bb.381:
	s_cmp_gt_i32 s9, 14
	s_mov_b64 s[4:5], -1
	s_cbranch_scc0 .LBB11_385
; %bb.382:
	s_cmp_eq_u32 s9, 15
	s_mov_b64 s[0:1], -1
	s_cbranch_scc0 .LBB11_384
; %bb.383:
	v_cvt_f32_f64_e32 v2, v[0:1]
	v_bfe_u32 v3, v2, 16, 1
	s_movk_i32 s0, 0x7fff
	v_add3_u32 v3, v2, v3, s0
	v_cmp_o_f32_e32 vcc, v2, v2
	v_mov_b32_e32 v2, 0x7fc0
	s_mov_b64 s[2:3], -1
	v_cndmask_b32_sdwa v2, v2, v3, vcc dst_sel:DWORD dst_unused:UNUSED_PAD src0_sel:DWORD src1_sel:WORD_1
	global_store_short v[4:5], v2, off
	s_mov_b64 s[0:1], 0
.LBB11_384:
	s_mov_b64 s[4:5], 0
.LBB11_385:
	s_and_b64 vcc, exec, s[4:5]
	s_cbranch_vccz .LBB11_388
; %bb.386:
	s_cmp_eq_u32 s9, 11
	s_mov_b64 s[0:1], -1
	s_cbranch_scc0 .LBB11_388
; %bb.387:
	v_cmp_neq_f64_e32 vcc, 0, v[0:1]
	s_mov_b64 s[0:1], 0
	s_mov_b64 s[2:3], -1
	v_cndmask_b32_e64 v2, 0, 1, vcc
	global_store_byte v[4:5], v2, off
.LBB11_388:
	s_mov_b64 s[4:5], 0
.LBB11_389:
	s_and_b64 vcc, exec, s[4:5]
	s_cbranch_vccz .LBB11_428
; %bb.390:
	s_and_b32 s4, 0xffff, s8
	s_cmp_lt_i32 s4, 5
	s_mov_b64 s[2:3], -1
	s_cbranch_scc1 .LBB11_411
; %bb.391:
	s_cmp_lt_i32 s4, 8
	s_cbranch_scc1 .LBB11_401
; %bb.392:
	s_cmp_lt_i32 s4, 9
	s_cbranch_scc1 .LBB11_398
; %bb.393:
	s_cmp_gt_i32 s4, 9
	s_cbranch_scc0 .LBB11_395
; %bb.394:
	v_mov_b32_e32 v2, 0
	v_mov_b32_e32 v3, v2
	s_mov_b64 s[2:3], 0
	global_store_dwordx4 v[4:5], v[0:3], off
.LBB11_395:
	s_andn2_b64 vcc, exec, s[2:3]
	s_cbranch_vccnz .LBB11_397
; %bb.396:
	v_cvt_f32_f64_e32 v2, v[0:1]
	v_mov_b32_e32 v3, 0
	global_store_dwordx2 v[4:5], v[2:3], off
.LBB11_397:
	s_mov_b64 s[2:3], 0
.LBB11_398:
	s_andn2_b64 vcc, exec, s[2:3]
	s_cbranch_vccnz .LBB11_400
; %bb.399:
	s_movk_i32 s2, 0x1ff
	v_and_or_b32 v2, v1, s2, v0
	v_cmp_ne_u32_e32 vcc, 0, v2
	v_lshrrev_b32_e32 v3, 8, v1
	s_movk_i32 s2, 0xffe
	v_cndmask_b32_e64 v2, 0, 1, vcc
	v_bfe_u32 v6, v1, 20, 11
	v_and_or_b32 v2, v3, s2, v2
	v_sub_u32_e32 v7, 0x3f1, v6
	v_or_b32_e32 v3, 0x1000, v2
	v_med3_i32 v7, v7, 0, 13
	v_lshrrev_b32_e32 v8, v7, v3
	v_lshlrev_b32_e32 v7, v7, v8
	v_cmp_ne_u32_e32 vcc, v7, v3
	v_add_u32_e32 v6, 0xfffffc10, v6
	v_lshl_or_b32 v7, v6, 12, v2
	v_cndmask_b32_e64 v3, 0, 1, vcc
	v_or_b32_e32 v3, v8, v3
	v_cmp_gt_i32_e32 vcc, 1, v6
	s_movk_i32 s2, 0x40f
	s_nop 0
	v_cndmask_b32_e32 v3, v7, v3, vcc
	v_and_b32_e32 v7, 7, v3
	v_cmp_lt_i32_e32 vcc, 5, v7
	v_lshrrev_b32_e32 v3, 2, v3
	s_nop 0
	v_cndmask_b32_e64 v8, 0, 1, vcc
	v_cmp_eq_u32_e32 vcc, 3, v7
	s_nop 1
	v_cndmask_b32_e64 v7, 0, 1, vcc
	v_or_b32_e32 v7, v7, v8
	v_add_u32_e32 v3, v3, v7
	v_mov_b32_e32 v7, 0x7c00
	v_cmp_gt_i32_e32 vcc, 31, v6
	v_mov_b32_e32 v8, 0x7e00
	s_nop 0
	v_cndmask_b32_e32 v3, v7, v3, vcc
	v_cmp_ne_u32_e32 vcc, 0, v2
	s_nop 1
	v_cndmask_b32_e32 v2, v7, v8, vcc
	v_cmp_eq_u32_e32 vcc, s2, v6
	s_mov_b32 s2, 0x8000
	s_nop 0
	v_cndmask_b32_e32 v2, v3, v2, vcc
	v_and_b32_sdwa v3, v1, s2 dst_sel:DWORD dst_unused:UNUSED_PAD src0_sel:WORD_1 src1_sel:DWORD
	s_mov_b32 s2, 0xffff
	v_bitop3_b32 v2, v3, s2, v2 bitop3:0xc8
	global_store_dword v[4:5], v2, off
.LBB11_400:
	s_mov_b64 s[2:3], 0
.LBB11_401:
	s_andn2_b64 vcc, exec, s[2:3]
	s_cbranch_vccnz .LBB11_410
; %bb.402:
	s_cmp_lt_i32 s4, 6
	s_mov_b64 s[2:3], -1
	s_cbranch_scc1 .LBB11_408
; %bb.403:
	s_cmp_gt_i32 s4, 6
	s_cbranch_scc0 .LBB11_405
; %bb.404:
	s_mov_b64 s[2:3], 0
	global_store_dwordx2 v[4:5], v[0:1], off
.LBB11_405:
	s_andn2_b64 vcc, exec, s[2:3]
	s_cbranch_vccnz .LBB11_407
; %bb.406:
	v_cvt_f32_f64_e32 v2, v[0:1]
	global_store_dword v[4:5], v2, off
.LBB11_407:
	s_mov_b64 s[2:3], 0
.LBB11_408:
	s_andn2_b64 vcc, exec, s[2:3]
	s_cbranch_vccnz .LBB11_410
; %bb.409:
	s_movk_i32 s2, 0x1ff
	v_and_or_b32 v2, v1, s2, v0
	v_cmp_ne_u32_e32 vcc, 0, v2
	v_lshrrev_b32_e32 v3, 8, v1
	s_movk_i32 s2, 0xffe
	v_cndmask_b32_e64 v2, 0, 1, vcc
	v_bfe_u32 v6, v1, 20, 11
	v_and_or_b32 v2, v3, s2, v2
	v_sub_u32_e32 v7, 0x3f1, v6
	v_or_b32_e32 v3, 0x1000, v2
	v_med3_i32 v7, v7, 0, 13
	v_lshrrev_b32_e32 v8, v7, v3
	v_lshlrev_b32_e32 v7, v7, v8
	v_cmp_ne_u32_e32 vcc, v7, v3
	v_add_u32_e32 v6, 0xfffffc10, v6
	v_lshl_or_b32 v7, v6, 12, v2
	v_cndmask_b32_e64 v3, 0, 1, vcc
	v_or_b32_e32 v3, v8, v3
	v_cmp_gt_i32_e32 vcc, 1, v6
	s_movk_i32 s2, 0x40f
	s_nop 0
	v_cndmask_b32_e32 v3, v7, v3, vcc
	v_and_b32_e32 v7, 7, v3
	v_cmp_lt_i32_e32 vcc, 5, v7
	v_lshrrev_b32_e32 v3, 2, v3
	s_nop 0
	v_cndmask_b32_e64 v8, 0, 1, vcc
	v_cmp_eq_u32_e32 vcc, 3, v7
	s_nop 1
	v_cndmask_b32_e64 v7, 0, 1, vcc
	v_or_b32_e32 v7, v7, v8
	v_add_u32_e32 v3, v3, v7
	v_mov_b32_e32 v7, 0x7c00
	v_cmp_gt_i32_e32 vcc, 31, v6
	v_mov_b32_e32 v8, 0x7e00
	s_nop 0
	v_cndmask_b32_e32 v3, v7, v3, vcc
	v_cmp_ne_u32_e32 vcc, 0, v2
	s_nop 1
	v_cndmask_b32_e32 v2, v7, v8, vcc
	v_cmp_eq_u32_e32 vcc, s2, v6
	s_mov_b32 s2, 0x8000
	s_nop 0
	v_cndmask_b32_e32 v2, v3, v2, vcc
	v_lshrrev_b32_e32 v3, 16, v1
	v_and_or_b32 v2, v3, s2, v2
	global_store_short v[4:5], v2, off
.LBB11_410:
	s_mov_b64 s[2:3], 0
.LBB11_411:
	s_andn2_b64 vcc, exec, s[2:3]
	s_cbranch_vccnz .LBB11_427
; %bb.412:
	s_cmp_lt_i32 s4, 2
	s_mov_b64 s[2:3], -1
	s_cbranch_scc1 .LBB11_422
; %bb.413:
	s_cmp_lt_i32 s4, 3
	s_cbranch_scc1 .LBB11_419
; %bb.414:
	s_cmp_gt_i32 s4, 3
	s_cbranch_scc0 .LBB11_416
; %bb.415:
	v_trunc_f64_e32 v[2:3], v[0:1]
	s_movk_i32 s2, 0xffe0
	v_ldexp_f64 v[6:7], v[2:3], s2
	v_floor_f64_e32 v[6:7], v[6:7]
	v_fmac_f64_e32 v[2:3], 0xc1f00000, v[6:7]
	v_cvt_i32_f64_e32 v9, v[6:7]
	v_cvt_u32_f64_e32 v8, v[2:3]
	s_mov_b64 s[2:3], 0
	global_store_dwordx2 v[4:5], v[8:9], off
.LBB11_416:
	s_andn2_b64 vcc, exec, s[2:3]
	s_cbranch_vccnz .LBB11_418
; %bb.417:
	v_cvt_i32_f64_e32 v2, v[0:1]
	global_store_dword v[4:5], v2, off
.LBB11_418:
	s_mov_b64 s[2:3], 0
.LBB11_419:
	s_andn2_b64 vcc, exec, s[2:3]
	s_cbranch_vccnz .LBB11_421
; %bb.420:
	v_cvt_i32_f64_e32 v2, v[0:1]
	global_store_short v[4:5], v2, off
.LBB11_421:
	s_mov_b64 s[2:3], 0
.LBB11_422:
	s_andn2_b64 vcc, exec, s[2:3]
	s_cbranch_vccnz .LBB11_427
; %bb.423:
	s_cmp_gt_i32 s4, 0
	s_mov_b64 s[2:3], -1
	s_cbranch_scc0 .LBB11_425
; %bb.424:
	v_cvt_i32_f64_e32 v2, v[0:1]
	s_mov_b64 s[2:3], 0
	global_store_byte v[4:5], v2, off
.LBB11_425:
	s_andn2_b64 vcc, exec, s[2:3]
	s_cbranch_vccnz .LBB11_427
; %bb.426:
	v_trunc_f64_e32 v[0:1], v[0:1]
	s_movk_i32 s2, 0xffe0
	v_ldexp_f64 v[2:3], v[0:1], s2
	v_floor_f64_e32 v[2:3], v[2:3]
	v_fmac_f64_e32 v[0:1], 0xc1f00000, v[2:3]
	v_cvt_u32_f64_e32 v0, v[0:1]
	global_store_byte v[4:5], v0, off
.LBB11_427:
	s_mov_b64 s[2:3], -1
.LBB11_428:
	s_andn2_b64 vcc, exec, s[2:3]
	s_cbranch_vccnz .LBB11_430
; %bb.429:
	v_add_u32_e32 v40, 0x80, v40
	s_mov_b64 s[2:3], -1
	s_branch .LBB11_431
.LBB11_430:
	s_mov_b64 s[2:3], 0
                                        ; implicit-def: $vgpr40
.LBB11_431:
	s_andn2_b64 s[4:5], s[74:75], exec
	s_and_b64 s[0:1], s[0:1], exec
	s_or_b64 s[80:81], s[4:5], s[0:1]
	s_orn2_b64 s[2:3], s[2:3], exec
.LBB11_432:
	s_or_b64 exec, exec, s[78:79]
	s_mov_b64 s[0:1], 0
	s_mov_b64 s[6:7], 0
                                        ; implicit-def: $sgpr10
                                        ; implicit-def: $vgpr4_vgpr5
                                        ; implicit-def: $vgpr0_vgpr1
	s_and_saveexec_b64 s[78:79], s[2:3]
	s_cbranch_execz .LBB11_528
; %bb.433:
	v_cmp_gt_i32_e32 vcc, s82, v40
	s_mov_b64 s[2:3], 0
	s_mov_b64 s[4:5], s[80:81]
                                        ; implicit-def: $sgpr10
                                        ; implicit-def: $vgpr4_vgpr5
                                        ; implicit-def: $vgpr0_vgpr1
	s_and_saveexec_b64 s[82:83], vcc
	s_cbranch_execz .LBB11_527
; %bb.434:
	s_andn2_b64 vcc, exec, s[58:59]
	s_cbranch_vccnz .LBB11_440
; %bb.435:
	s_andn2_b64 vcc, exec, s[68:69]
	s_cbranch_vccnz .LBB11_441
; %bb.436:
	s_add_i32 s86, s86, 1
	s_cmp_eq_u32 s84, 2
	s_cbranch_scc1 .LBB11_442
; %bb.437:
	s_and_b32 s22, s86, 28
	s_mov_b32 s23, 0
	v_mov_b32_e32 v38, 0
	v_mov_b32_e32 v2, 0
	s_mov_b64 s[20:21], s[46:47]
	v_mov_b32_e32 v0, v40
.LBB11_438:                             ; =>This Inner Loop Header: Depth=1
	s_load_dwordx8 s[8:15], s[20:21], 0x4
	s_load_dwordx4 s[16:19], s[20:21], 0x24
	s_load_dwordx8 s[0:7], s[66:67], 0x0
	s_add_u32 s20, s20, 48
	s_addc_u32 s21, s21, 0
	s_waitcnt lgkmcnt(0)
	v_mul_hi_u32 v1, s9, v0
	v_add_u32_e32 v1, v0, v1
	v_lshrrev_b32_e32 v1, s10, v1
	v_mul_lo_u32 v3, v1, s8
	v_mul_hi_u32 v4, s12, v1
	v_sub_u32_e32 v0, v0, v3
	v_add_u32_e32 v3, v1, v4
	v_lshrrev_b32_e32 v3, s13, v3
	v_mul_lo_u32 v5, v3, s11
	v_mul_hi_u32 v6, s15, v3
	v_sub_u32_e32 v1, v1, v5
	v_add_u32_e32 v5, v3, v6
	v_mul_lo_u32 v4, v0, s1
	v_mul_lo_u32 v0, v0, s0
	;; [unrolled: 1-line block ×4, first 2 shown]
	v_lshrrev_b32_e32 v5, s16, v5
	v_add3_u32 v1, v0, v38, v1
	v_add3_u32 v2, v4, v2, v6
	v_mul_lo_u32 v0, v5, s14
	v_mul_hi_u32 v4, s18, v5
	v_sub_u32_e32 v0, v3, v0
	v_add_u32_e32 v3, v5, v4
	v_mul_lo_u32 v4, v0, s4
	v_mul_lo_u32 v6, v0, s5
	v_lshrrev_b32_e32 v0, s19, v3
	s_add_i32 s23, s23, 4
	v_mul_lo_u32 v3, v0, s17
	s_add_u32 s66, s66, 32
	v_sub_u32_e32 v3, v5, v3
	s_addc_u32 s67, s67, 0
	v_mul_lo_u32 v5, v3, s6
	v_mul_lo_u32 v3, v3, s7
	s_cmp_eq_u32 s22, s23
	v_add3_u32 v2, v6, v2, v3
	v_add3_u32 v38, v4, v1, v5
	s_cbranch_scc0 .LBB11_438
; %bb.439:
	v_mov_b32_e32 v1, v2
	s_branch .LBB11_443
.LBB11_440:
	s_mov_b64 s[0:1], -1
                                        ; implicit-def: $vgpr2
                                        ; implicit-def: $vgpr38
	s_branch .LBB11_447
.LBB11_441:
	v_mov_b32_e32 v2, 0
	v_mov_b32_e32 v38, 0
	s_branch .LBB11_446
.LBB11_442:
	v_mov_b32_e32 v38, 0
	s_mov_b32 s22, 0
	v_mov_b32_e32 v1, v38
                                        ; implicit-def: $vgpr2
	v_mov_b32_e32 v0, v40
.LBB11_443:
	s_and_b32 s4, s86, 3
	s_cmp_eq_u32 s4, 0
	s_cbranch_scc1 .LBB11_446
; %bb.444:
	s_lshl_b32 s0, s22, 3
	s_add_u32 s0, s46, s0
	s_addc_u32 s1, s47, 0
	s_add_u32 s0, s0, 0xc4
	s_addc_u32 s1, s1, 0
	s_mul_i32 s2, s22, 12
	s_add_u32 s2, s46, s2
	s_addc_u32 s3, s47, 0
.LBB11_445:                             ; =>This Inner Loop Header: Depth=1
	s_load_dwordx2 s[6:7], s[2:3], 0x4
	s_load_dword s5, s[2:3], 0xc
	s_load_dwordx2 s[8:9], s[0:1], 0x0
	v_mov_b32_e32 v2, v1
	s_add_u32 s2, s2, 12
	s_waitcnt lgkmcnt(0)
	v_mul_hi_u32 v1, s7, v0
	v_add_u32_e32 v1, v0, v1
	v_lshrrev_b32_e32 v1, s5, v1
	s_addc_u32 s3, s3, 0
	v_mul_lo_u32 v3, v1, s6
	s_add_u32 s0, s0, 8
	v_sub_u32_e32 v4, v0, v3
	s_addc_u32 s1, s1, 0
	s_add_i32 s4, s4, -1
	v_mad_u64_u32 v[2:3], s[6:7], v4, s9, v[2:3]
	s_cmp_lg_u32 s4, 0
	v_mov_b32_e32 v0, v1
	v_mad_u64_u32 v[38:39], s[6:7], v4, s8, v[38:39]
	v_mov_b32_e32 v1, v2
	s_cbranch_scc1 .LBB11_445
.LBB11_446:
	s_mov_b64 s[0:1], 0
.LBB11_447:
	s_andn2_b64 vcc, exec, s[0:1]
	s_cbranch_vccnz .LBB11_450
; %bb.448:
	s_waitcnt lgkmcnt(0)
	v_mul_hi_u32 v0, s53, v40
	v_add_u32_e32 v0, v40, v0
	v_lshrrev_b32_e32 v0, s54, v0
	v_mul_lo_u32 v1, v0, s52
	v_sub_u32_e32 v1, v40, v1
	v_mul_lo_u32 v2, v1, s49
	s_andn2_b64 vcc, exec, s[64:65]
	v_mul_lo_u32 v38, v1, s48
	s_cbranch_vccnz .LBB11_450
; %bb.449:
	v_mul_hi_u32 v1, s62, v0
	v_add_u32_e32 v1, v0, v1
	v_lshrrev_b32_e32 v1, s63, v1
	v_mul_lo_u32 v1, v1, s55
	v_sub_u32_e32 v0, v0, v1
	v_mad_u64_u32 v[38:39], s[0:1], v0, s50, v[38:39]
	v_mad_u64_u32 v[2:3], s[0:1], v0, s51, v[2:3]
.LBB11_450:
	s_getpc_b64 s[0:1]
	s_add_u32 s0, s0, _ZN2at6native6invokeIZZZNS0_12_GLOBAL__N_119airy_ai_kernel_cudaERNS_18TensorIteratorBaseEENKUlvE_clEvENKUlvE_clEvEUldE_j15function_traitsIS7_EEENT1_11result_typeERKT_PrKPcPKT0_PKN3c1010ScalarTypeEi@rel32@lo+4
	s_addc_u32 s1, s1, _ZN2at6native6invokeIZZZNS0_12_GLOBAL__N_119airy_ai_kernel_cudaERNS_18TensorIteratorBaseEENKUlvE_clEvENKUlvE_clEvEUldE_j15function_traitsIS7_EEENT1_11result_typeERKT_PrKPcPKT0_PKN3c1010ScalarTypeEi@rel32@hi+12
	s_waitcnt lgkmcnt(0)
	v_mov_b32_e32 v0, s38
	v_mov_b32_e32 v1, s39
	;; [unrolled: 1-line block ×3, first 2 shown]
	s_swappc_b64 s[30:31], s[0:1]
	v_mov_b32_e32 v39, 0
	s_and_b32 s10, s85, 0xff
	s_cmp_lt_i32 s10, 11
	v_lshl_add_u64 v[4:5], s[36:37], 0, v[38:39]
	s_cbranch_scc1 .LBB11_524
; %bb.451:
	s_and_b32 s11, 0xffff, s10
	s_mov_b64 s[4:5], -1
	s_cmp_gt_i32 s11, 25
	s_mov_b64 s[0:1], s[80:81]
	s_cbranch_scc0 .LBB11_484
; %bb.452:
	s_mov_b64 s[2:3], -1
	s_cmp_gt_i32 s11, 28
	s_mov_b64 s[0:1], s[80:81]
	s_cbranch_scc0 .LBB11_468
; %bb.453:
	s_cmp_gt_i32 s11, 43
	s_mov_b64 s[0:1], s[80:81]
	s_cbranch_scc0 .LBB11_464
; %bb.454:
	;; [unrolled: 4-line block ×3, first 2 shown]
	s_cmp_eq_u32 s11, 46
	s_mov_b64 s[0:1], -1
	s_cbranch_scc0 .LBB11_457
; %bb.456:
	v_cvt_f32_f64_e32 v2, v[0:1]
	v_bfe_u32 v3, v2, 16, 1
	s_movk_i32 s0, 0x7fff
	v_add3_u32 v3, v2, v3, s0
	v_cmp_o_f32_e32 vcc, v2, v2
	v_mov_b32_e32 v2, 0x7fc0
	s_mov_b64 s[0:1], 0
	v_cndmask_b32_sdwa v2, v2, v3, vcc dst_sel:DWORD dst_unused:UNUSED_PAD src0_sel:DWORD src1_sel:WORD_1
	global_store_dword v[4:5], v2, off
.LBB11_457:
	s_mov_b64 s[2:3], 0
.LBB11_458:
	s_and_b64 vcc, exec, s[2:3]
	s_cbranch_vccz .LBB11_463
; %bb.459:
	s_cmp_eq_u32 s11, 44
	s_mov_b64 s[0:1], -1
	s_cbranch_scc0 .LBB11_463
; %bb.460:
	v_cvt_f32_f64_e32 v2, v[0:1]
	v_bfe_u32 v3, v2, 23, 8
	s_movk_i32 s0, 0xff
	v_cmp_ne_u32_e32 vcc, s0, v3
	v_mov_b32_e32 v6, 0xff
	s_and_saveexec_b64 s[2:3], vcc
; %bb.461:
	s_mov_b32 s0, 0x3fffff
	v_lshrrev_b32_e32 v6, 23, v2
	v_and_b32_e32 v7, 0x400000, v2
	v_and_or_b32 v2, v2, s0, v3
	v_cmp_ne_u32_e32 vcc, 0, v7
	v_cmp_ne_u32_e64 s[0:1], 0, v2
	s_and_b64 s[0:1], vcc, s[0:1]
	s_nop 0
	v_cndmask_b32_e64 v2, 0, 1, s[0:1]
	v_add_u32_e32 v6, v6, v2
; %bb.462:
	s_or_b64 exec, exec, s[2:3]
	s_mov_b64 s[0:1], 0
	global_store_byte v[4:5], v6, off
.LBB11_463:
	s_mov_b64 s[2:3], 0
.LBB11_464:
	s_and_b64 vcc, exec, s[2:3]
	s_cbranch_vccz .LBB11_467
; %bb.465:
	s_cmp_eq_u32 s11, 29
	s_mov_b64 s[0:1], -1
	s_cbranch_scc0 .LBB11_467
; %bb.466:
	v_trunc_f64_e32 v[2:3], v[0:1]
	s_movk_i32 s0, 0xffe0
	v_ldexp_f64 v[6:7], v[2:3], s0
	v_floor_f64_e32 v[6:7], v[6:7]
	v_fmac_f64_e32 v[2:3], 0xc1f00000, v[6:7]
	v_cvt_u32_f64_e32 v9, v[6:7]
	v_cvt_u32_f64_e32 v8, v[2:3]
	global_store_dwordx2 v[4:5], v[8:9], off
	s_mov_b64 s[0:1], 0
.LBB11_467:
	s_mov_b64 s[2:3], 0
.LBB11_468:
	s_and_b64 vcc, exec, s[2:3]
	s_cbranch_vccz .LBB11_483
; %bb.469:
	s_cmp_lt_i32 s11, 27
	s_mov_b64 s[2:3], -1
	s_cbranch_scc1 .LBB11_475
; %bb.470:
	s_cmp_gt_i32 s11, 27
	v_cvt_u32_f64_e32 v2, v[0:1]
	s_cbranch_scc0 .LBB11_472
; %bb.471:
	s_mov_b64 s[2:3], 0
	global_store_dword v[4:5], v2, off
.LBB11_472:
	s_andn2_b64 vcc, exec, s[2:3]
	s_cbranch_vccnz .LBB11_474
; %bb.473:
	global_store_short v[4:5], v2, off
.LBB11_474:
	s_mov_b64 s[2:3], 0
.LBB11_475:
	s_andn2_b64 vcc, exec, s[2:3]
	s_cbranch_vccnz .LBB11_483
; %bb.476:
	v_cvt_f32_f64_e32 v2, v[0:1]
	v_and_b32_e32 v3, 0x7fffffff, v2
	s_mov_b32 s2, 0x43800000
	v_cmp_gt_u32_e32 vcc, s2, v3
	v_mov_b32_e32 v6, 0x80
	s_and_saveexec_b64 s[2:3], vcc
	s_cbranch_execz .LBB11_482
; %bb.477:
	s_mov_b32 s4, 0x3bffffff
	v_cmp_lt_u32_e32 vcc, s4, v3
	s_mov_b64 s[4:5], 0
                                        ; implicit-def: $vgpr3
	s_and_saveexec_b64 s[6:7], vcc
	s_xor_b64 s[6:7], exec, s[6:7]
	s_cbranch_execz .LBB11_1125
; %bb.478:
	v_bfe_u32 v3, v2, 20, 1
	s_mov_b32 s8, 0x487ffff
	v_add3_u32 v3, v2, v3, s8
	s_mov_b64 s[4:5], exec
	v_lshrrev_b32_e32 v3, 20, v3
	s_andn2_saveexec_b64 s[6:7], s[6:7]
	s_cbranch_execnz .LBB11_1126
.LBB11_479:
	s_or_b64 exec, exec, s[6:7]
	v_mov_b32_e32 v6, 0
	s_and_saveexec_b64 s[6:7], s[4:5]
.LBB11_480:
	v_lshrrev_b32_e32 v2, 24, v2
	s_movk_i32 s4, 0x80
	v_and_or_b32 v6, v2, s4, v3
.LBB11_481:
	s_or_b64 exec, exec, s[6:7]
.LBB11_482:
	s_or_b64 exec, exec, s[2:3]
	global_store_byte v[4:5], v6, off
.LBB11_483:
	s_mov_b64 s[4:5], 0
.LBB11_484:
	s_mov_b64 s[2:3], 0
	s_and_b64 vcc, exec, s[4:5]
	s_cbranch_vccz .LBB11_525
; %bb.485:
	s_cmp_gt_i32 s11, 22
	s_mov_b64 s[4:5], -1
	s_cbranch_scc0 .LBB11_517
; %bb.486:
	s_cmp_lt_i32 s11, 24
	s_cbranch_scc1 .LBB11_506
; %bb.487:
	s_cmp_gt_i32 s11, 24
	s_cbranch_scc0 .LBB11_495
; %bb.488:
	v_cvt_f32_f64_e32 v2, v[0:1]
	v_and_b32_e32 v3, 0x7fffffff, v2
	s_mov_b32 s4, 0x47800000
	v_cmp_gt_u32_e32 vcc, s4, v3
	v_mov_b32_e32 v6, 0x80
	s_and_saveexec_b64 s[4:5], vcc
	s_cbranch_execz .LBB11_494
; %bb.489:
	s_mov_b32 s6, 0x37ffffff
	v_cmp_lt_u32_e32 vcc, s6, v3
	s_mov_b64 s[6:7], 0
                                        ; implicit-def: $vgpr3
	s_and_saveexec_b64 s[8:9], vcc
	s_xor_b64 s[8:9], exec, s[8:9]
	s_cbranch_execz .LBB11_1129
; %bb.490:
	v_bfe_u32 v3, v2, 21, 1
	s_mov_b32 s12, 0x88fffff
	v_add3_u32 v3, v2, v3, s12
	s_mov_b64 s[6:7], exec
	v_lshrrev_b32_e32 v3, 21, v3
	s_andn2_saveexec_b64 s[8:9], s[8:9]
	s_cbranch_execnz .LBB11_1130
.LBB11_491:
	s_or_b64 exec, exec, s[8:9]
	v_mov_b32_e32 v6, 0
	s_and_saveexec_b64 s[8:9], s[6:7]
.LBB11_492:
	v_lshrrev_b32_e32 v2, 24, v2
	s_movk_i32 s6, 0x80
	v_and_or_b32 v6, v2, s6, v3
.LBB11_493:
	s_or_b64 exec, exec, s[8:9]
.LBB11_494:
	s_or_b64 exec, exec, s[4:5]
	s_mov_b64 s[4:5], 0
	global_store_byte v[4:5], v6, off
.LBB11_495:
	s_and_b64 vcc, exec, s[4:5]
	s_cbranch_vccz .LBB11_505
; %bb.496:
	v_cvt_f32_f64_e32 v2, v[0:1]
	v_and_b32_e32 v6, 0x7fffffff, v2
	s_mov_b32 s4, 0x43f00000
	v_cmp_gt_u32_e32 vcc, s4, v6
                                        ; implicit-def: $vgpr3
	s_and_saveexec_b64 s[4:5], vcc
	s_xor_b64 s[4:5], exec, s[4:5]
	s_cbranch_execz .LBB11_502
; %bb.497:
	s_mov_b32 s6, 0x3c7fffff
	v_cmp_lt_u32_e32 vcc, s6, v6
                                        ; implicit-def: $vgpr3
	s_and_saveexec_b64 s[6:7], vcc
	s_xor_b64 s[6:7], exec, s[6:7]
; %bb.498:
	v_bfe_u32 v3, v2, 20, 1
	s_mov_b32 s8, 0x407ffff
	v_add3_u32 v3, v2, v3, s8
	v_lshrrev_b32_e32 v6, 20, v3
	v_and_b32_e32 v3, 0xff00000, v3
	s_mov_b32 s8, 0x7f00000
	v_mov_b32_e32 v7, 0x7e
	v_cmp_ne_u32_e32 vcc, s8, v3
	s_nop 1
	v_cndmask_b32_e32 v3, v7, v6, vcc
; %bb.499:
	s_andn2_saveexec_b64 s[6:7], s[6:7]
; %bb.500:
	s_mov_b32 s8, 0x46800000
	v_add_f32_e64 v3, |v2|, s8
; %bb.501:
	s_or_b64 exec, exec, s[6:7]
                                        ; implicit-def: $vgpr6
.LBB11_502:
	s_andn2_saveexec_b64 s[4:5], s[4:5]
; %bb.503:
	s_mov_b32 s6, 0x7f800000
	v_mov_b32_e32 v3, 0x7e
	v_mov_b32_e32 v7, 0x7f
	v_cmp_lt_u32_e32 vcc, s6, v6
	s_nop 1
	v_cndmask_b32_e32 v3, v3, v7, vcc
; %bb.504:
	s_or_b64 exec, exec, s[4:5]
	v_lshrrev_b32_e32 v2, 24, v2
	s_movk_i32 s4, 0x80
	v_and_or_b32 v2, v2, s4, v3
	global_store_byte v[4:5], v2, off
.LBB11_505:
	s_mov_b64 s[4:5], 0
.LBB11_506:
	s_andn2_b64 vcc, exec, s[4:5]
	s_cbranch_vccnz .LBB11_516
; %bb.507:
	v_cvt_f32_f64_e32 v2, v[0:1]
	v_and_b32_e32 v6, 0x7fffffff, v2
	s_mov_b32 s4, 0x47800000
	v_cmp_gt_u32_e32 vcc, s4, v6
                                        ; implicit-def: $vgpr3
	s_and_saveexec_b64 s[4:5], vcc
	s_xor_b64 s[4:5], exec, s[4:5]
	s_cbranch_execz .LBB11_513
; %bb.508:
	s_mov_b32 s6, 0x387fffff
	v_cmp_lt_u32_e32 vcc, s6, v6
                                        ; implicit-def: $vgpr3
	s_and_saveexec_b64 s[6:7], vcc
	s_xor_b64 s[6:7], exec, s[6:7]
; %bb.509:
	v_bfe_u32 v3, v2, 21, 1
	s_mov_b32 s8, 0x80fffff
	v_add3_u32 v3, v2, v3, s8
	v_lshrrev_b32_e32 v3, 21, v3
; %bb.510:
	s_andn2_saveexec_b64 s[6:7], s[6:7]
; %bb.511:
	s_mov_b32 s8, 0x43000000
	v_add_f32_e64 v3, |v2|, s8
; %bb.512:
	s_or_b64 exec, exec, s[6:7]
                                        ; implicit-def: $vgpr6
.LBB11_513:
	s_andn2_saveexec_b64 s[4:5], s[4:5]
; %bb.514:
	s_mov_b32 s6, 0x7f800000
	v_mov_b32_e32 v3, 0x7c
	v_mov_b32_e32 v7, 0x7f
	v_cmp_lt_u32_e32 vcc, s6, v6
	s_nop 1
	v_cndmask_b32_e32 v3, v3, v7, vcc
; %bb.515:
	s_or_b64 exec, exec, s[4:5]
	v_lshrrev_b32_e32 v2, 24, v2
	s_movk_i32 s4, 0x80
	v_and_or_b32 v2, v2, s4, v3
	global_store_byte v[4:5], v2, off
.LBB11_516:
	s_mov_b64 s[4:5], 0
.LBB11_517:
	s_andn2_b64 vcc, exec, s[4:5]
	s_mov_b64 s[4:5], 0
	s_cbranch_vccnz .LBB11_526
; %bb.518:
	s_cmp_gt_i32 s11, 14
	s_mov_b64 s[6:7], -1
	s_cbranch_scc0 .LBB11_522
; %bb.519:
	s_cmp_eq_u32 s11, 15
	s_mov_b64 s[0:1], -1
	s_cbranch_scc0 .LBB11_521
; %bb.520:
	v_cvt_f32_f64_e32 v2, v[0:1]
	v_bfe_u32 v3, v2, 16, 1
	s_movk_i32 s0, 0x7fff
	v_add3_u32 v3, v2, v3, s0
	v_cmp_o_f32_e32 vcc, v2, v2
	v_mov_b32_e32 v2, 0x7fc0
	s_mov_b64 s[0:1], 0
	v_cndmask_b32_sdwa v2, v2, v3, vcc dst_sel:DWORD dst_unused:UNUSED_PAD src0_sel:DWORD src1_sel:WORD_1
	global_store_short v[4:5], v2, off
.LBB11_521:
	s_mov_b64 s[6:7], 0
.LBB11_522:
	s_and_b64 vcc, exec, s[6:7]
	s_cbranch_vccz .LBB11_526
; %bb.523:
	s_cmp_lg_u32 s11, 11
	s_cselect_b64 s[6:7], -1, 0
	s_andn2_b64 s[0:1], s[0:1], exec
	s_and_b64 s[6:7], s[6:7], exec
	s_mov_b64 s[4:5], -1
	s_or_b64 s[0:1], s[0:1], s[6:7]
	s_branch .LBB11_526
.LBB11_524:
	s_mov_b64 s[4:5], 0
	s_mov_b64 s[2:3], -1
	s_mov_b64 s[0:1], s[80:81]
	s_branch .LBB11_526
.LBB11_525:
	s_mov_b64 s[4:5], 0
.LBB11_526:
	s_and_b64 s[6:7], s[2:3], exec
	s_and_b64 s[2:3], s[4:5], exec
	s_andn2_b64 s[4:5], s[80:81], exec
	s_and_b64 s[0:1], s[0:1], exec
	s_or_b64 s[4:5], s[4:5], s[0:1]
.LBB11_527:
	s_or_b64 exec, exec, s[82:83]
	s_and_b64 s[0:1], s[2:3], exec
	s_andn2_b64 s[2:3], s[80:81], exec
	s_and_b64 s[4:5], s[4:5], exec
	s_and_b64 s[6:7], s[6:7], exec
	s_or_b64 s[80:81], s[2:3], s[4:5]
.LBB11_528:
	s_or_b64 exec, exec, s[78:79]
	s_and_b64 s[2:3], s[6:7], exec
	s_andn2_b64 s[4:5], s[74:75], exec
	s_and_b64 s[6:7], s[80:81], exec
	s_and_b64 s[0:1], s[0:1], exec
	s_or_b64 s[74:75], s[4:5], s[6:7]
.LBB11_529:
	s_or_b64 exec, exec, s[76:77]
	s_and_b64 s[76:77], s[0:1], exec
	s_andn2_b64 s[0:1], s[70:71], exec
	s_and_b64 s[4:5], s[74:75], exec
	s_and_b64 s[2:3], s[2:3], exec
	s_or_b64 s[70:71], s[0:1], s[4:5]
	s_or_b64 exec, exec, s[72:73]
	s_mov_b64 s[0:1], 0
	s_and_saveexec_b64 s[4:5], s[70:71]
	s_cbranch_execz .LBB11_148
.LBB11_530:
	s_mov_b64 s[0:1], exec
	s_andn2_b64 s[76:77], s[76:77], exec
	s_trap 2
	s_or_b64 exec, exec, s[4:5]
	s_and_saveexec_b64 s[4:5], s[76:77]
	s_xor_b64 s[4:5], exec, s[4:5]
	s_cbranch_execnz .LBB11_149
.LBB11_531:
	s_or_b64 exec, exec, s[4:5]
	s_and_saveexec_b64 s[4:5], s[2:3]
	s_xor_b64 s[2:3], exec, s[4:5]
	s_cbranch_execz .LBB11_569
.LBB11_532:
	s_sext_i32_i16 s6, s10
	s_cmp_lt_i32 s6, 5
	s_mov_b64 s[4:5], -1
	s_cbranch_scc1 .LBB11_553
; %bb.533:
	s_cmp_lt_i32 s6, 8
	s_cbranch_scc1 .LBB11_543
; %bb.534:
	s_cmp_lt_i32 s6, 9
	s_cbranch_scc1 .LBB11_540
; %bb.535:
	s_cmp_gt_i32 s6, 9
	s_cbranch_scc0 .LBB11_537
; %bb.536:
	v_mov_b32_e32 v2, 0
	v_mov_b32_e32 v3, v2
	s_mov_b64 s[4:5], 0
	global_store_dwordx4 v[4:5], v[0:3], off
.LBB11_537:
	s_andn2_b64 vcc, exec, s[4:5]
	s_cbranch_vccnz .LBB11_539
; %bb.538:
	v_cvt_f32_f64_e32 v2, v[0:1]
	v_mov_b32_e32 v3, 0
	global_store_dwordx2 v[4:5], v[2:3], off
.LBB11_539:
	s_mov_b64 s[4:5], 0
.LBB11_540:
	s_andn2_b64 vcc, exec, s[4:5]
	s_cbranch_vccnz .LBB11_542
; %bb.541:
	s_movk_i32 s4, 0x1ff
	v_and_or_b32 v2, v1, s4, v0
	v_cmp_ne_u32_e32 vcc, 0, v2
	v_lshrrev_b32_e32 v3, 8, v1
	s_movk_i32 s4, 0xffe
	v_cndmask_b32_e64 v2, 0, 1, vcc
	v_bfe_u32 v6, v1, 20, 11
	v_and_or_b32 v2, v3, s4, v2
	v_sub_u32_e32 v7, 0x3f1, v6
	v_or_b32_e32 v3, 0x1000, v2
	v_med3_i32 v7, v7, 0, 13
	v_lshrrev_b32_e32 v8, v7, v3
	v_lshlrev_b32_e32 v7, v7, v8
	v_cmp_ne_u32_e32 vcc, v7, v3
	v_add_u32_e32 v6, 0xfffffc10, v6
	v_lshl_or_b32 v7, v6, 12, v2
	v_cndmask_b32_e64 v3, 0, 1, vcc
	v_or_b32_e32 v3, v8, v3
	v_cmp_gt_i32_e32 vcc, 1, v6
	s_movk_i32 s4, 0x40f
	s_nop 0
	v_cndmask_b32_e32 v3, v7, v3, vcc
	v_and_b32_e32 v7, 7, v3
	v_cmp_lt_i32_e32 vcc, 5, v7
	v_lshrrev_b32_e32 v3, 2, v3
	s_nop 0
	v_cndmask_b32_e64 v8, 0, 1, vcc
	v_cmp_eq_u32_e32 vcc, 3, v7
	s_nop 1
	v_cndmask_b32_e64 v7, 0, 1, vcc
	v_or_b32_e32 v7, v7, v8
	v_add_u32_e32 v3, v3, v7
	v_mov_b32_e32 v7, 0x7c00
	v_cmp_gt_i32_e32 vcc, 31, v6
	v_mov_b32_e32 v8, 0x7e00
	s_nop 0
	v_cndmask_b32_e32 v3, v7, v3, vcc
	v_cmp_ne_u32_e32 vcc, 0, v2
	s_nop 1
	v_cndmask_b32_e32 v2, v7, v8, vcc
	v_cmp_eq_u32_e32 vcc, s4, v6
	s_mov_b32 s4, 0x8000
	s_nop 0
	v_cndmask_b32_e32 v2, v3, v2, vcc
	v_and_b32_sdwa v3, v1, s4 dst_sel:DWORD dst_unused:UNUSED_PAD src0_sel:WORD_1 src1_sel:DWORD
	s_mov_b32 s4, 0xffff
	v_bitop3_b32 v2, v3, s4, v2 bitop3:0xc8
	global_store_dword v[4:5], v2, off
.LBB11_542:
	s_mov_b64 s[4:5], 0
.LBB11_543:
	s_andn2_b64 vcc, exec, s[4:5]
	s_cbranch_vccnz .LBB11_552
; %bb.544:
	s_sext_i32_i16 s6, s10
	s_cmp_lt_i32 s6, 6
	s_mov_b64 s[4:5], -1
	s_cbranch_scc1 .LBB11_550
; %bb.545:
	s_cmp_gt_i32 s6, 6
	s_cbranch_scc0 .LBB11_547
; %bb.546:
	s_mov_b64 s[4:5], 0
	global_store_dwordx2 v[4:5], v[0:1], off
.LBB11_547:
	s_andn2_b64 vcc, exec, s[4:5]
	s_cbranch_vccnz .LBB11_549
; %bb.548:
	v_cvt_f32_f64_e32 v2, v[0:1]
	global_store_dword v[4:5], v2, off
.LBB11_549:
	s_mov_b64 s[4:5], 0
.LBB11_550:
	s_andn2_b64 vcc, exec, s[4:5]
	s_cbranch_vccnz .LBB11_552
; %bb.551:
	s_movk_i32 s4, 0x1ff
	v_and_or_b32 v2, v1, s4, v0
	v_cmp_ne_u32_e32 vcc, 0, v2
	v_lshrrev_b32_e32 v3, 8, v1
	s_movk_i32 s4, 0xffe
	v_cndmask_b32_e64 v2, 0, 1, vcc
	v_bfe_u32 v6, v1, 20, 11
	v_and_or_b32 v2, v3, s4, v2
	v_sub_u32_e32 v7, 0x3f1, v6
	v_or_b32_e32 v3, 0x1000, v2
	v_med3_i32 v7, v7, 0, 13
	v_lshrrev_b32_e32 v8, v7, v3
	v_lshlrev_b32_e32 v7, v7, v8
	v_cmp_ne_u32_e32 vcc, v7, v3
	v_add_u32_e32 v6, 0xfffffc10, v6
	v_lshl_or_b32 v7, v6, 12, v2
	v_cndmask_b32_e64 v3, 0, 1, vcc
	v_or_b32_e32 v3, v8, v3
	v_cmp_gt_i32_e32 vcc, 1, v6
	s_movk_i32 s4, 0x40f
	s_nop 0
	v_cndmask_b32_e32 v3, v7, v3, vcc
	v_and_b32_e32 v7, 7, v3
	v_cmp_lt_i32_e32 vcc, 5, v7
	v_lshrrev_b32_e32 v3, 2, v3
	s_nop 0
	v_cndmask_b32_e64 v8, 0, 1, vcc
	v_cmp_eq_u32_e32 vcc, 3, v7
	s_nop 1
	v_cndmask_b32_e64 v7, 0, 1, vcc
	v_or_b32_e32 v7, v7, v8
	v_add_u32_e32 v3, v3, v7
	v_mov_b32_e32 v7, 0x7c00
	v_cmp_gt_i32_e32 vcc, 31, v6
	v_mov_b32_e32 v8, 0x7e00
	s_nop 0
	v_cndmask_b32_e32 v3, v7, v3, vcc
	v_cmp_ne_u32_e32 vcc, 0, v2
	s_nop 1
	v_cndmask_b32_e32 v2, v7, v8, vcc
	v_cmp_eq_u32_e32 vcc, s4, v6
	s_mov_b32 s4, 0x8000
	s_nop 0
	v_cndmask_b32_e32 v2, v3, v2, vcc
	v_lshrrev_b32_e32 v3, 16, v1
	v_and_or_b32 v2, v3, s4, v2
	global_store_short v[4:5], v2, off
.LBB11_552:
	s_mov_b64 s[4:5], 0
.LBB11_553:
	s_andn2_b64 vcc, exec, s[4:5]
	s_cbranch_vccnz .LBB11_569
; %bb.554:
	s_sext_i32_i16 s6, s10
	s_cmp_lt_i32 s6, 2
	s_mov_b64 s[4:5], -1
	s_cbranch_scc1 .LBB11_564
; %bb.555:
	s_cmp_lt_i32 s6, 3
	s_cbranch_scc1 .LBB11_561
; %bb.556:
	s_cmp_gt_i32 s6, 3
	s_cbranch_scc0 .LBB11_558
; %bb.557:
	v_trunc_f64_e32 v[2:3], v[0:1]
	s_movk_i32 s4, 0xffe0
	v_ldexp_f64 v[6:7], v[2:3], s4
	v_floor_f64_e32 v[6:7], v[6:7]
	v_fmac_f64_e32 v[2:3], 0xc1f00000, v[6:7]
	v_cvt_i32_f64_e32 v9, v[6:7]
	v_cvt_u32_f64_e32 v8, v[2:3]
	s_mov_b64 s[4:5], 0
	global_store_dwordx2 v[4:5], v[8:9], off
.LBB11_558:
	s_andn2_b64 vcc, exec, s[4:5]
	s_cbranch_vccnz .LBB11_560
; %bb.559:
	v_cvt_i32_f64_e32 v2, v[0:1]
	global_store_dword v[4:5], v2, off
.LBB11_560:
	s_mov_b64 s[4:5], 0
.LBB11_561:
	s_andn2_b64 vcc, exec, s[4:5]
	s_cbranch_vccnz .LBB11_563
; %bb.562:
	v_cvt_i32_f64_e32 v2, v[0:1]
	global_store_short v[4:5], v2, off
.LBB11_563:
	s_mov_b64 s[4:5], 0
.LBB11_564:
	s_andn2_b64 vcc, exec, s[4:5]
	s_cbranch_vccnz .LBB11_569
; %bb.565:
	s_sext_i32_i16 s4, s10
	s_cmp_gt_i32 s4, 0
	s_mov_b64 s[4:5], -1
	s_cbranch_scc0 .LBB11_567
; %bb.566:
	v_cvt_i32_f64_e32 v2, v[0:1]
	s_mov_b64 s[4:5], 0
	global_store_byte v[4:5], v2, off
.LBB11_567:
	s_andn2_b64 vcc, exec, s[4:5]
	s_cbranch_vccnz .LBB11_569
; %bb.568:
	v_trunc_f64_e32 v[0:1], v[0:1]
	s_movk_i32 s4, 0xffe0
	v_ldexp_f64 v[2:3], v[0:1], s4
	v_floor_f64_e32 v[2:3], v[2:3]
	v_fmac_f64_e32 v[0:1], 0xc1f00000, v[2:3]
	v_cvt_u32_f64_e32 v0, v[0:1]
	global_store_byte v[4:5], v0, off
.LBB11_569:
	s_or_b64 exec, exec, s[2:3]
	s_waitcnt lgkmcnt(0)
	s_and_b64 s[48:49], s[0:1], exec
                                        ; implicit-def: $vgpr6
                                        ; implicit-def: $vgpr40
.LBB11_570:
	s_or_saveexec_b64 s[50:51], s[60:61]
	s_mov_b64 s[0:1], 0
                                        ; implicit-def: $sgpr12
                                        ; implicit-def: $vgpr4_vgpr5
                                        ; implicit-def: $vgpr0_vgpr1
	s_xor_b64 exec, exec, s[50:51]
	s_cbranch_execz .LBB11_1059
; %bb.571:
	v_cndmask_b32_e64 v0, 0, 1, s[58:59]
	v_cmp_ne_u32_e64 s[0:1], 1, v0
	s_andn2_b64 vcc, exec, s[58:59]
	s_cbranch_vccnz .LBB11_577
; %bb.572:
	s_cmp_lg_u32 s33, 0
	s_mov_b32 s26, 0
	s_cbranch_scc0 .LBB11_578
; %bb.573:
	s_min_u32 s27, s84, 15
	s_add_i32 s27, s27, 1
	s_cmp_eq_u32 s84, 2
	s_cbranch_scc1 .LBB11_579
; %bb.574:
	s_and_b32 s26, s27, 28
	s_add_u32 s2, s46, 0xc4
	s_addc_u32 s3, s47, 0
	s_mov_b32 s28, 0
	v_mov_b32_e32 v52, 0
	v_mov_b32_e32 v2, 0
	s_mov_b64 s[24:25], s[46:47]
	v_mov_b32_e32 v0, v40
.LBB11_575:                             ; =>This Inner Loop Header: Depth=1
	s_load_dwordx8 s[12:19], s[24:25], 0x4
	s_load_dwordx4 s[20:23], s[24:25], 0x24
	s_load_dwordx8 s[4:11], s[2:3], 0x0
	s_add_u32 s24, s24, 48
	s_addc_u32 s25, s25, 0
	s_waitcnt lgkmcnt(0)
	v_mul_hi_u32 v1, s13, v0
	v_add_u32_e32 v1, v0, v1
	v_lshrrev_b32_e32 v1, s14, v1
	v_mul_lo_u32 v3, v1, s12
	v_mul_hi_u32 v4, s16, v1
	v_sub_u32_e32 v0, v0, v3
	v_add_u32_e32 v3, v1, v4
	v_lshrrev_b32_e32 v3, s17, v3
	v_mul_lo_u32 v5, v3, s15
	v_mul_hi_u32 v7, s19, v3
	v_sub_u32_e32 v1, v1, v5
	v_add_u32_e32 v5, v3, v7
	v_mul_lo_u32 v4, v0, s5
	v_mul_lo_u32 v0, v0, s4
	;; [unrolled: 1-line block ×4, first 2 shown]
	v_lshrrev_b32_e32 v5, s20, v5
	v_add3_u32 v1, v0, v52, v1
	v_add3_u32 v2, v4, v2, v7
	v_mul_lo_u32 v0, v5, s18
	v_mul_hi_u32 v4, s22, v5
	v_sub_u32_e32 v0, v3, v0
	v_add_u32_e32 v3, v5, v4
	v_mul_lo_u32 v4, v0, s8
	v_mul_lo_u32 v7, v0, s9
	v_lshrrev_b32_e32 v0, s23, v3
	s_add_i32 s28, s28, 4
	v_mul_lo_u32 v3, v0, s21
	s_add_u32 s2, s2, 32
	v_sub_u32_e32 v3, v5, v3
	s_addc_u32 s3, s3, 0
	v_mul_lo_u32 v5, v3, s10
	v_mul_lo_u32 v3, v3, s11
	s_cmp_lg_u32 s26, s28
	v_add3_u32 v2, v7, v2, v3
	v_add3_u32 v52, v4, v1, v5
	s_cbranch_scc1 .LBB11_575
; %bb.576:
	v_mov_b32_e32 v1, v2
	s_and_b32 s6, s27, 3
	s_cmp_eq_u32 s6, 0
	s_cbranch_scc0 .LBB11_580
	s_branch .LBB11_582
.LBB11_577:
                                        ; implicit-def: $vgpr2
                                        ; implicit-def: $vgpr52
	s_branch .LBB11_583
.LBB11_578:
	v_mov_b32_e32 v2, 0
	v_mov_b32_e32 v52, 0
	s_branch .LBB11_582
.LBB11_579:
	v_mov_b32_e32 v52, 0
                                        ; implicit-def: $vgpr2
	v_mov_b32_e32 v1, v52
	v_mov_b32_e32 v0, v40
	s_and_b32 s6, s27, 3
	s_cmp_eq_u32 s6, 0
	s_cbranch_scc1 .LBB11_582
.LBB11_580:
	s_lshl_b32 s2, s26, 3
	s_add_u32 s2, s46, s2
	s_addc_u32 s3, s47, 0
	s_add_u32 s2, s2, 0xc4
	s_addc_u32 s3, s3, 0
	s_mul_i32 s4, s26, 12
	s_add_u32 s4, s46, s4
	s_addc_u32 s5, s47, 0
.LBB11_581:                             ; =>This Inner Loop Header: Depth=1
	s_load_dwordx2 s[8:9], s[4:5], 0x4
	s_load_dword s7, s[4:5], 0xc
	s_load_dwordx2 s[10:11], s[2:3], 0x0
	v_mov_b32_e32 v2, v1
	s_add_u32 s4, s4, 12
	s_waitcnt lgkmcnt(0)
	v_mul_hi_u32 v1, s9, v0
	v_add_u32_e32 v1, v0, v1
	v_lshrrev_b32_e32 v1, s7, v1
	s_addc_u32 s5, s5, 0
	v_mul_lo_u32 v3, v1, s8
	s_add_u32 s2, s2, 8
	v_sub_u32_e32 v4, v0, v3
	s_addc_u32 s3, s3, 0
	s_add_i32 s6, s6, -1
	v_mad_u64_u32 v[2:3], s[8:9], v4, s11, v[2:3]
	s_cmp_lg_u32 s6, 0
	v_mov_b32_e32 v0, v1
	v_mad_u64_u32 v[52:53], s[8:9], v4, s10, v[52:53]
	v_mov_b32_e32 v1, v2
	s_cbranch_scc1 .LBB11_581
.LBB11_582:
	s_cbranch_execnz .LBB11_585
.LBB11_583:
	s_load_dwordx4 s[4:7], s[46:47], 0x4
	s_load_dwordx2 s[2:3], s[46:47], 0xc4
	s_cmp_lt_u32 s33, 2
	s_waitcnt lgkmcnt(0)
	v_mul_hi_u32 v0, s5, v40
	v_add_u32_e32 v0, v40, v0
	v_lshrrev_b32_e32 v0, s6, v0
	v_mul_lo_u32 v1, v0, s4
	v_sub_u32_e32 v1, v40, v1
	v_mul_lo_u32 v2, v1, s3
	v_mul_lo_u32 v52, v1, s2
	s_cbranch_scc1 .LBB11_585
; %bb.584:
	s_load_dwordx4 s[4:7], s[46:47], 0x10
	s_load_dwordx2 s[2:3], s[46:47], 0xcc
	s_waitcnt lgkmcnt(0)
	v_mul_hi_u32 v1, s5, v0
	v_add_u32_e32 v1, v0, v1
	v_lshrrev_b32_e32 v1, s6, v1
	v_mul_lo_u32 v1, v1, s4
	v_sub_u32_e32 v0, v0, v1
	v_mad_u64_u32 v[52:53], s[4:5], v0, s2, v[52:53]
	v_mad_u64_u32 v[2:3], s[2:3], v0, s3, v[2:3]
.LBB11_585:
	s_and_b64 vcc, exec, s[0:1]
	v_add_u32_e32 v0, 0x80, v40
	s_cbranch_vccnz .LBB11_591
; %bb.586:
	s_cmp_lg_u32 s33, 0
	s_mov_b32 s26, 0
	s_cbranch_scc0 .LBB11_592
; %bb.587:
	s_min_u32 s27, s84, 15
	s_add_i32 s27, s27, 1
	s_cmp_eq_u32 s84, 2
	s_cbranch_scc1 .LBB11_593
; %bb.588:
	s_and_b32 s26, s27, 28
	s_add_u32 s2, s46, 0xc4
	s_addc_u32 s3, s47, 0
	s_mov_b32 s28, 0
	v_mov_b32_e32 v50, 0
	v_mov_b32_e32 v36, 0
	s_mov_b64 s[24:25], s[46:47]
	v_mov_b32_e32 v3, v0
.LBB11_589:                             ; =>This Inner Loop Header: Depth=1
	s_load_dwordx8 s[12:19], s[24:25], 0x4
	s_load_dwordx4 s[20:23], s[24:25], 0x24
	s_load_dwordx8 s[4:11], s[2:3], 0x0
	s_add_u32 s24, s24, 48
	s_addc_u32 s25, s25, 0
	s_waitcnt lgkmcnt(0)
	v_mul_hi_u32 v1, s13, v3
	v_add_u32_e32 v1, v3, v1
	v_lshrrev_b32_e32 v1, s14, v1
	v_mul_lo_u32 v4, v1, s12
	v_mul_hi_u32 v5, s16, v1
	v_sub_u32_e32 v3, v3, v4
	v_add_u32_e32 v4, v1, v5
	v_lshrrev_b32_e32 v4, s17, v4
	v_mul_lo_u32 v7, v4, s15
	v_mul_hi_u32 v8, s19, v4
	v_sub_u32_e32 v1, v1, v7
	v_add_u32_e32 v7, v4, v8
	v_mul_lo_u32 v5, v3, s5
	v_mul_lo_u32 v3, v3, s4
	;; [unrolled: 1-line block ×4, first 2 shown]
	v_lshrrev_b32_e32 v7, s20, v7
	v_add3_u32 v1, v3, v50, v1
	v_add3_u32 v5, v5, v36, v8
	v_mul_lo_u32 v3, v7, s18
	v_mul_hi_u32 v8, s22, v7
	v_sub_u32_e32 v3, v4, v3
	v_add_u32_e32 v4, v7, v8
	v_mul_lo_u32 v8, v3, s8
	v_mul_lo_u32 v9, v3, s9
	v_lshrrev_b32_e32 v3, s23, v4
	s_add_i32 s28, s28, 4
	v_mul_lo_u32 v4, v3, s21
	s_add_u32 s2, s2, 32
	v_sub_u32_e32 v4, v7, v4
	s_addc_u32 s3, s3, 0
	v_mul_lo_u32 v7, v4, s10
	v_mul_lo_u32 v4, v4, s11
	s_cmp_lg_u32 s26, s28
	v_add3_u32 v36, v9, v5, v4
	v_add3_u32 v50, v8, v1, v7
	s_cbranch_scc1 .LBB11_589
; %bb.590:
	v_mov_b32_e32 v1, v36
	s_and_b32 s6, s27, 3
	s_cmp_eq_u32 s6, 0
	s_cbranch_scc0 .LBB11_594
	s_branch .LBB11_596
.LBB11_591:
                                        ; implicit-def: $vgpr36
                                        ; implicit-def: $vgpr50
	s_branch .LBB11_597
.LBB11_592:
	v_mov_b32_e32 v36, 0
	v_mov_b32_e32 v50, 0
	s_branch .LBB11_596
.LBB11_593:
	v_mov_b32_e32 v50, 0
                                        ; implicit-def: $vgpr36
	v_mov_b32_e32 v1, v50
	v_mov_b32_e32 v3, v0
	s_and_b32 s6, s27, 3
	s_cmp_eq_u32 s6, 0
	s_cbranch_scc1 .LBB11_596
.LBB11_594:
	s_lshl_b32 s2, s26, 3
	s_add_u32 s2, s46, s2
	s_addc_u32 s3, s47, 0
	s_add_u32 s2, s2, 0xc4
	s_addc_u32 s3, s3, 0
	s_mul_i32 s4, s26, 12
	s_add_u32 s4, s46, s4
	s_addc_u32 s5, s47, 0
.LBB11_595:                             ; =>This Inner Loop Header: Depth=1
	s_load_dwordx2 s[8:9], s[4:5], 0x4
	s_load_dword s7, s[4:5], 0xc
	s_load_dwordx2 s[10:11], s[2:3], 0x0
	v_mov_b32_e32 v4, v1
	s_add_u32 s4, s4, 12
	s_waitcnt lgkmcnt(0)
	v_mul_hi_u32 v1, s9, v3
	v_add_u32_e32 v1, v3, v1
	v_lshrrev_b32_e32 v1, s7, v1
	s_addc_u32 s5, s5, 0
	v_mul_lo_u32 v5, v1, s8
	s_add_u32 s2, s2, 8
	v_sub_u32_e32 v5, v3, v5
	s_addc_u32 s3, s3, 0
	s_add_i32 s6, s6, -1
	v_mad_u64_u32 v[36:37], s[8:9], v5, s11, v[4:5]
	s_cmp_lg_u32 s6, 0
	v_mov_b32_e32 v3, v1
	v_mad_u64_u32 v[50:51], s[8:9], v5, s10, v[50:51]
	v_mov_b32_e32 v1, v36
	s_cbranch_scc1 .LBB11_595
.LBB11_596:
	s_cbranch_execnz .LBB11_599
.LBB11_597:
	s_load_dwordx4 s[4:7], s[46:47], 0x4
	s_load_dwordx2 s[2:3], s[46:47], 0xc4
	s_cmp_lt_u32 s33, 2
	s_waitcnt lgkmcnt(0)
	v_mul_hi_u32 v1, s5, v0
	v_add_u32_e32 v1, v0, v1
	v_lshrrev_b32_e32 v1, s6, v1
	v_mul_lo_u32 v3, v1, s4
	v_sub_u32_e32 v0, v0, v3
	v_mul_lo_u32 v36, v0, s3
	v_mul_lo_u32 v50, v0, s2
	s_cbranch_scc1 .LBB11_599
; %bb.598:
	s_load_dwordx4 s[4:7], s[46:47], 0x10
	s_load_dwordx2 s[2:3], s[46:47], 0xcc
	s_waitcnt lgkmcnt(0)
	v_mul_hi_u32 v0, s5, v1
	v_add_u32_e32 v0, v1, v0
	v_lshrrev_b32_e32 v0, s6, v0
	v_mul_lo_u32 v0, v0, s4
	v_sub_u32_e32 v0, v1, v0
	v_mad_u64_u32 v[50:51], s[4:5], v0, s2, v[50:51]
	v_mad_u64_u32 v[36:37], s[2:3], v0, s3, v[36:37]
.LBB11_599:
	s_and_b64 vcc, exec, s[0:1]
	v_add_u32_e32 v0, 0x100, v40
	s_cbranch_vccnz .LBB11_605
; %bb.600:
	s_cmp_lg_u32 s33, 0
	s_mov_b32 s26, 0
	s_cbranch_scc0 .LBB11_606
; %bb.601:
	s_min_u32 s27, s84, 15
	s_add_i32 s27, s27, 1
	s_cmp_eq_u32 s84, 2
	s_cbranch_scc1 .LBB11_607
; %bb.602:
	s_and_b32 s26, s27, 28
	s_add_u32 s2, s46, 0xc4
	s_addc_u32 s3, s47, 0
	s_mov_b32 s28, 0
	v_mov_b32_e32 v48, 0
	v_mov_b32_e32 v42, 0
	s_mov_b64 s[24:25], s[46:47]
	v_mov_b32_e32 v3, v0
.LBB11_603:                             ; =>This Inner Loop Header: Depth=1
	s_load_dwordx8 s[12:19], s[24:25], 0x4
	s_load_dwordx4 s[20:23], s[24:25], 0x24
	s_load_dwordx8 s[4:11], s[2:3], 0x0
	s_add_u32 s24, s24, 48
	s_addc_u32 s25, s25, 0
	s_waitcnt lgkmcnt(0)
	v_mul_hi_u32 v1, s13, v3
	v_add_u32_e32 v1, v3, v1
	v_lshrrev_b32_e32 v1, s14, v1
	v_mul_lo_u32 v4, v1, s12
	v_mul_hi_u32 v5, s16, v1
	v_sub_u32_e32 v3, v3, v4
	v_add_u32_e32 v4, v1, v5
	v_lshrrev_b32_e32 v4, s17, v4
	v_mul_lo_u32 v7, v4, s15
	v_mul_hi_u32 v8, s19, v4
	v_sub_u32_e32 v1, v1, v7
	v_add_u32_e32 v7, v4, v8
	v_mul_lo_u32 v5, v3, s5
	v_mul_lo_u32 v3, v3, s4
	;; [unrolled: 1-line block ×4, first 2 shown]
	v_lshrrev_b32_e32 v7, s20, v7
	v_add3_u32 v1, v3, v48, v1
	v_add3_u32 v5, v5, v42, v8
	v_mul_lo_u32 v3, v7, s18
	v_mul_hi_u32 v8, s22, v7
	v_sub_u32_e32 v3, v4, v3
	v_add_u32_e32 v4, v7, v8
	v_mul_lo_u32 v8, v3, s8
	v_mul_lo_u32 v9, v3, s9
	v_lshrrev_b32_e32 v3, s23, v4
	s_add_i32 s28, s28, 4
	v_mul_lo_u32 v4, v3, s21
	s_add_u32 s2, s2, 32
	v_sub_u32_e32 v4, v7, v4
	s_addc_u32 s3, s3, 0
	v_mul_lo_u32 v7, v4, s10
	v_mul_lo_u32 v4, v4, s11
	s_cmp_lg_u32 s26, s28
	v_add3_u32 v42, v9, v5, v4
	v_add3_u32 v48, v8, v1, v7
	s_cbranch_scc1 .LBB11_603
; %bb.604:
	v_mov_b32_e32 v1, v42
	s_and_b32 s6, s27, 3
	s_cmp_eq_u32 s6, 0
	s_cbranch_scc0 .LBB11_608
	s_branch .LBB11_610
.LBB11_605:
                                        ; implicit-def: $vgpr42
                                        ; implicit-def: $vgpr48
	s_branch .LBB11_611
.LBB11_606:
	v_mov_b32_e32 v42, 0
	v_mov_b32_e32 v48, 0
	s_branch .LBB11_610
.LBB11_607:
	v_mov_b32_e32 v48, 0
                                        ; implicit-def: $vgpr42
	v_mov_b32_e32 v1, v48
	v_mov_b32_e32 v3, v0
	s_and_b32 s6, s27, 3
	s_cmp_eq_u32 s6, 0
	s_cbranch_scc1 .LBB11_610
.LBB11_608:
	s_lshl_b32 s2, s26, 3
	s_add_u32 s2, s46, s2
	s_addc_u32 s3, s47, 0
	s_add_u32 s2, s2, 0xc4
	s_addc_u32 s3, s3, 0
	s_mul_i32 s4, s26, 12
	s_add_u32 s4, s46, s4
	s_addc_u32 s5, s47, 0
.LBB11_609:                             ; =>This Inner Loop Header: Depth=1
	s_load_dwordx2 s[8:9], s[4:5], 0x4
	s_load_dword s7, s[4:5], 0xc
	s_load_dwordx2 s[10:11], s[2:3], 0x0
	v_mov_b32_e32 v4, v1
	s_add_u32 s4, s4, 12
	s_waitcnt lgkmcnt(0)
	v_mul_hi_u32 v1, s9, v3
	v_add_u32_e32 v1, v3, v1
	v_lshrrev_b32_e32 v1, s7, v1
	s_addc_u32 s5, s5, 0
	v_mul_lo_u32 v5, v1, s8
	s_add_u32 s2, s2, 8
	v_sub_u32_e32 v5, v3, v5
	s_addc_u32 s3, s3, 0
	s_add_i32 s6, s6, -1
	v_mad_u64_u32 v[42:43], s[8:9], v5, s11, v[4:5]
	s_cmp_lg_u32 s6, 0
	v_mov_b32_e32 v3, v1
	v_mad_u64_u32 v[48:49], s[8:9], v5, s10, v[48:49]
	v_mov_b32_e32 v1, v42
	s_cbranch_scc1 .LBB11_609
.LBB11_610:
	s_cbranch_execnz .LBB11_613
.LBB11_611:
	s_load_dwordx4 s[4:7], s[46:47], 0x4
	s_load_dwordx2 s[2:3], s[46:47], 0xc4
	s_cmp_lt_u32 s33, 2
	s_waitcnt lgkmcnt(0)
	v_mul_hi_u32 v1, s5, v0
	v_add_u32_e32 v1, v0, v1
	v_lshrrev_b32_e32 v1, s6, v1
	v_mul_lo_u32 v3, v1, s4
	v_sub_u32_e32 v0, v0, v3
	v_mul_lo_u32 v42, v0, s3
	v_mul_lo_u32 v48, v0, s2
	s_cbranch_scc1 .LBB11_613
; %bb.612:
	s_load_dwordx4 s[4:7], s[46:47], 0x10
	s_load_dwordx2 s[2:3], s[46:47], 0xcc
	s_waitcnt lgkmcnt(0)
	v_mul_hi_u32 v0, s5, v1
	v_add_u32_e32 v0, v1, v0
	v_lshrrev_b32_e32 v0, s6, v0
	v_mul_lo_u32 v0, v0, s4
	v_sub_u32_e32 v0, v1, v0
	v_mad_u64_u32 v[48:49], s[4:5], v0, s2, v[48:49]
	v_mad_u64_u32 v[42:43], s[2:3], v0, s3, v[42:43]
.LBB11_613:
	s_and_b64 vcc, exec, s[0:1]
	s_cbranch_vccnz .LBB11_619
; %bb.614:
	s_cmp_lg_u32 s33, 0
	s_mov_b32 s24, 0
	s_cbranch_scc0 .LBB11_620
; %bb.615:
	s_min_u32 s25, s84, 15
	s_add_i32 s25, s25, 1
	s_cmp_eq_u32 s84, 2
	s_cbranch_scc1 .LBB11_621
; %bb.616:
	s_and_b32 s24, s25, 28
	s_add_u32 s20, s46, 0xc4
	s_addc_u32 s21, s47, 0
	s_mov_b32 s26, 0
	v_mov_b32_e32 v46, 0
	v_mov_b32_e32 v44, 0
	s_mov_b64 s[22:23], s[46:47]
	v_mov_b32_e32 v0, v6
.LBB11_617:                             ; =>This Inner Loop Header: Depth=1
	s_load_dwordx8 s[8:15], s[22:23], 0x4
	s_load_dwordx4 s[16:19], s[22:23], 0x24
	s_load_dwordx8 s[0:7], s[20:21], 0x0
	s_add_u32 s22, s22, 48
	s_addc_u32 s23, s23, 0
	s_waitcnt lgkmcnt(0)
	v_mul_hi_u32 v1, s9, v0
	v_add_u32_e32 v1, v0, v1
	v_lshrrev_b32_e32 v1, s10, v1
	v_mul_lo_u32 v3, v1, s8
	v_mul_hi_u32 v4, s12, v1
	v_sub_u32_e32 v0, v0, v3
	v_add_u32_e32 v3, v1, v4
	v_lshrrev_b32_e32 v3, s13, v3
	v_mul_lo_u32 v5, v3, s11
	v_mul_hi_u32 v7, s15, v3
	v_sub_u32_e32 v1, v1, v5
	v_add_u32_e32 v5, v3, v7
	v_mul_lo_u32 v4, v0, s1
	v_mul_lo_u32 v0, v0, s0
	;; [unrolled: 1-line block ×4, first 2 shown]
	v_lshrrev_b32_e32 v5, s16, v5
	v_add3_u32 v1, v0, v46, v1
	v_add3_u32 v4, v4, v44, v7
	v_mul_lo_u32 v0, v5, s14
	v_mul_hi_u32 v7, s18, v5
	v_sub_u32_e32 v0, v3, v0
	v_add_u32_e32 v3, v5, v7
	v_mul_lo_u32 v7, v0, s4
	v_mul_lo_u32 v8, v0, s5
	v_lshrrev_b32_e32 v0, s19, v3
	s_add_i32 s26, s26, 4
	v_mul_lo_u32 v3, v0, s17
	s_add_u32 s20, s20, 32
	v_sub_u32_e32 v3, v5, v3
	s_addc_u32 s21, s21, 0
	v_mul_lo_u32 v5, v3, s6
	v_mul_lo_u32 v3, v3, s7
	s_cmp_lg_u32 s24, s26
	v_add3_u32 v44, v8, v4, v3
	v_add3_u32 v46, v7, v1, v5
	s_cbranch_scc1 .LBB11_617
; %bb.618:
	v_mov_b32_e32 v1, v44
	s_and_b32 s4, s25, 3
	s_cmp_eq_u32 s4, 0
	s_cbranch_scc0 .LBB11_622
	s_branch .LBB11_624
.LBB11_619:
                                        ; implicit-def: $vgpr44
                                        ; implicit-def: $vgpr46
	s_branch .LBB11_625
.LBB11_620:
	v_mov_b32_e32 v44, 0
	v_mov_b32_e32 v46, 0
	s_branch .LBB11_624
.LBB11_621:
	v_mov_b32_e32 v46, 0
                                        ; implicit-def: $vgpr44
	v_mov_b32_e32 v1, v46
	v_mov_b32_e32 v0, v6
	s_and_b32 s4, s25, 3
	s_cmp_eq_u32 s4, 0
	s_cbranch_scc1 .LBB11_624
.LBB11_622:
	s_lshl_b32 s0, s24, 3
	s_add_u32 s0, s46, s0
	s_addc_u32 s1, s47, 0
	s_add_u32 s0, s0, 0xc4
	s_addc_u32 s1, s1, 0
	s_mul_i32 s2, s24, 12
	s_add_u32 s2, s46, s2
	s_addc_u32 s3, s47, 0
.LBB11_623:                             ; =>This Inner Loop Header: Depth=1
	s_load_dwordx2 s[6:7], s[2:3], 0x4
	s_load_dword s5, s[2:3], 0xc
	s_load_dwordx2 s[8:9], s[0:1], 0x0
	v_mov_b32_e32 v4, v1
	s_add_u32 s2, s2, 12
	s_waitcnt lgkmcnt(0)
	v_mul_hi_u32 v1, s7, v0
	v_add_u32_e32 v1, v0, v1
	v_lshrrev_b32_e32 v1, s5, v1
	s_addc_u32 s3, s3, 0
	v_mul_lo_u32 v3, v1, s6
	s_add_u32 s0, s0, 8
	v_sub_u32_e32 v3, v0, v3
	s_addc_u32 s1, s1, 0
	s_add_i32 s4, s4, -1
	v_mad_u64_u32 v[44:45], s[6:7], v3, s9, v[4:5]
	s_cmp_lg_u32 s4, 0
	v_mov_b32_e32 v0, v1
	v_mad_u64_u32 v[46:47], s[6:7], v3, s8, v[46:47]
	v_mov_b32_e32 v1, v44
	s_cbranch_scc1 .LBB11_623
.LBB11_624:
	s_cbranch_execnz .LBB11_627
.LBB11_625:
	s_load_dwordx4 s[0:3], s[46:47], 0x4
	s_load_dwordx2 s[4:5], s[46:47], 0xc4
	s_cmp_lt_u32 s33, 2
	s_waitcnt lgkmcnt(0)
	v_mul_hi_u32 v0, s1, v6
	v_add_u32_e32 v0, v6, v0
	v_lshrrev_b32_e32 v0, s2, v0
	v_mul_lo_u32 v1, v0, s0
	v_sub_u32_e32 v1, v6, v1
	v_mul_lo_u32 v44, v1, s5
	v_mul_lo_u32 v46, v1, s4
	s_cbranch_scc1 .LBB11_627
; %bb.626:
	s_load_dwordx4 s[0:3], s[46:47], 0x10
	s_load_dwordx2 s[4:5], s[46:47], 0xcc
	s_waitcnt lgkmcnt(0)
	v_mul_hi_u32 v1, s1, v0
	v_add_u32_e32 v1, v0, v1
	v_lshrrev_b32_e32 v1, s2, v1
	v_mul_lo_u32 v1, v1, s0
	v_sub_u32_e32 v0, v0, v1
	v_mad_u64_u32 v[46:47], s[0:1], v0, s4, v[46:47]
	v_mad_u64_u32 v[44:45], s[0:1], v0, s5, v[44:45]
.LBB11_627:
	s_load_dword s33, s[34:35], 0x160
	s_load_dwordx4 s[36:39], s[46:47], 0x148
	s_getpc_b64 s[34:35]
	s_add_u32 s34, s34, _ZN2at6native6invokeIZZZNS0_12_GLOBAL__N_119airy_ai_kernel_cudaERNS_18TensorIteratorBaseEENKUlvE_clEvENKUlvE_clEvEUldE_j15function_traitsIS7_EEENT1_11result_typeERKT_PrKPcPKT0_PKN3c1010ScalarTypeEi@rel32@lo+4
	s_addc_u32 s35, s35, _ZN2at6native6invokeIZZZNS0_12_GLOBAL__N_119airy_ai_kernel_cudaERNS_18TensorIteratorBaseEENKUlvE_clEvENKUlvE_clEvEUldE_j15function_traitsIS7_EEENT1_11result_typeERKT_PrKPcPKT0_PKN3c1010ScalarTypeEi@rel32@hi+12
	s_waitcnt lgkmcnt(0)
	s_lshr_b32 s46, s33, 16
	v_mov_b32_e32 v0, s38
	v_mov_b32_e32 v1, s39
	v_mov_b32_e32 v3, s46
	s_swappc_b64 s[30:31], s[34:35]
	v_mov_b32_e32 v40, v0
	v_mov_b32_e32 v41, v1
	v_mov_b32_e32 v0, s38
	v_mov_b32_e32 v1, s39
	v_mov_b32_e32 v2, v36
	v_mov_b32_e32 v3, s46
	s_swappc_b64 s[30:31], s[34:35]
	v_mov_b32_e32 v38, v0
	v_mov_b32_e32 v39, v1
	v_mov_b32_e32 v0, s38
	;; [unrolled: 7-line block ×3, first 2 shown]
	v_mov_b32_e32 v1, s39
	v_mov_b32_e32 v2, v44
	;; [unrolled: 1-line block ×3, first 2 shown]
	s_swappc_b64 s[30:31], s[34:35]
	v_mov_b32_e32 v53, 0
	s_bfe_u32 s10, s33, 0x80008
	s_cmp_lt_i32 s10, 11
	v_lshl_add_u64 v[2:3], s[36:37], 0, v[52:53]
	s_cbranch_scc1 .LBB11_706
; %bb.628:
	s_and_b32 s11, 0xffff, s10
	s_mov_b64 s[2:3], -1
	s_mov_b64 s[4:5], 0
	s_cmp_gt_i32 s11, 25
	s_mov_b64 s[6:7], 0
	s_mov_b64 s[0:1], 0
	s_cbranch_scc0 .LBB11_661
; %bb.629:
	s_cmp_gt_i32 s11, 28
	s_cbranch_scc0 .LBB11_644
; %bb.630:
	s_cmp_gt_i32 s11, 43
	;; [unrolled: 3-line block ×3, first 2 shown]
	s_cbranch_scc0 .LBB11_634
; %bb.632:
	s_mov_b64 s[0:1], -1
	s_mov_b64 s[2:3], 0
	s_cmp_eq_u32 s11, 46
	s_cbranch_scc0 .LBB11_634
; %bb.633:
	v_cvt_f32_f64_e32 v4, v[40:41]
	v_bfe_u32 v5, v4, 16, 1
	s_movk_i32 s0, 0x7fff
	v_add3_u32 v5, v4, v5, s0
	v_cmp_o_f32_e32 vcc, v4, v4
	v_mov_b32_e32 v4, 0x7fc0
	s_mov_b64 s[0:1], 0
	v_cndmask_b32_sdwa v4, v4, v5, vcc dst_sel:DWORD dst_unused:UNUSED_PAD src0_sel:DWORD src1_sel:WORD_1
	global_store_dword v[2:3], v4, off
	s_mov_b64 s[6:7], -1
.LBB11_634:
	s_and_b64 vcc, exec, s[2:3]
	s_cbranch_vccz .LBB11_639
; %bb.635:
	s_cmp_eq_u32 s11, 44
	s_mov_b64 s[0:1], -1
	s_cbranch_scc0 .LBB11_639
; %bb.636:
	v_cvt_f32_f64_e32 v4, v[40:41]
	v_bfe_u32 v5, v4, 23, 8
	s_movk_i32 s0, 0xff
	v_cmp_ne_u32_e32 vcc, s0, v5
	v_mov_b32_e32 v6, 0xff
	s_and_saveexec_b64 s[2:3], vcc
; %bb.637:
	s_mov_b32 s0, 0x3fffff
	v_lshrrev_b32_e32 v6, 23, v4
	v_and_b32_e32 v7, 0x400000, v4
	v_and_or_b32 v4, v4, s0, v5
	v_cmp_ne_u32_e32 vcc, 0, v7
	v_cmp_ne_u32_e64 s[0:1], 0, v4
	s_and_b64 s[0:1], vcc, s[0:1]
	s_nop 0
	v_cndmask_b32_e64 v4, 0, 1, s[0:1]
	v_add_u32_e32 v6, v6, v4
; %bb.638:
	s_or_b64 exec, exec, s[2:3]
	s_mov_b64 s[0:1], 0
	s_mov_b64 s[6:7], -1
	global_store_byte v[2:3], v6, off
.LBB11_639:
	s_mov_b64 s[2:3], 0
.LBB11_640:
	s_and_b64 vcc, exec, s[2:3]
	s_cbranch_vccz .LBB11_643
; %bb.641:
	s_cmp_eq_u32 s11, 29
	s_mov_b64 s[0:1], -1
	s_cbranch_scc0 .LBB11_643
; %bb.642:
	v_trunc_f64_e32 v[4:5], v[40:41]
	s_movk_i32 s0, 0xffe0
	v_ldexp_f64 v[6:7], v[4:5], s0
	v_floor_f64_e32 v[6:7], v[6:7]
	v_fmac_f64_e32 v[4:5], 0xc1f00000, v[6:7]
	v_cvt_u32_f64_e32 v9, v[6:7]
	v_cvt_u32_f64_e32 v8, v[4:5]
	global_store_dwordx2 v[2:3], v[8:9], off
	s_mov_b64 s[0:1], 0
	s_mov_b64 s[6:7], -1
.LBB11_643:
	s_mov_b64 s[2:3], 0
.LBB11_644:
	s_and_b64 vcc, exec, s[2:3]
	s_cbranch_vccz .LBB11_660
; %bb.645:
	s_cmp_lt_i32 s11, 27
	s_mov_b64 s[2:3], -1
	s_cbranch_scc1 .LBB11_651
; %bb.646:
	s_cmp_gt_i32 s11, 27
	s_cbranch_scc0 .LBB11_648
; %bb.647:
	v_cvt_u32_f64_e32 v4, v[40:41]
	s_mov_b64 s[2:3], 0
	global_store_dword v[2:3], v4, off
.LBB11_648:
	s_andn2_b64 vcc, exec, s[2:3]
	s_cbranch_vccnz .LBB11_650
; %bb.649:
	v_cvt_u32_f64_e32 v4, v[40:41]
	global_store_short v[2:3], v4, off
.LBB11_650:
	s_mov_b64 s[2:3], 0
.LBB11_651:
	s_andn2_b64 vcc, exec, s[2:3]
	s_cbranch_vccnz .LBB11_659
; %bb.652:
	v_cvt_f32_f64_e32 v4, v[40:41]
	v_and_b32_e32 v5, 0x7fffffff, v4
	s_mov_b32 s2, 0x43800000
	v_cmp_gt_u32_e32 vcc, s2, v5
	v_mov_b32_e32 v6, 0x80
	s_and_saveexec_b64 s[2:3], vcc
	s_cbranch_execz .LBB11_658
; %bb.653:
	s_mov_b32 s6, 0x3bffffff
	v_cmp_lt_u32_e32 vcc, s6, v5
	s_mov_b64 s[6:7], 0
                                        ; implicit-def: $vgpr5
	s_and_saveexec_b64 s[8:9], vcc
	s_xor_b64 s[8:9], exec, s[8:9]
	s_cbranch_execz .LBB11_1103
; %bb.654:
	v_bfe_u32 v5, v4, 20, 1
	s_mov_b32 s12, 0x487ffff
	v_add3_u32 v5, v4, v5, s12
	s_mov_b64 s[6:7], exec
	v_lshrrev_b32_e32 v5, 20, v5
	s_andn2_saveexec_b64 s[8:9], s[8:9]
	s_cbranch_execnz .LBB11_1104
.LBB11_655:
	s_or_b64 exec, exec, s[8:9]
	v_mov_b32_e32 v6, 0
	s_and_saveexec_b64 s[8:9], s[6:7]
.LBB11_656:
	v_lshrrev_b32_e32 v4, 24, v4
	s_movk_i32 s6, 0x80
	v_and_or_b32 v6, v4, s6, v5
.LBB11_657:
	s_or_b64 exec, exec, s[8:9]
.LBB11_658:
	s_or_b64 exec, exec, s[2:3]
	global_store_byte v[2:3], v6, off
.LBB11_659:
	s_mov_b64 s[6:7], -1
.LBB11_660:
	s_mov_b64 s[2:3], 0
.LBB11_661:
	s_and_b64 vcc, exec, s[2:3]
	s_cbranch_vccz .LBB11_701
; %bb.662:
	s_cmp_gt_i32 s11, 22
	s_mov_b64 s[2:3], -1
	s_cbranch_scc0 .LBB11_694
; %bb.663:
	s_cmp_lt_i32 s11, 24
	s_cbranch_scc1 .LBB11_683
; %bb.664:
	s_cmp_gt_i32 s11, 24
	s_cbranch_scc0 .LBB11_672
; %bb.665:
	v_cvt_f32_f64_e32 v4, v[40:41]
	v_and_b32_e32 v5, 0x7fffffff, v4
	s_mov_b32 s2, 0x47800000
	v_cmp_gt_u32_e32 vcc, s2, v5
	v_mov_b32_e32 v6, 0x80
	s_and_saveexec_b64 s[2:3], vcc
	s_cbranch_execz .LBB11_671
; %bb.666:
	s_mov_b32 s4, 0x37ffffff
	v_cmp_lt_u32_e32 vcc, s4, v5
	s_mov_b64 s[4:5], 0
                                        ; implicit-def: $vgpr5
	s_and_saveexec_b64 s[6:7], vcc
	s_xor_b64 s[6:7], exec, s[6:7]
	s_cbranch_execz .LBB11_1106
; %bb.667:
	v_bfe_u32 v5, v4, 21, 1
	s_mov_b32 s8, 0x88fffff
	v_add3_u32 v5, v4, v5, s8
	s_mov_b64 s[4:5], exec
	v_lshrrev_b32_e32 v5, 21, v5
	s_andn2_saveexec_b64 s[6:7], s[6:7]
	s_cbranch_execnz .LBB11_1107
.LBB11_668:
	s_or_b64 exec, exec, s[6:7]
	v_mov_b32_e32 v6, 0
	s_and_saveexec_b64 s[6:7], s[4:5]
.LBB11_669:
	v_lshrrev_b32_e32 v4, 24, v4
	s_movk_i32 s4, 0x80
	v_and_or_b32 v6, v4, s4, v5
.LBB11_670:
	s_or_b64 exec, exec, s[6:7]
.LBB11_671:
	s_or_b64 exec, exec, s[2:3]
	s_mov_b64 s[2:3], 0
	global_store_byte v[2:3], v6, off
.LBB11_672:
	s_and_b64 vcc, exec, s[2:3]
	s_cbranch_vccz .LBB11_682
; %bb.673:
	v_cvt_f32_f64_e32 v4, v[40:41]
	v_and_b32_e32 v6, 0x7fffffff, v4
	s_mov_b32 s2, 0x43f00000
	v_cmp_gt_u32_e32 vcc, s2, v6
                                        ; implicit-def: $vgpr5
	s_and_saveexec_b64 s[2:3], vcc
	s_xor_b64 s[2:3], exec, s[2:3]
	s_cbranch_execz .LBB11_679
; %bb.674:
	s_mov_b32 s4, 0x3c7fffff
	v_cmp_lt_u32_e32 vcc, s4, v6
                                        ; implicit-def: $vgpr5
	s_and_saveexec_b64 s[4:5], vcc
	s_xor_b64 s[4:5], exec, s[4:5]
; %bb.675:
	v_bfe_u32 v5, v4, 20, 1
	s_mov_b32 s6, 0x407ffff
	v_add3_u32 v5, v4, v5, s6
	v_lshrrev_b32_e32 v6, 20, v5
	v_and_b32_e32 v5, 0xff00000, v5
	s_mov_b32 s6, 0x7f00000
	v_mov_b32_e32 v7, 0x7e
	v_cmp_ne_u32_e32 vcc, s6, v5
	s_nop 1
	v_cndmask_b32_e32 v5, v7, v6, vcc
; %bb.676:
	s_andn2_saveexec_b64 s[4:5], s[4:5]
; %bb.677:
	s_mov_b32 s6, 0x46800000
	v_add_f32_e64 v5, |v4|, s6
; %bb.678:
	s_or_b64 exec, exec, s[4:5]
                                        ; implicit-def: $vgpr6
.LBB11_679:
	s_andn2_saveexec_b64 s[2:3], s[2:3]
; %bb.680:
	s_mov_b32 s4, 0x7f800000
	v_mov_b32_e32 v5, 0x7e
	v_mov_b32_e32 v7, 0x7f
	v_cmp_lt_u32_e32 vcc, s4, v6
	s_nop 1
	v_cndmask_b32_e32 v5, v5, v7, vcc
; %bb.681:
	s_or_b64 exec, exec, s[2:3]
	v_lshrrev_b32_e32 v4, 24, v4
	s_movk_i32 s2, 0x80
	v_and_or_b32 v4, v4, s2, v5
	global_store_byte v[2:3], v4, off
.LBB11_682:
	s_mov_b64 s[2:3], 0
.LBB11_683:
	s_andn2_b64 vcc, exec, s[2:3]
	s_cbranch_vccnz .LBB11_693
; %bb.684:
	v_cvt_f32_f64_e32 v4, v[40:41]
	v_and_b32_e32 v6, 0x7fffffff, v4
	s_mov_b32 s2, 0x47800000
	v_cmp_gt_u32_e32 vcc, s2, v6
                                        ; implicit-def: $vgpr5
	s_and_saveexec_b64 s[2:3], vcc
	s_xor_b64 s[2:3], exec, s[2:3]
	s_cbranch_execz .LBB11_690
; %bb.685:
	s_mov_b32 s4, 0x387fffff
	v_cmp_lt_u32_e32 vcc, s4, v6
                                        ; implicit-def: $vgpr5
	s_and_saveexec_b64 s[4:5], vcc
	s_xor_b64 s[4:5], exec, s[4:5]
; %bb.686:
	v_bfe_u32 v5, v4, 21, 1
	s_mov_b32 s6, 0x80fffff
	v_add3_u32 v5, v4, v5, s6
	v_lshrrev_b32_e32 v5, 21, v5
; %bb.687:
	s_andn2_saveexec_b64 s[4:5], s[4:5]
; %bb.688:
	s_mov_b32 s6, 0x43000000
	v_add_f32_e64 v5, |v4|, s6
; %bb.689:
	s_or_b64 exec, exec, s[4:5]
                                        ; implicit-def: $vgpr6
.LBB11_690:
	s_andn2_saveexec_b64 s[2:3], s[2:3]
; %bb.691:
	s_mov_b32 s4, 0x7f800000
	v_mov_b32_e32 v5, 0x7c
	v_mov_b32_e32 v7, 0x7f
	v_cmp_lt_u32_e32 vcc, s4, v6
	s_nop 1
	v_cndmask_b32_e32 v5, v5, v7, vcc
; %bb.692:
	s_or_b64 exec, exec, s[2:3]
	v_lshrrev_b32_e32 v4, 24, v4
	s_movk_i32 s2, 0x80
	v_and_or_b32 v4, v4, s2, v5
	global_store_byte v[2:3], v4, off
.LBB11_693:
	s_mov_b64 s[2:3], 0
	s_mov_b64 s[6:7], -1
.LBB11_694:
	s_andn2_b64 vcc, exec, s[2:3]
	s_mov_b64 s[4:5], 0
	s_cbranch_vccnz .LBB11_701
; %bb.695:
	s_cmp_gt_i32 s11, 14
	s_mov_b64 s[2:3], -1
	s_cbranch_scc0 .LBB11_699
; %bb.696:
	s_cmp_eq_u32 s11, 15
	s_mov_b64 s[0:1], -1
	s_cbranch_scc0 .LBB11_698
; %bb.697:
	v_cvt_f32_f64_e32 v4, v[40:41]
	v_bfe_u32 v5, v4, 16, 1
	s_movk_i32 s0, 0x7fff
	v_add3_u32 v5, v4, v5, s0
	v_cmp_o_f32_e32 vcc, v4, v4
	v_mov_b32_e32 v4, 0x7fc0
	s_mov_b64 s[0:1], 0
	v_cndmask_b32_sdwa v4, v4, v5, vcc dst_sel:DWORD dst_unused:UNUSED_PAD src0_sel:DWORD src1_sel:WORD_1
	global_store_short v[2:3], v4, off
	s_mov_b64 s[6:7], -1
.LBB11_698:
	s_mov_b64 s[2:3], 0
.LBB11_699:
	s_and_b64 vcc, exec, s[2:3]
	s_cbranch_vccz .LBB11_701
; %bb.700:
	s_cmp_lg_u32 s11, 11
	s_mov_b64 s[4:5], -1
	s_cselect_b64 s[0:1], -1, 0
.LBB11_701:
	s_and_b64 vcc, exec, s[0:1]
	s_mov_b64 s[2:3], s[48:49]
	s_cbranch_vccnz .LBB11_1105
; %bb.702:
	s_andn2_b64 vcc, exec, s[4:5]
	s_cbranch_vccnz .LBB11_704
.LBB11_703:
	v_cmp_neq_f64_e32 vcc, 0, v[40:41]
	s_mov_b64 s[6:7], -1
	s_nop 0
	v_cndmask_b32_e64 v4, 0, 1, vcc
	global_store_byte v[2:3], v4, off
.LBB11_704:
.LBB11_705:
	s_andn2_b64 vcc, exec, s[6:7]
	s_cbranch_vccz .LBB11_745
	s_branch .LBB11_1057
.LBB11_706:
	s_mov_b64 s[6:7], 0
	s_mov_b64 s[2:3], s[48:49]
	s_cbranch_execz .LBB11_705
; %bb.707:
	s_and_b32 s4, 0xffff, s10
	s_cmp_lt_i32 s4, 5
	s_mov_b64 s[0:1], -1
	s_cbranch_scc1 .LBB11_728
; %bb.708:
	s_cmp_lt_i32 s4, 8
	s_cbranch_scc1 .LBB11_718
; %bb.709:
	s_cmp_lt_i32 s4, 9
	s_cbranch_scc1 .LBB11_715
; %bb.710:
	s_cmp_gt_i32 s4, 9
	s_cbranch_scc0 .LBB11_712
; %bb.711:
	v_mov_b32_e32 v42, 0
	v_mov_b32_e32 v43, v42
	global_store_dwordx4 v[2:3], v[40:43], off
	s_mov_b64 s[0:1], 0
.LBB11_712:
	s_andn2_b64 vcc, exec, s[0:1]
	s_cbranch_vccnz .LBB11_714
; %bb.713:
	v_cvt_f32_f64_e32 v4, v[40:41]
	v_mov_b32_e32 v5, 0
	global_store_dwordx2 v[2:3], v[4:5], off
.LBB11_714:
	s_mov_b64 s[0:1], 0
.LBB11_715:
	s_andn2_b64 vcc, exec, s[0:1]
	s_cbranch_vccnz .LBB11_717
; %bb.716:
	s_movk_i32 s0, 0x1ff
	v_and_or_b32 v4, v41, s0, v40
	v_cmp_ne_u32_e32 vcc, 0, v4
	v_lshrrev_b32_e32 v5, 8, v41
	s_movk_i32 s0, 0xffe
	v_cndmask_b32_e64 v4, 0, 1, vcc
	v_bfe_u32 v6, v41, 20, 11
	v_and_or_b32 v4, v5, s0, v4
	v_sub_u32_e32 v7, 0x3f1, v6
	v_or_b32_e32 v5, 0x1000, v4
	v_med3_i32 v7, v7, 0, 13
	v_lshrrev_b32_e32 v8, v7, v5
	v_lshlrev_b32_e32 v7, v7, v8
	v_cmp_ne_u32_e32 vcc, v7, v5
	v_add_u32_e32 v6, 0xfffffc10, v6
	v_lshl_or_b32 v7, v6, 12, v4
	v_cndmask_b32_e64 v5, 0, 1, vcc
	v_or_b32_e32 v5, v8, v5
	v_cmp_gt_i32_e32 vcc, 1, v6
	s_movk_i32 s0, 0x40f
	s_nop 0
	v_cndmask_b32_e32 v5, v7, v5, vcc
	v_and_b32_e32 v7, 7, v5
	v_cmp_lt_i32_e32 vcc, 5, v7
	v_lshrrev_b32_e32 v5, 2, v5
	s_nop 0
	v_cndmask_b32_e64 v8, 0, 1, vcc
	v_cmp_eq_u32_e32 vcc, 3, v7
	s_nop 1
	v_cndmask_b32_e64 v7, 0, 1, vcc
	v_or_b32_e32 v7, v7, v8
	v_add_u32_e32 v5, v5, v7
	v_mov_b32_e32 v7, 0x7c00
	v_cmp_gt_i32_e32 vcc, 31, v6
	v_mov_b32_e32 v8, 0x7e00
	s_nop 0
	v_cndmask_b32_e32 v5, v7, v5, vcc
	v_cmp_ne_u32_e32 vcc, 0, v4
	s_nop 1
	v_cndmask_b32_e32 v4, v7, v8, vcc
	v_cmp_eq_u32_e32 vcc, s0, v6
	s_mov_b32 s0, 0x8000
	s_nop 0
	v_cndmask_b32_e32 v4, v5, v4, vcc
	v_and_b32_sdwa v5, v41, s0 dst_sel:DWORD dst_unused:UNUSED_PAD src0_sel:WORD_1 src1_sel:DWORD
	s_mov_b32 s0, 0xffff
	v_bitop3_b32 v4, v5, s0, v4 bitop3:0xc8
	global_store_dword v[2:3], v4, off
.LBB11_717:
	s_mov_b64 s[0:1], 0
.LBB11_718:
	s_andn2_b64 vcc, exec, s[0:1]
	s_cbranch_vccnz .LBB11_727
; %bb.719:
	s_cmp_lt_i32 s4, 6
	s_mov_b64 s[0:1], -1
	s_cbranch_scc1 .LBB11_725
; %bb.720:
	s_cmp_gt_i32 s4, 6
	s_cbranch_scc0 .LBB11_722
; %bb.721:
	global_store_dwordx2 v[2:3], v[40:41], off
	s_mov_b64 s[0:1], 0
.LBB11_722:
	s_andn2_b64 vcc, exec, s[0:1]
	s_cbranch_vccnz .LBB11_724
; %bb.723:
	v_cvt_f32_f64_e32 v4, v[40:41]
	global_store_dword v[2:3], v4, off
.LBB11_724:
	s_mov_b64 s[0:1], 0
.LBB11_725:
	s_andn2_b64 vcc, exec, s[0:1]
	s_cbranch_vccnz .LBB11_727
; %bb.726:
	s_movk_i32 s0, 0x1ff
	v_and_or_b32 v4, v41, s0, v40
	v_cmp_ne_u32_e32 vcc, 0, v4
	v_lshrrev_b32_e32 v5, 8, v41
	s_movk_i32 s0, 0xffe
	v_cndmask_b32_e64 v4, 0, 1, vcc
	v_bfe_u32 v6, v41, 20, 11
	v_and_or_b32 v4, v5, s0, v4
	v_sub_u32_e32 v7, 0x3f1, v6
	v_or_b32_e32 v5, 0x1000, v4
	v_med3_i32 v7, v7, 0, 13
	v_lshrrev_b32_e32 v8, v7, v5
	v_lshlrev_b32_e32 v7, v7, v8
	v_cmp_ne_u32_e32 vcc, v7, v5
	v_add_u32_e32 v6, 0xfffffc10, v6
	v_lshl_or_b32 v7, v6, 12, v4
	v_cndmask_b32_e64 v5, 0, 1, vcc
	v_or_b32_e32 v5, v8, v5
	v_cmp_gt_i32_e32 vcc, 1, v6
	s_movk_i32 s0, 0x40f
	s_nop 0
	v_cndmask_b32_e32 v5, v7, v5, vcc
	v_and_b32_e32 v7, 7, v5
	v_cmp_lt_i32_e32 vcc, 5, v7
	v_lshrrev_b32_e32 v5, 2, v5
	s_nop 0
	v_cndmask_b32_e64 v8, 0, 1, vcc
	v_cmp_eq_u32_e32 vcc, 3, v7
	s_nop 1
	v_cndmask_b32_e64 v7, 0, 1, vcc
	v_or_b32_e32 v7, v7, v8
	v_add_u32_e32 v5, v5, v7
	v_mov_b32_e32 v7, 0x7c00
	v_cmp_gt_i32_e32 vcc, 31, v6
	v_mov_b32_e32 v8, 0x7e00
	s_nop 0
	v_cndmask_b32_e32 v5, v7, v5, vcc
	v_cmp_ne_u32_e32 vcc, 0, v4
	s_nop 1
	v_cndmask_b32_e32 v4, v7, v8, vcc
	v_cmp_eq_u32_e32 vcc, s0, v6
	s_mov_b32 s0, 0x8000
	s_nop 0
	v_cndmask_b32_e32 v4, v5, v4, vcc
	v_lshrrev_b32_e32 v5, 16, v41
	v_and_or_b32 v4, v5, s0, v4
	global_store_short v[2:3], v4, off
.LBB11_727:
	s_mov_b64 s[0:1], 0
.LBB11_728:
	s_andn2_b64 vcc, exec, s[0:1]
	s_cbranch_vccnz .LBB11_744
; %bb.729:
	s_cmp_lt_i32 s4, 2
	s_mov_b64 s[0:1], -1
	s_cbranch_scc1 .LBB11_739
; %bb.730:
	s_cmp_lt_i32 s4, 3
	s_cbranch_scc1 .LBB11_736
; %bb.731:
	s_cmp_gt_i32 s4, 3
	s_cbranch_scc0 .LBB11_733
; %bb.732:
	v_trunc_f64_e32 v[4:5], v[40:41]
	s_movk_i32 s0, 0xffe0
	v_ldexp_f64 v[6:7], v[4:5], s0
	v_floor_f64_e32 v[6:7], v[6:7]
	v_fmac_f64_e32 v[4:5], 0xc1f00000, v[6:7]
	v_cvt_i32_f64_e32 v9, v[6:7]
	v_cvt_u32_f64_e32 v8, v[4:5]
	global_store_dwordx2 v[2:3], v[8:9], off
	s_mov_b64 s[0:1], 0
.LBB11_733:
	s_andn2_b64 vcc, exec, s[0:1]
	s_cbranch_vccnz .LBB11_735
; %bb.734:
	v_cvt_i32_f64_e32 v4, v[40:41]
	global_store_dword v[2:3], v4, off
.LBB11_735:
	s_mov_b64 s[0:1], 0
.LBB11_736:
	s_andn2_b64 vcc, exec, s[0:1]
	s_cbranch_vccnz .LBB11_738
; %bb.737:
	v_cvt_i32_f64_e32 v4, v[40:41]
	global_store_short v[2:3], v4, off
.LBB11_738:
	s_mov_b64 s[0:1], 0
.LBB11_739:
	s_andn2_b64 vcc, exec, s[0:1]
	s_cbranch_vccnz .LBB11_744
; %bb.740:
	s_cmp_gt_i32 s4, 0
	s_mov_b64 s[0:1], -1
	s_cbranch_scc0 .LBB11_742
; %bb.741:
	v_cvt_i32_f64_e32 v4, v[40:41]
	global_store_byte v[2:3], v4, off
	s_mov_b64 s[0:1], 0
.LBB11_742:
	s_andn2_b64 vcc, exec, s[0:1]
	s_cbranch_vccnz .LBB11_744
; %bb.743:
	v_trunc_f64_e32 v[4:5], v[40:41]
	s_movk_i32 s0, 0xffe0
	v_ldexp_f64 v[6:7], v[4:5], s0
	v_floor_f64_e32 v[6:7], v[6:7]
	v_fmac_f64_e32 v[4:5], 0xc1f00000, v[6:7]
	v_cvt_u32_f64_e32 v4, v[4:5]
	global_store_byte v[2:3], v4, off
.LBB11_744:
.LBB11_745:
	s_lshr_b32 s0, s33, 8
	v_mov_b32_e32 v51, 0
	s_and_b32 s12, s0, 0xff
	s_cmp_lt_i32 s12, 11
	v_lshl_add_u64 v[2:3], s[36:37], 0, v[50:51]
	s_cbranch_scc1 .LBB11_824
; %bb.746:
	s_and_b32 s13, 0xffff, s12
	s_mov_b64 s[8:9], -1
	s_mov_b64 s[4:5], 0
	s_cmp_gt_i32 s13, 25
	s_mov_b64 s[6:7], 0
	s_mov_b64 s[0:1], 0
	s_cbranch_scc0 .LBB11_779
; %bb.747:
	s_cmp_gt_i32 s13, 28
	s_cbranch_scc0 .LBB11_762
; %bb.748:
	s_cmp_gt_i32 s13, 43
	;; [unrolled: 3-line block ×3, first 2 shown]
	s_cbranch_scc0 .LBB11_752
; %bb.750:
	s_mov_b64 s[0:1], -1
	s_mov_b64 s[8:9], 0
	s_cmp_eq_u32 s13, 46
	s_cbranch_scc0 .LBB11_752
; %bb.751:
	v_cvt_f32_f64_e32 v4, v[38:39]
	v_bfe_u32 v5, v4, 16, 1
	s_movk_i32 s0, 0x7fff
	v_add3_u32 v5, v4, v5, s0
	v_cmp_o_f32_e32 vcc, v4, v4
	v_mov_b32_e32 v4, 0x7fc0
	s_mov_b64 s[0:1], 0
	v_cndmask_b32_sdwa v4, v4, v5, vcc dst_sel:DWORD dst_unused:UNUSED_PAD src0_sel:DWORD src1_sel:WORD_1
	global_store_dword v[2:3], v4, off
	s_mov_b64 s[6:7], -1
.LBB11_752:
	s_and_b64 vcc, exec, s[8:9]
	s_cbranch_vccz .LBB11_757
; %bb.753:
	s_cmp_eq_u32 s13, 44
	s_mov_b64 s[0:1], -1
	s_cbranch_scc0 .LBB11_757
; %bb.754:
	v_cvt_f32_f64_e32 v4, v[38:39]
	v_bfe_u32 v5, v4, 23, 8
	s_movk_i32 s0, 0xff
	v_cmp_ne_u32_e32 vcc, s0, v5
	v_mov_b32_e32 v6, 0xff
	s_and_saveexec_b64 s[6:7], vcc
; %bb.755:
	s_mov_b32 s0, 0x3fffff
	v_lshrrev_b32_e32 v6, 23, v4
	v_and_b32_e32 v7, 0x400000, v4
	v_and_or_b32 v4, v4, s0, v5
	v_cmp_ne_u32_e32 vcc, 0, v7
	v_cmp_ne_u32_e64 s[0:1], 0, v4
	s_and_b64 s[0:1], vcc, s[0:1]
	s_nop 0
	v_cndmask_b32_e64 v4, 0, 1, s[0:1]
	v_add_u32_e32 v6, v6, v4
; %bb.756:
	s_or_b64 exec, exec, s[6:7]
	s_mov_b64 s[0:1], 0
	s_mov_b64 s[6:7], -1
	global_store_byte v[2:3], v6, off
.LBB11_757:
	s_mov_b64 s[8:9], 0
.LBB11_758:
	s_and_b64 vcc, exec, s[8:9]
	s_cbranch_vccz .LBB11_761
; %bb.759:
	s_cmp_eq_u32 s13, 29
	s_mov_b64 s[0:1], -1
	s_cbranch_scc0 .LBB11_761
; %bb.760:
	v_trunc_f64_e32 v[4:5], v[38:39]
	s_movk_i32 s0, 0xffe0
	v_ldexp_f64 v[6:7], v[4:5], s0
	v_floor_f64_e32 v[6:7], v[6:7]
	v_fmac_f64_e32 v[4:5], 0xc1f00000, v[6:7]
	v_cvt_u32_f64_e32 v9, v[6:7]
	v_cvt_u32_f64_e32 v8, v[4:5]
	global_store_dwordx2 v[2:3], v[8:9], off
	s_mov_b64 s[0:1], 0
	s_mov_b64 s[6:7], -1
.LBB11_761:
	s_mov_b64 s[8:9], 0
.LBB11_762:
	s_and_b64 vcc, exec, s[8:9]
	s_cbranch_vccz .LBB11_778
; %bb.763:
	s_cmp_lt_i32 s13, 27
	s_mov_b64 s[6:7], -1
	s_cbranch_scc1 .LBB11_769
; %bb.764:
	s_cmp_gt_i32 s13, 27
	s_cbranch_scc0 .LBB11_766
; %bb.765:
	v_cvt_u32_f64_e32 v4, v[38:39]
	s_mov_b64 s[6:7], 0
	global_store_dword v[2:3], v4, off
.LBB11_766:
	s_andn2_b64 vcc, exec, s[6:7]
	s_cbranch_vccnz .LBB11_768
; %bb.767:
	v_cvt_u32_f64_e32 v4, v[38:39]
	global_store_short v[2:3], v4, off
.LBB11_768:
	s_mov_b64 s[6:7], 0
.LBB11_769:
	s_andn2_b64 vcc, exec, s[6:7]
	s_cbranch_vccnz .LBB11_777
; %bb.770:
	v_cvt_f32_f64_e32 v4, v[38:39]
	v_and_b32_e32 v5, 0x7fffffff, v4
	s_mov_b32 s6, 0x43800000
	v_cmp_gt_u32_e32 vcc, s6, v5
	v_mov_b32_e32 v6, 0x80
	s_and_saveexec_b64 s[6:7], vcc
	s_cbranch_execz .LBB11_776
; %bb.771:
	s_mov_b32 s8, 0x3bffffff
	v_cmp_lt_u32_e32 vcc, s8, v5
	s_mov_b64 s[8:9], 0
                                        ; implicit-def: $vgpr5
	s_and_saveexec_b64 s[10:11], vcc
	s_xor_b64 s[10:11], exec, s[10:11]
	s_cbranch_execz .LBB11_1108
; %bb.772:
	v_bfe_u32 v5, v4, 20, 1
	s_mov_b32 s14, 0x487ffff
	v_add3_u32 v5, v4, v5, s14
	s_mov_b64 s[8:9], exec
	v_lshrrev_b32_e32 v5, 20, v5
	s_andn2_saveexec_b64 s[10:11], s[10:11]
	s_cbranch_execnz .LBB11_1109
.LBB11_773:
	s_or_b64 exec, exec, s[10:11]
	v_mov_b32_e32 v6, 0
	s_and_saveexec_b64 s[10:11], s[8:9]
.LBB11_774:
	v_lshrrev_b32_e32 v4, 24, v4
	s_movk_i32 s8, 0x80
	v_and_or_b32 v6, v4, s8, v5
.LBB11_775:
	s_or_b64 exec, exec, s[10:11]
.LBB11_776:
	s_or_b64 exec, exec, s[6:7]
	global_store_byte v[2:3], v6, off
.LBB11_777:
	s_mov_b64 s[6:7], -1
.LBB11_778:
	s_mov_b64 s[8:9], 0
.LBB11_779:
	s_and_b64 vcc, exec, s[8:9]
	s_cbranch_vccz .LBB11_819
; %bb.780:
	s_cmp_gt_i32 s13, 22
	s_mov_b64 s[4:5], -1
	s_cbranch_scc0 .LBB11_812
; %bb.781:
	s_cmp_lt_i32 s13, 24
	s_cbranch_scc1 .LBB11_801
; %bb.782:
	s_cmp_gt_i32 s13, 24
	s_cbranch_scc0 .LBB11_790
; %bb.783:
	v_cvt_f32_f64_e32 v4, v[38:39]
	v_and_b32_e32 v5, 0x7fffffff, v4
	s_mov_b32 s4, 0x47800000
	v_cmp_gt_u32_e32 vcc, s4, v5
	v_mov_b32_e32 v6, 0x80
	s_and_saveexec_b64 s[4:5], vcc
	s_cbranch_execz .LBB11_789
; %bb.784:
	s_mov_b32 s6, 0x37ffffff
	v_cmp_lt_u32_e32 vcc, s6, v5
	s_mov_b64 s[6:7], 0
                                        ; implicit-def: $vgpr5
	s_and_saveexec_b64 s[8:9], vcc
	s_xor_b64 s[8:9], exec, s[8:9]
	s_cbranch_execz .LBB11_1111
; %bb.785:
	v_bfe_u32 v5, v4, 21, 1
	s_mov_b32 s10, 0x88fffff
	v_add3_u32 v5, v4, v5, s10
	s_mov_b64 s[6:7], exec
	v_lshrrev_b32_e32 v5, 21, v5
	s_andn2_saveexec_b64 s[8:9], s[8:9]
	s_cbranch_execnz .LBB11_1112
.LBB11_786:
	s_or_b64 exec, exec, s[8:9]
	v_mov_b32_e32 v6, 0
	s_and_saveexec_b64 s[8:9], s[6:7]
.LBB11_787:
	v_lshrrev_b32_e32 v4, 24, v4
	s_movk_i32 s6, 0x80
	v_and_or_b32 v6, v4, s6, v5
.LBB11_788:
	s_or_b64 exec, exec, s[8:9]
.LBB11_789:
	s_or_b64 exec, exec, s[4:5]
	s_mov_b64 s[4:5], 0
	global_store_byte v[2:3], v6, off
.LBB11_790:
	s_and_b64 vcc, exec, s[4:5]
	s_cbranch_vccz .LBB11_800
; %bb.791:
	v_cvt_f32_f64_e32 v4, v[38:39]
	v_and_b32_e32 v6, 0x7fffffff, v4
	s_mov_b32 s4, 0x43f00000
	v_cmp_gt_u32_e32 vcc, s4, v6
                                        ; implicit-def: $vgpr5
	s_and_saveexec_b64 s[4:5], vcc
	s_xor_b64 s[4:5], exec, s[4:5]
	s_cbranch_execz .LBB11_797
; %bb.792:
	s_mov_b32 s6, 0x3c7fffff
	v_cmp_lt_u32_e32 vcc, s6, v6
                                        ; implicit-def: $vgpr5
	s_and_saveexec_b64 s[6:7], vcc
	s_xor_b64 s[6:7], exec, s[6:7]
; %bb.793:
	v_bfe_u32 v5, v4, 20, 1
	s_mov_b32 s8, 0x407ffff
	v_add3_u32 v5, v4, v5, s8
	v_lshrrev_b32_e32 v6, 20, v5
	v_and_b32_e32 v5, 0xff00000, v5
	s_mov_b32 s8, 0x7f00000
	v_mov_b32_e32 v7, 0x7e
	v_cmp_ne_u32_e32 vcc, s8, v5
	s_nop 1
	v_cndmask_b32_e32 v5, v7, v6, vcc
; %bb.794:
	s_andn2_saveexec_b64 s[6:7], s[6:7]
; %bb.795:
	s_mov_b32 s8, 0x46800000
	v_add_f32_e64 v5, |v4|, s8
; %bb.796:
	s_or_b64 exec, exec, s[6:7]
                                        ; implicit-def: $vgpr6
.LBB11_797:
	s_andn2_saveexec_b64 s[4:5], s[4:5]
; %bb.798:
	s_mov_b32 s6, 0x7f800000
	v_mov_b32_e32 v5, 0x7e
	v_mov_b32_e32 v7, 0x7f
	v_cmp_lt_u32_e32 vcc, s6, v6
	s_nop 1
	v_cndmask_b32_e32 v5, v5, v7, vcc
; %bb.799:
	s_or_b64 exec, exec, s[4:5]
	v_lshrrev_b32_e32 v4, 24, v4
	s_movk_i32 s4, 0x80
	v_and_or_b32 v4, v4, s4, v5
	global_store_byte v[2:3], v4, off
.LBB11_800:
	s_mov_b64 s[4:5], 0
.LBB11_801:
	s_andn2_b64 vcc, exec, s[4:5]
	s_cbranch_vccnz .LBB11_811
; %bb.802:
	v_cvt_f32_f64_e32 v4, v[38:39]
	v_and_b32_e32 v6, 0x7fffffff, v4
	s_mov_b32 s4, 0x47800000
	v_cmp_gt_u32_e32 vcc, s4, v6
                                        ; implicit-def: $vgpr5
	s_and_saveexec_b64 s[4:5], vcc
	s_xor_b64 s[4:5], exec, s[4:5]
	s_cbranch_execz .LBB11_808
; %bb.803:
	s_mov_b32 s6, 0x387fffff
	v_cmp_lt_u32_e32 vcc, s6, v6
                                        ; implicit-def: $vgpr5
	s_and_saveexec_b64 s[6:7], vcc
	s_xor_b64 s[6:7], exec, s[6:7]
; %bb.804:
	v_bfe_u32 v5, v4, 21, 1
	s_mov_b32 s8, 0x80fffff
	v_add3_u32 v5, v4, v5, s8
	v_lshrrev_b32_e32 v5, 21, v5
; %bb.805:
	s_andn2_saveexec_b64 s[6:7], s[6:7]
; %bb.806:
	s_mov_b32 s8, 0x43000000
	v_add_f32_e64 v5, |v4|, s8
; %bb.807:
	s_or_b64 exec, exec, s[6:7]
                                        ; implicit-def: $vgpr6
.LBB11_808:
	s_andn2_saveexec_b64 s[4:5], s[4:5]
; %bb.809:
	s_mov_b32 s6, 0x7f800000
	v_mov_b32_e32 v5, 0x7c
	v_mov_b32_e32 v7, 0x7f
	v_cmp_lt_u32_e32 vcc, s6, v6
	s_nop 1
	v_cndmask_b32_e32 v5, v5, v7, vcc
; %bb.810:
	s_or_b64 exec, exec, s[4:5]
	v_lshrrev_b32_e32 v4, 24, v4
	s_movk_i32 s4, 0x80
	v_and_or_b32 v4, v4, s4, v5
	global_store_byte v[2:3], v4, off
.LBB11_811:
	s_mov_b64 s[4:5], 0
	s_mov_b64 s[6:7], -1
.LBB11_812:
	s_andn2_b64 vcc, exec, s[4:5]
	s_mov_b64 s[4:5], 0
	s_cbranch_vccnz .LBB11_819
; %bb.813:
	s_cmp_gt_i32 s13, 14
	s_mov_b64 s[8:9], -1
	s_cbranch_scc0 .LBB11_817
; %bb.814:
	s_cmp_eq_u32 s13, 15
	s_mov_b64 s[0:1], -1
	s_cbranch_scc0 .LBB11_816
; %bb.815:
	v_cvt_f32_f64_e32 v4, v[38:39]
	v_bfe_u32 v5, v4, 16, 1
	s_movk_i32 s0, 0x7fff
	v_add3_u32 v5, v4, v5, s0
	v_cmp_o_f32_e32 vcc, v4, v4
	v_mov_b32_e32 v4, 0x7fc0
	s_mov_b64 s[0:1], 0
	v_cndmask_b32_sdwa v4, v4, v5, vcc dst_sel:DWORD dst_unused:UNUSED_PAD src0_sel:DWORD src1_sel:WORD_1
	global_store_short v[2:3], v4, off
	s_mov_b64 s[6:7], -1
.LBB11_816:
	s_mov_b64 s[8:9], 0
.LBB11_817:
	s_and_b64 vcc, exec, s[8:9]
	s_cbranch_vccz .LBB11_819
; %bb.818:
	s_cmp_lg_u32 s13, 11
	s_mov_b64 s[4:5], -1
	s_cselect_b64 s[0:1], -1, 0
.LBB11_819:
	s_and_b64 vcc, exec, s[0:1]
	s_cbranch_vccnz .LBB11_1110
; %bb.820:
	s_andn2_b64 vcc, exec, s[4:5]
	s_cbranch_vccnz .LBB11_822
.LBB11_821:
	v_cmp_neq_f64_e32 vcc, 0, v[38:39]
	s_mov_b64 s[6:7], -1
	s_nop 0
	v_cndmask_b32_e64 v4, 0, 1, vcc
	global_store_byte v[2:3], v4, off
.LBB11_822:
.LBB11_823:
	s_andn2_b64 vcc, exec, s[6:7]
	s_cbranch_vccz .LBB11_863
	s_branch .LBB11_1057
.LBB11_824:
	s_mov_b64 s[6:7], 0
	s_cbranch_execz .LBB11_823
; %bb.825:
	s_and_b32 s4, 0xffff, s12
	s_cmp_lt_i32 s4, 5
	s_mov_b64 s[0:1], -1
	s_cbranch_scc1 .LBB11_846
; %bb.826:
	s_cmp_lt_i32 s4, 8
	s_cbranch_scc1 .LBB11_836
; %bb.827:
	s_cmp_lt_i32 s4, 9
	s_cbranch_scc1 .LBB11_833
; %bb.828:
	s_cmp_gt_i32 s4, 9
	s_cbranch_scc0 .LBB11_830
; %bb.829:
	v_mov_b32_e32 v40, 0
	v_mov_b32_e32 v41, v40
	global_store_dwordx4 v[2:3], v[38:41], off
	s_mov_b64 s[0:1], 0
.LBB11_830:
	s_andn2_b64 vcc, exec, s[0:1]
	s_cbranch_vccnz .LBB11_832
; %bb.831:
	v_cvt_f32_f64_e32 v4, v[38:39]
	v_mov_b32_e32 v5, 0
	global_store_dwordx2 v[2:3], v[4:5], off
.LBB11_832:
	s_mov_b64 s[0:1], 0
.LBB11_833:
	s_andn2_b64 vcc, exec, s[0:1]
	s_cbranch_vccnz .LBB11_835
; %bb.834:
	s_movk_i32 s0, 0x1ff
	v_and_or_b32 v4, v39, s0, v38
	v_cmp_ne_u32_e32 vcc, 0, v4
	v_lshrrev_b32_e32 v5, 8, v39
	s_movk_i32 s0, 0xffe
	v_cndmask_b32_e64 v4, 0, 1, vcc
	v_bfe_u32 v6, v39, 20, 11
	v_and_or_b32 v4, v5, s0, v4
	v_sub_u32_e32 v7, 0x3f1, v6
	v_or_b32_e32 v5, 0x1000, v4
	v_med3_i32 v7, v7, 0, 13
	v_lshrrev_b32_e32 v8, v7, v5
	v_lshlrev_b32_e32 v7, v7, v8
	v_cmp_ne_u32_e32 vcc, v7, v5
	v_add_u32_e32 v6, 0xfffffc10, v6
	v_lshl_or_b32 v7, v6, 12, v4
	v_cndmask_b32_e64 v5, 0, 1, vcc
	v_or_b32_e32 v5, v8, v5
	v_cmp_gt_i32_e32 vcc, 1, v6
	s_movk_i32 s0, 0x40f
	s_nop 0
	v_cndmask_b32_e32 v5, v7, v5, vcc
	v_and_b32_e32 v7, 7, v5
	v_cmp_lt_i32_e32 vcc, 5, v7
	v_lshrrev_b32_e32 v5, 2, v5
	s_nop 0
	v_cndmask_b32_e64 v8, 0, 1, vcc
	v_cmp_eq_u32_e32 vcc, 3, v7
	s_nop 1
	v_cndmask_b32_e64 v7, 0, 1, vcc
	v_or_b32_e32 v7, v7, v8
	v_add_u32_e32 v5, v5, v7
	v_mov_b32_e32 v7, 0x7c00
	v_cmp_gt_i32_e32 vcc, 31, v6
	v_mov_b32_e32 v8, 0x7e00
	s_nop 0
	v_cndmask_b32_e32 v5, v7, v5, vcc
	v_cmp_ne_u32_e32 vcc, 0, v4
	s_nop 1
	v_cndmask_b32_e32 v4, v7, v8, vcc
	v_cmp_eq_u32_e32 vcc, s0, v6
	s_mov_b32 s0, 0x8000
	s_nop 0
	v_cndmask_b32_e32 v4, v5, v4, vcc
	v_and_b32_sdwa v5, v39, s0 dst_sel:DWORD dst_unused:UNUSED_PAD src0_sel:WORD_1 src1_sel:DWORD
	s_mov_b32 s0, 0xffff
	v_bitop3_b32 v4, v5, s0, v4 bitop3:0xc8
	global_store_dword v[2:3], v4, off
.LBB11_835:
	s_mov_b64 s[0:1], 0
.LBB11_836:
	s_andn2_b64 vcc, exec, s[0:1]
	s_cbranch_vccnz .LBB11_845
; %bb.837:
	s_cmp_lt_i32 s4, 6
	s_mov_b64 s[0:1], -1
	s_cbranch_scc1 .LBB11_843
; %bb.838:
	s_cmp_gt_i32 s4, 6
	s_cbranch_scc0 .LBB11_840
; %bb.839:
	global_store_dwordx2 v[2:3], v[38:39], off
	s_mov_b64 s[0:1], 0
.LBB11_840:
	s_andn2_b64 vcc, exec, s[0:1]
	s_cbranch_vccnz .LBB11_842
; %bb.841:
	v_cvt_f32_f64_e32 v4, v[38:39]
	global_store_dword v[2:3], v4, off
.LBB11_842:
	s_mov_b64 s[0:1], 0
.LBB11_843:
	s_andn2_b64 vcc, exec, s[0:1]
	s_cbranch_vccnz .LBB11_845
; %bb.844:
	s_movk_i32 s0, 0x1ff
	v_and_or_b32 v4, v39, s0, v38
	v_cmp_ne_u32_e32 vcc, 0, v4
	v_lshrrev_b32_e32 v5, 8, v39
	s_movk_i32 s0, 0xffe
	v_cndmask_b32_e64 v4, 0, 1, vcc
	v_bfe_u32 v6, v39, 20, 11
	v_and_or_b32 v4, v5, s0, v4
	v_sub_u32_e32 v7, 0x3f1, v6
	v_or_b32_e32 v5, 0x1000, v4
	v_med3_i32 v7, v7, 0, 13
	v_lshrrev_b32_e32 v8, v7, v5
	v_lshlrev_b32_e32 v7, v7, v8
	v_cmp_ne_u32_e32 vcc, v7, v5
	v_add_u32_e32 v6, 0xfffffc10, v6
	v_lshl_or_b32 v7, v6, 12, v4
	v_cndmask_b32_e64 v5, 0, 1, vcc
	v_or_b32_e32 v5, v8, v5
	v_cmp_gt_i32_e32 vcc, 1, v6
	s_movk_i32 s0, 0x40f
	s_nop 0
	v_cndmask_b32_e32 v5, v7, v5, vcc
	v_and_b32_e32 v7, 7, v5
	v_cmp_lt_i32_e32 vcc, 5, v7
	v_lshrrev_b32_e32 v5, 2, v5
	s_nop 0
	v_cndmask_b32_e64 v8, 0, 1, vcc
	v_cmp_eq_u32_e32 vcc, 3, v7
	s_nop 1
	v_cndmask_b32_e64 v7, 0, 1, vcc
	v_or_b32_e32 v7, v7, v8
	v_add_u32_e32 v5, v5, v7
	v_mov_b32_e32 v7, 0x7c00
	v_cmp_gt_i32_e32 vcc, 31, v6
	v_mov_b32_e32 v8, 0x7e00
	s_nop 0
	v_cndmask_b32_e32 v5, v7, v5, vcc
	v_cmp_ne_u32_e32 vcc, 0, v4
	s_nop 1
	v_cndmask_b32_e32 v4, v7, v8, vcc
	v_cmp_eq_u32_e32 vcc, s0, v6
	s_mov_b32 s0, 0x8000
	s_nop 0
	v_cndmask_b32_e32 v4, v5, v4, vcc
	v_lshrrev_b32_e32 v5, 16, v39
	v_and_or_b32 v4, v5, s0, v4
	global_store_short v[2:3], v4, off
.LBB11_845:
	s_mov_b64 s[0:1], 0
.LBB11_846:
	s_andn2_b64 vcc, exec, s[0:1]
	s_cbranch_vccnz .LBB11_862
; %bb.847:
	s_cmp_lt_i32 s4, 2
	s_mov_b64 s[0:1], -1
	s_cbranch_scc1 .LBB11_857
; %bb.848:
	s_cmp_lt_i32 s4, 3
	s_cbranch_scc1 .LBB11_854
; %bb.849:
	s_cmp_gt_i32 s4, 3
	s_cbranch_scc0 .LBB11_851
; %bb.850:
	v_trunc_f64_e32 v[4:5], v[38:39]
	s_movk_i32 s0, 0xffe0
	v_ldexp_f64 v[6:7], v[4:5], s0
	v_floor_f64_e32 v[6:7], v[6:7]
	v_fmac_f64_e32 v[4:5], 0xc1f00000, v[6:7]
	v_cvt_i32_f64_e32 v9, v[6:7]
	v_cvt_u32_f64_e32 v8, v[4:5]
	global_store_dwordx2 v[2:3], v[8:9], off
	s_mov_b64 s[0:1], 0
.LBB11_851:
	s_andn2_b64 vcc, exec, s[0:1]
	s_cbranch_vccnz .LBB11_853
; %bb.852:
	v_cvt_i32_f64_e32 v4, v[38:39]
	global_store_dword v[2:3], v4, off
.LBB11_853:
	s_mov_b64 s[0:1], 0
.LBB11_854:
	s_andn2_b64 vcc, exec, s[0:1]
	s_cbranch_vccnz .LBB11_856
; %bb.855:
	v_cvt_i32_f64_e32 v4, v[38:39]
	global_store_short v[2:3], v4, off
.LBB11_856:
	s_mov_b64 s[0:1], 0
.LBB11_857:
	s_andn2_b64 vcc, exec, s[0:1]
	s_cbranch_vccnz .LBB11_862
; %bb.858:
	s_cmp_gt_i32 s4, 0
	s_mov_b64 s[0:1], -1
	s_cbranch_scc0 .LBB11_860
; %bb.859:
	v_cvt_i32_f64_e32 v4, v[38:39]
	global_store_byte v[2:3], v4, off
	s_mov_b64 s[0:1], 0
.LBB11_860:
	s_andn2_b64 vcc, exec, s[0:1]
	s_cbranch_vccnz .LBB11_862
; %bb.861:
	v_trunc_f64_e32 v[4:5], v[38:39]
	s_movk_i32 s0, 0xffe0
	v_ldexp_f64 v[6:7], v[4:5], s0
	v_floor_f64_e32 v[6:7], v[6:7]
	v_fmac_f64_e32 v[4:5], 0xc1f00000, v[6:7]
	v_cvt_u32_f64_e32 v4, v[4:5]
	global_store_byte v[2:3], v4, off
.LBB11_862:
.LBB11_863:
	v_mov_b32_e32 v49, 0
	s_cmp_lt_i32 s12, 11
	v_lshl_add_u64 v[2:3], s[36:37], 0, v[48:49]
	s_cbranch_scc1 .LBB11_1018
; %bb.864:
	s_and_b32 s13, 0xffff, s12
	s_mov_b64 s[8:9], -1
	s_mov_b64 s[4:5], 0
	s_cmp_gt_i32 s13, 25
	s_mov_b64 s[6:7], 0
	s_mov_b64 s[0:1], 0
	s_cbranch_scc0 .LBB11_897
; %bb.865:
	s_cmp_gt_i32 s13, 28
	s_cbranch_scc0 .LBB11_880
; %bb.866:
	s_cmp_gt_i32 s13, 43
	;; [unrolled: 3-line block ×3, first 2 shown]
	s_cbranch_scc0 .LBB11_870
; %bb.868:
	s_mov_b64 s[0:1], -1
	s_mov_b64 s[8:9], 0
	s_cmp_eq_u32 s13, 46
	s_cbranch_scc0 .LBB11_870
; %bb.869:
	v_cvt_f32_f64_e32 v4, v[36:37]
	v_bfe_u32 v5, v4, 16, 1
	s_movk_i32 s0, 0x7fff
	v_add3_u32 v5, v4, v5, s0
	v_cmp_o_f32_e32 vcc, v4, v4
	v_mov_b32_e32 v4, 0x7fc0
	s_mov_b64 s[0:1], 0
	v_cndmask_b32_sdwa v4, v4, v5, vcc dst_sel:DWORD dst_unused:UNUSED_PAD src0_sel:DWORD src1_sel:WORD_1
	global_store_dword v[2:3], v4, off
	s_mov_b64 s[6:7], -1
.LBB11_870:
	s_and_b64 vcc, exec, s[8:9]
	s_cbranch_vccz .LBB11_875
; %bb.871:
	s_cmp_eq_u32 s13, 44
	s_mov_b64 s[0:1], -1
	s_cbranch_scc0 .LBB11_875
; %bb.872:
	v_cvt_f32_f64_e32 v4, v[36:37]
	v_bfe_u32 v5, v4, 23, 8
	s_movk_i32 s0, 0xff
	v_cmp_ne_u32_e32 vcc, s0, v5
	v_mov_b32_e32 v6, 0xff
	s_and_saveexec_b64 s[6:7], vcc
; %bb.873:
	s_mov_b32 s0, 0x3fffff
	v_lshrrev_b32_e32 v6, 23, v4
	v_and_b32_e32 v7, 0x400000, v4
	v_and_or_b32 v4, v4, s0, v5
	v_cmp_ne_u32_e32 vcc, 0, v7
	v_cmp_ne_u32_e64 s[0:1], 0, v4
	s_and_b64 s[0:1], vcc, s[0:1]
	s_nop 0
	v_cndmask_b32_e64 v4, 0, 1, s[0:1]
	v_add_u32_e32 v6, v6, v4
; %bb.874:
	s_or_b64 exec, exec, s[6:7]
	s_mov_b64 s[0:1], 0
	s_mov_b64 s[6:7], -1
	global_store_byte v[2:3], v6, off
.LBB11_875:
	s_mov_b64 s[8:9], 0
.LBB11_876:
	s_and_b64 vcc, exec, s[8:9]
	s_cbranch_vccz .LBB11_879
; %bb.877:
	s_cmp_eq_u32 s13, 29
	s_mov_b64 s[0:1], -1
	s_cbranch_scc0 .LBB11_879
; %bb.878:
	v_trunc_f64_e32 v[4:5], v[36:37]
	s_movk_i32 s0, 0xffe0
	v_ldexp_f64 v[6:7], v[4:5], s0
	v_floor_f64_e32 v[6:7], v[6:7]
	v_fmac_f64_e32 v[4:5], 0xc1f00000, v[6:7]
	v_cvt_u32_f64_e32 v9, v[6:7]
	v_cvt_u32_f64_e32 v8, v[4:5]
	global_store_dwordx2 v[2:3], v[8:9], off
	s_mov_b64 s[0:1], 0
	s_mov_b64 s[6:7], -1
.LBB11_879:
	s_mov_b64 s[8:9], 0
.LBB11_880:
	s_and_b64 vcc, exec, s[8:9]
	s_cbranch_vccz .LBB11_896
; %bb.881:
	s_cmp_lt_i32 s13, 27
	s_mov_b64 s[6:7], -1
	s_cbranch_scc1 .LBB11_887
; %bb.882:
	s_cmp_gt_i32 s13, 27
	v_cvt_u32_f64_e32 v4, v[36:37]
	s_cbranch_scc0 .LBB11_884
; %bb.883:
	s_mov_b64 s[6:7], 0
	global_store_dword v[2:3], v4, off
.LBB11_884:
	s_andn2_b64 vcc, exec, s[6:7]
	s_cbranch_vccnz .LBB11_886
; %bb.885:
	global_store_short v[2:3], v4, off
.LBB11_886:
	s_mov_b64 s[6:7], 0
.LBB11_887:
	s_andn2_b64 vcc, exec, s[6:7]
	s_cbranch_vccnz .LBB11_895
; %bb.888:
	v_cvt_f32_f64_e32 v4, v[36:37]
	v_and_b32_e32 v5, 0x7fffffff, v4
	s_mov_b32 s6, 0x43800000
	v_cmp_gt_u32_e32 vcc, s6, v5
	v_mov_b32_e32 v6, 0x80
	s_and_saveexec_b64 s[6:7], vcc
	s_cbranch_execz .LBB11_894
; %bb.889:
	s_mov_b32 s8, 0x3bffffff
	v_cmp_lt_u32_e32 vcc, s8, v5
	s_mov_b64 s[8:9], 0
                                        ; implicit-def: $vgpr5
	s_and_saveexec_b64 s[10:11], vcc
	s_xor_b64 s[10:11], exec, s[10:11]
	s_cbranch_execz .LBB11_1113
; %bb.890:
	v_bfe_u32 v5, v4, 20, 1
	s_mov_b32 s14, 0x487ffff
	v_add3_u32 v5, v4, v5, s14
	s_mov_b64 s[8:9], exec
	v_lshrrev_b32_e32 v5, 20, v5
	s_andn2_saveexec_b64 s[10:11], s[10:11]
	s_cbranch_execnz .LBB11_1114
.LBB11_891:
	s_or_b64 exec, exec, s[10:11]
	v_mov_b32_e32 v6, 0
	s_and_saveexec_b64 s[10:11], s[8:9]
.LBB11_892:
	v_lshrrev_b32_e32 v4, 24, v4
	s_movk_i32 s8, 0x80
	v_and_or_b32 v6, v4, s8, v5
.LBB11_893:
	s_or_b64 exec, exec, s[10:11]
.LBB11_894:
	s_or_b64 exec, exec, s[6:7]
	global_store_byte v[2:3], v6, off
.LBB11_895:
	s_mov_b64 s[6:7], -1
.LBB11_896:
	s_mov_b64 s[8:9], 0
.LBB11_897:
	s_and_b64 vcc, exec, s[8:9]
	s_cbranch_vccz .LBB11_937
; %bb.898:
	s_cmp_gt_i32 s13, 22
	s_mov_b64 s[4:5], -1
	s_cbranch_scc0 .LBB11_930
; %bb.899:
	s_cmp_lt_i32 s13, 24
	s_cbranch_scc1 .LBB11_919
; %bb.900:
	s_cmp_gt_i32 s13, 24
	s_cbranch_scc0 .LBB11_908
; %bb.901:
	v_cvt_f32_f64_e32 v4, v[36:37]
	v_and_b32_e32 v5, 0x7fffffff, v4
	s_mov_b32 s4, 0x47800000
	v_cmp_gt_u32_e32 vcc, s4, v5
	v_mov_b32_e32 v6, 0x80
	s_and_saveexec_b64 s[4:5], vcc
	s_cbranch_execz .LBB11_907
; %bb.902:
	s_mov_b32 s6, 0x37ffffff
	v_cmp_lt_u32_e32 vcc, s6, v5
	s_mov_b64 s[6:7], 0
                                        ; implicit-def: $vgpr5
	s_and_saveexec_b64 s[8:9], vcc
	s_xor_b64 s[8:9], exec, s[8:9]
	s_cbranch_execz .LBB11_1118
; %bb.903:
	v_bfe_u32 v5, v4, 21, 1
	s_mov_b32 s10, 0x88fffff
	v_add3_u32 v5, v4, v5, s10
	s_mov_b64 s[6:7], exec
	v_lshrrev_b32_e32 v5, 21, v5
	s_andn2_saveexec_b64 s[8:9], s[8:9]
	s_cbranch_execnz .LBB11_1119
.LBB11_904:
	s_or_b64 exec, exec, s[8:9]
	v_mov_b32_e32 v6, 0
	s_and_saveexec_b64 s[8:9], s[6:7]
.LBB11_905:
	v_lshrrev_b32_e32 v4, 24, v4
	s_movk_i32 s6, 0x80
	v_and_or_b32 v6, v4, s6, v5
.LBB11_906:
	s_or_b64 exec, exec, s[8:9]
.LBB11_907:
	s_or_b64 exec, exec, s[4:5]
	s_mov_b64 s[4:5], 0
	global_store_byte v[2:3], v6, off
.LBB11_908:
	s_and_b64 vcc, exec, s[4:5]
	s_cbranch_vccz .LBB11_918
; %bb.909:
	v_cvt_f32_f64_e32 v4, v[36:37]
	v_and_b32_e32 v6, 0x7fffffff, v4
	s_mov_b32 s4, 0x43f00000
	v_cmp_gt_u32_e32 vcc, s4, v6
                                        ; implicit-def: $vgpr5
	s_and_saveexec_b64 s[4:5], vcc
	s_xor_b64 s[4:5], exec, s[4:5]
	s_cbranch_execz .LBB11_915
; %bb.910:
	s_mov_b32 s6, 0x3c7fffff
	v_cmp_lt_u32_e32 vcc, s6, v6
                                        ; implicit-def: $vgpr5
	s_and_saveexec_b64 s[6:7], vcc
	s_xor_b64 s[6:7], exec, s[6:7]
; %bb.911:
	v_bfe_u32 v5, v4, 20, 1
	s_mov_b32 s8, 0x407ffff
	v_add3_u32 v5, v4, v5, s8
	v_lshrrev_b32_e32 v6, 20, v5
	v_and_b32_e32 v5, 0xff00000, v5
	s_mov_b32 s8, 0x7f00000
	v_mov_b32_e32 v7, 0x7e
	v_cmp_ne_u32_e32 vcc, s8, v5
	s_nop 1
	v_cndmask_b32_e32 v5, v7, v6, vcc
; %bb.912:
	s_andn2_saveexec_b64 s[6:7], s[6:7]
; %bb.913:
	s_mov_b32 s8, 0x46800000
	v_add_f32_e64 v5, |v4|, s8
; %bb.914:
	s_or_b64 exec, exec, s[6:7]
                                        ; implicit-def: $vgpr6
.LBB11_915:
	s_andn2_saveexec_b64 s[4:5], s[4:5]
; %bb.916:
	s_mov_b32 s6, 0x7f800000
	v_mov_b32_e32 v5, 0x7e
	v_mov_b32_e32 v7, 0x7f
	v_cmp_lt_u32_e32 vcc, s6, v6
	s_nop 1
	v_cndmask_b32_e32 v5, v5, v7, vcc
; %bb.917:
	s_or_b64 exec, exec, s[4:5]
	v_lshrrev_b32_e32 v4, 24, v4
	s_movk_i32 s4, 0x80
	v_and_or_b32 v4, v4, s4, v5
	global_store_byte v[2:3], v4, off
.LBB11_918:
	s_mov_b64 s[4:5], 0
.LBB11_919:
	s_andn2_b64 vcc, exec, s[4:5]
	s_cbranch_vccnz .LBB11_929
; %bb.920:
	v_cvt_f32_f64_e32 v4, v[36:37]
	v_and_b32_e32 v6, 0x7fffffff, v4
	s_mov_b32 s4, 0x47800000
	v_cmp_gt_u32_e32 vcc, s4, v6
                                        ; implicit-def: $vgpr5
	s_and_saveexec_b64 s[4:5], vcc
	s_xor_b64 s[4:5], exec, s[4:5]
	s_cbranch_execz .LBB11_926
; %bb.921:
	s_mov_b32 s6, 0x387fffff
	v_cmp_lt_u32_e32 vcc, s6, v6
                                        ; implicit-def: $vgpr5
	s_and_saveexec_b64 s[6:7], vcc
	s_xor_b64 s[6:7], exec, s[6:7]
; %bb.922:
	v_bfe_u32 v5, v4, 21, 1
	s_mov_b32 s8, 0x80fffff
	v_add3_u32 v5, v4, v5, s8
	v_lshrrev_b32_e32 v5, 21, v5
; %bb.923:
	s_andn2_saveexec_b64 s[6:7], s[6:7]
; %bb.924:
	s_mov_b32 s8, 0x43000000
	v_add_f32_e64 v5, |v4|, s8
; %bb.925:
	s_or_b64 exec, exec, s[6:7]
                                        ; implicit-def: $vgpr6
.LBB11_926:
	s_andn2_saveexec_b64 s[4:5], s[4:5]
; %bb.927:
	s_mov_b32 s6, 0x7f800000
	v_mov_b32_e32 v5, 0x7c
	v_mov_b32_e32 v7, 0x7f
	v_cmp_lt_u32_e32 vcc, s6, v6
	s_nop 1
	v_cndmask_b32_e32 v5, v5, v7, vcc
; %bb.928:
	s_or_b64 exec, exec, s[4:5]
	v_lshrrev_b32_e32 v4, 24, v4
	s_movk_i32 s4, 0x80
	v_and_or_b32 v4, v4, s4, v5
	global_store_byte v[2:3], v4, off
.LBB11_929:
	s_mov_b64 s[4:5], 0
	s_mov_b64 s[6:7], -1
.LBB11_930:
	s_andn2_b64 vcc, exec, s[4:5]
	s_mov_b64 s[4:5], 0
	s_cbranch_vccnz .LBB11_937
; %bb.931:
	s_cmp_gt_i32 s13, 14
	s_mov_b64 s[8:9], -1
	s_cbranch_scc0 .LBB11_935
; %bb.932:
	s_cmp_eq_u32 s13, 15
	s_mov_b64 s[0:1], -1
	s_cbranch_scc0 .LBB11_934
; %bb.933:
	v_cvt_f32_f64_e32 v4, v[36:37]
	v_bfe_u32 v5, v4, 16, 1
	s_movk_i32 s0, 0x7fff
	v_add3_u32 v5, v4, v5, s0
	v_cmp_o_f32_e32 vcc, v4, v4
	v_mov_b32_e32 v4, 0x7fc0
	s_mov_b64 s[0:1], 0
	v_cndmask_b32_sdwa v4, v4, v5, vcc dst_sel:DWORD dst_unused:UNUSED_PAD src0_sel:DWORD src1_sel:WORD_1
	global_store_short v[2:3], v4, off
	s_mov_b64 s[6:7], -1
.LBB11_934:
	s_mov_b64 s[8:9], 0
.LBB11_935:
	s_and_b64 vcc, exec, s[8:9]
	s_cbranch_vccz .LBB11_937
; %bb.936:
	s_cmp_lg_u32 s13, 11
	s_mov_b64 s[4:5], -1
	s_cselect_b64 s[0:1], -1, 0
.LBB11_937:
	s_and_b64 vcc, exec, s[0:1]
	s_cbranch_vccnz .LBB11_1115
; %bb.938:
	s_andn2_b64 vcc, exec, s[4:5]
	s_cbranch_vccnz .LBB11_940
.LBB11_939:
	v_cmp_neq_f64_e32 vcc, 0, v[36:37]
	s_mov_b64 s[6:7], -1
	s_nop 0
	v_cndmask_b32_e64 v4, 0, 1, vcc
	global_store_byte v[2:3], v4, off
.LBB11_940:
.LBB11_941:
	s_andn2_b64 vcc, exec, s[6:7]
	s_cbranch_vccnz .LBB11_1057
.LBB11_942:
	v_mov_b32_e32 v47, 0
	s_cmp_lt_i32 s12, 11
	v_lshl_add_u64 v[4:5], s[36:37], 0, v[46:47]
	s_cbranch_scc1 .LBB11_1102
; %bb.943:
	s_and_b32 s13, 0xffff, s12
	s_mov_b64 s[6:7], -1
	s_mov_b64 s[4:5], 0
	s_cmp_gt_i32 s13, 25
	s_mov_b64 s[0:1], 0
	s_cbranch_scc0 .LBB11_976
; %bb.944:
	s_cmp_gt_i32 s13, 28
	s_cbranch_scc0 .LBB11_960
; %bb.945:
	s_cmp_gt_i32 s13, 43
	;; [unrolled: 3-line block ×3, first 2 shown]
	s_cbranch_scc0 .LBB11_950
; %bb.947:
	s_cmp_eq_u32 s13, 46
	s_mov_b64 s[0:1], -1
	s_cbranch_scc0 .LBB11_949
; %bb.948:
	v_cvt_f32_f64_e32 v2, v[0:1]
	v_bfe_u32 v3, v2, 16, 1
	s_movk_i32 s0, 0x7fff
	v_add3_u32 v3, v2, v3, s0
	v_cmp_o_f32_e32 vcc, v2, v2
	v_mov_b32_e32 v2, 0x7fc0
	s_mov_b64 s[0:1], 0
	v_cndmask_b32_sdwa v2, v2, v3, vcc dst_sel:DWORD dst_unused:UNUSED_PAD src0_sel:DWORD src1_sel:WORD_1
	global_store_dword v[4:5], v2, off
.LBB11_949:
	s_mov_b64 s[6:7], 0
.LBB11_950:
	s_and_b64 vcc, exec, s[6:7]
	s_cbranch_vccz .LBB11_955
; %bb.951:
	s_cmp_eq_u32 s13, 44
	s_mov_b64 s[0:1], -1
	s_cbranch_scc0 .LBB11_955
; %bb.952:
	v_cvt_f32_f64_e32 v2, v[0:1]
	v_bfe_u32 v3, v2, 23, 8
	s_movk_i32 s0, 0xff
	v_cmp_ne_u32_e32 vcc, s0, v3
	v_mov_b32_e32 v6, 0xff
	s_and_saveexec_b64 s[6:7], vcc
; %bb.953:
	s_mov_b32 s0, 0x3fffff
	v_lshrrev_b32_e32 v6, 23, v2
	v_and_b32_e32 v7, 0x400000, v2
	v_and_or_b32 v2, v2, s0, v3
	v_cmp_ne_u32_e32 vcc, 0, v7
	v_cmp_ne_u32_e64 s[0:1], 0, v2
	s_and_b64 s[0:1], vcc, s[0:1]
	s_nop 0
	v_cndmask_b32_e64 v2, 0, 1, s[0:1]
	v_add_u32_e32 v6, v6, v2
; %bb.954:
	s_or_b64 exec, exec, s[6:7]
	s_mov_b64 s[0:1], 0
	global_store_byte v[4:5], v6, off
.LBB11_955:
	s_mov_b64 s[6:7], 0
.LBB11_956:
	s_and_b64 vcc, exec, s[6:7]
	s_cbranch_vccz .LBB11_959
; %bb.957:
	s_cmp_eq_u32 s13, 29
	s_mov_b64 s[0:1], -1
	s_cbranch_scc0 .LBB11_959
; %bb.958:
	v_trunc_f64_e32 v[2:3], v[0:1]
	s_movk_i32 s0, 0xffe0
	v_ldexp_f64 v[6:7], v[2:3], s0
	v_floor_f64_e32 v[6:7], v[6:7]
	v_fmac_f64_e32 v[2:3], 0xc1f00000, v[6:7]
	v_cvt_u32_f64_e32 v9, v[6:7]
	v_cvt_u32_f64_e32 v8, v[2:3]
	global_store_dwordx2 v[4:5], v[8:9], off
	s_mov_b64 s[0:1], 0
.LBB11_959:
	s_mov_b64 s[6:7], 0
.LBB11_960:
	s_and_b64 vcc, exec, s[6:7]
	s_cbranch_vccz .LBB11_975
; %bb.961:
	s_cmp_lt_i32 s13, 27
	s_mov_b64 s[6:7], -1
	s_cbranch_scc1 .LBB11_967
; %bb.962:
	s_cmp_gt_i32 s13, 27
	v_cvt_u32_f64_e32 v2, v[0:1]
	s_cbranch_scc0 .LBB11_964
; %bb.963:
	global_store_dword v[4:5], v2, off
	s_mov_b64 s[6:7], 0
.LBB11_964:
	s_andn2_b64 vcc, exec, s[6:7]
	s_cbranch_vccnz .LBB11_966
; %bb.965:
	global_store_short v[4:5], v2, off
.LBB11_966:
	s_mov_b64 s[6:7], 0
.LBB11_967:
	s_andn2_b64 vcc, exec, s[6:7]
	s_cbranch_vccnz .LBB11_975
; %bb.968:
	v_cvt_f32_f64_e32 v2, v[0:1]
	v_and_b32_e32 v3, 0x7fffffff, v2
	s_mov_b32 s6, 0x43800000
	v_cmp_gt_u32_e32 vcc, s6, v3
	v_mov_b32_e32 v6, 0x80
	s_and_saveexec_b64 s[6:7], vcc
	s_cbranch_execz .LBB11_974
; %bb.969:
	s_mov_b32 s8, 0x3bffffff
	v_cmp_lt_u32_e32 vcc, s8, v3
	s_mov_b64 s[8:9], 0
                                        ; implicit-def: $vgpr3
	s_and_saveexec_b64 s[10:11], vcc
	s_xor_b64 s[10:11], exec, s[10:11]
	s_cbranch_execz .LBB11_1120
; %bb.970:
	v_bfe_u32 v3, v2, 20, 1
	s_mov_b32 s14, 0x487ffff
	v_add3_u32 v3, v2, v3, s14
	s_mov_b64 s[8:9], exec
	v_lshrrev_b32_e32 v3, 20, v3
	s_andn2_saveexec_b64 s[10:11], s[10:11]
	s_cbranch_execnz .LBB11_1121
.LBB11_971:
	s_or_b64 exec, exec, s[10:11]
	v_mov_b32_e32 v6, 0
	s_and_saveexec_b64 s[10:11], s[8:9]
.LBB11_972:
	v_lshrrev_b32_e32 v2, 24, v2
	s_movk_i32 s8, 0x80
	v_and_or_b32 v6, v2, s8, v3
.LBB11_973:
	s_or_b64 exec, exec, s[10:11]
.LBB11_974:
	s_or_b64 exec, exec, s[6:7]
	global_store_byte v[4:5], v6, off
.LBB11_975:
	s_mov_b64 s[6:7], 0
.LBB11_976:
	s_and_b64 vcc, exec, s[6:7]
	s_cbranch_vccz .LBB11_1016
; %bb.977:
	s_cmp_gt_i32 s13, 22
	s_mov_b64 s[4:5], -1
	s_cbranch_scc0 .LBB11_1009
; %bb.978:
	s_cmp_lt_i32 s13, 24
	s_cbranch_scc1 .LBB11_998
; %bb.979:
	s_cmp_gt_i32 s13, 24
	s_cbranch_scc0 .LBB11_987
; %bb.980:
	v_cvt_f32_f64_e32 v2, v[0:1]
	v_and_b32_e32 v3, 0x7fffffff, v2
	s_mov_b32 s4, 0x47800000
	v_cmp_gt_u32_e32 vcc, s4, v3
	v_mov_b32_e32 v6, 0x80
	s_and_saveexec_b64 s[4:5], vcc
	s_cbranch_execz .LBB11_986
; %bb.981:
	s_mov_b32 s6, 0x37ffffff
	v_cmp_lt_u32_e32 vcc, s6, v3
	s_mov_b64 s[6:7], 0
                                        ; implicit-def: $vgpr3
	s_and_saveexec_b64 s[8:9], vcc
	s_xor_b64 s[8:9], exec, s[8:9]
	s_cbranch_execz .LBB11_1127
; %bb.982:
	v_bfe_u32 v3, v2, 21, 1
	s_mov_b32 s10, 0x88fffff
	v_add3_u32 v3, v2, v3, s10
	s_mov_b64 s[6:7], exec
	v_lshrrev_b32_e32 v3, 21, v3
	s_andn2_saveexec_b64 s[8:9], s[8:9]
	s_cbranch_execnz .LBB11_1128
.LBB11_983:
	s_or_b64 exec, exec, s[8:9]
	v_mov_b32_e32 v6, 0
	s_and_saveexec_b64 s[8:9], s[6:7]
.LBB11_984:
	v_lshrrev_b32_e32 v2, 24, v2
	s_movk_i32 s6, 0x80
	v_and_or_b32 v6, v2, s6, v3
.LBB11_985:
	s_or_b64 exec, exec, s[8:9]
.LBB11_986:
	s_or_b64 exec, exec, s[4:5]
	s_mov_b64 s[4:5], 0
	global_store_byte v[4:5], v6, off
.LBB11_987:
	s_and_b64 vcc, exec, s[4:5]
	s_cbranch_vccz .LBB11_997
; %bb.988:
	v_cvt_f32_f64_e32 v2, v[0:1]
	v_and_b32_e32 v6, 0x7fffffff, v2
	s_mov_b32 s4, 0x43f00000
	v_cmp_gt_u32_e32 vcc, s4, v6
                                        ; implicit-def: $vgpr3
	s_and_saveexec_b64 s[4:5], vcc
	s_xor_b64 s[4:5], exec, s[4:5]
	s_cbranch_execz .LBB11_994
; %bb.989:
	s_mov_b32 s6, 0x3c7fffff
	v_cmp_lt_u32_e32 vcc, s6, v6
                                        ; implicit-def: $vgpr3
	s_and_saveexec_b64 s[6:7], vcc
	s_xor_b64 s[6:7], exec, s[6:7]
; %bb.990:
	v_bfe_u32 v3, v2, 20, 1
	s_mov_b32 s8, 0x407ffff
	v_add3_u32 v3, v2, v3, s8
	v_lshrrev_b32_e32 v6, 20, v3
	v_and_b32_e32 v3, 0xff00000, v3
	s_mov_b32 s8, 0x7f00000
	v_mov_b32_e32 v7, 0x7e
	v_cmp_ne_u32_e32 vcc, s8, v3
	s_nop 1
	v_cndmask_b32_e32 v3, v7, v6, vcc
; %bb.991:
	s_andn2_saveexec_b64 s[6:7], s[6:7]
; %bb.992:
	s_mov_b32 s8, 0x46800000
	v_add_f32_e64 v3, |v2|, s8
; %bb.993:
	s_or_b64 exec, exec, s[6:7]
                                        ; implicit-def: $vgpr6
.LBB11_994:
	s_andn2_saveexec_b64 s[4:5], s[4:5]
; %bb.995:
	s_mov_b32 s6, 0x7f800000
	v_mov_b32_e32 v3, 0x7e
	v_mov_b32_e32 v7, 0x7f
	v_cmp_lt_u32_e32 vcc, s6, v6
	s_nop 1
	v_cndmask_b32_e32 v3, v3, v7, vcc
; %bb.996:
	s_or_b64 exec, exec, s[4:5]
	v_lshrrev_b32_e32 v2, 24, v2
	s_movk_i32 s4, 0x80
	v_and_or_b32 v2, v2, s4, v3
	global_store_byte v[4:5], v2, off
.LBB11_997:
	s_mov_b64 s[4:5], 0
.LBB11_998:
	s_andn2_b64 vcc, exec, s[4:5]
	s_cbranch_vccnz .LBB11_1008
; %bb.999:
	v_cvt_f32_f64_e32 v2, v[0:1]
	v_and_b32_e32 v6, 0x7fffffff, v2
	s_mov_b32 s4, 0x47800000
	v_cmp_gt_u32_e32 vcc, s4, v6
                                        ; implicit-def: $vgpr3
	s_and_saveexec_b64 s[4:5], vcc
	s_xor_b64 s[4:5], exec, s[4:5]
	s_cbranch_execz .LBB11_1005
; %bb.1000:
	s_mov_b32 s6, 0x387fffff
	v_cmp_lt_u32_e32 vcc, s6, v6
                                        ; implicit-def: $vgpr3
	s_and_saveexec_b64 s[6:7], vcc
	s_xor_b64 s[6:7], exec, s[6:7]
; %bb.1001:
	v_bfe_u32 v3, v2, 21, 1
	s_mov_b32 s8, 0x80fffff
	v_add3_u32 v3, v2, v3, s8
	v_lshrrev_b32_e32 v3, 21, v3
; %bb.1002:
	s_andn2_saveexec_b64 s[6:7], s[6:7]
; %bb.1003:
	s_mov_b32 s8, 0x43000000
	v_add_f32_e64 v3, |v2|, s8
; %bb.1004:
	s_or_b64 exec, exec, s[6:7]
                                        ; implicit-def: $vgpr6
.LBB11_1005:
	s_andn2_saveexec_b64 s[4:5], s[4:5]
; %bb.1006:
	s_mov_b32 s6, 0x7f800000
	v_mov_b32_e32 v3, 0x7c
	v_mov_b32_e32 v7, 0x7f
	v_cmp_lt_u32_e32 vcc, s6, v6
	s_nop 1
	v_cndmask_b32_e32 v3, v3, v7, vcc
; %bb.1007:
	s_or_b64 exec, exec, s[4:5]
	v_lshrrev_b32_e32 v2, 24, v2
	s_movk_i32 s4, 0x80
	v_and_or_b32 v2, v2, s4, v3
	global_store_byte v[4:5], v2, off
.LBB11_1008:
	s_mov_b64 s[4:5], 0
.LBB11_1009:
	s_andn2_b64 vcc, exec, s[4:5]
	s_mov_b64 s[4:5], 0
	s_cbranch_vccnz .LBB11_1016
; %bb.1010:
	s_cmp_gt_i32 s13, 14
	s_mov_b64 s[6:7], -1
	s_cbranch_scc0 .LBB11_1014
; %bb.1011:
	s_cmp_eq_u32 s13, 15
	s_mov_b64 s[0:1], -1
	s_cbranch_scc0 .LBB11_1013
; %bb.1012:
	v_cvt_f32_f64_e32 v2, v[0:1]
	v_bfe_u32 v3, v2, 16, 1
	s_movk_i32 s0, 0x7fff
	v_add3_u32 v3, v2, v3, s0
	v_cmp_o_f32_e32 vcc, v2, v2
	v_mov_b32_e32 v2, 0x7fc0
	s_mov_b64 s[0:1], 0
	v_cndmask_b32_sdwa v2, v2, v3, vcc dst_sel:DWORD dst_unused:UNUSED_PAD src0_sel:DWORD src1_sel:WORD_1
	global_store_short v[4:5], v2, off
.LBB11_1013:
	s_mov_b64 s[6:7], 0
.LBB11_1014:
	s_and_b64 vcc, exec, s[6:7]
	s_cbranch_vccz .LBB11_1016
; %bb.1015:
	s_cmp_lg_u32 s13, 11
	s_mov_b64 s[4:5], -1
	s_cselect_b64 s[0:1], -1, 0
.LBB11_1016:
	s_and_b64 vcc, exec, s[0:1]
	s_cbranch_vccnz .LBB11_1122
.LBB11_1017:
	s_mov_b64 s[0:1], 0
	s_branch .LBB11_1058
.LBB11_1018:
	s_mov_b64 s[6:7], 0
	s_cbranch_execz .LBB11_941
; %bb.1019:
	s_and_b32 s4, 0xffff, s12
	s_cmp_lt_i32 s4, 5
	s_mov_b64 s[0:1], -1
	s_cbranch_scc1 .LBB11_1040
; %bb.1020:
	s_cmp_lt_i32 s4, 8
	s_cbranch_scc1 .LBB11_1030
; %bb.1021:
	s_cmp_lt_i32 s4, 9
	s_cbranch_scc1 .LBB11_1027
; %bb.1022:
	s_cmp_gt_i32 s4, 9
	s_cbranch_scc0 .LBB11_1024
; %bb.1023:
	v_mov_b32_e32 v38, 0
	v_mov_b32_e32 v39, v38
	global_store_dwordx4 v[2:3], v[36:39], off
	s_mov_b64 s[0:1], 0
.LBB11_1024:
	s_andn2_b64 vcc, exec, s[0:1]
	s_cbranch_vccnz .LBB11_1026
; %bb.1025:
	v_cvt_f32_f64_e32 v4, v[36:37]
	v_mov_b32_e32 v5, 0
	global_store_dwordx2 v[2:3], v[4:5], off
.LBB11_1026:
	s_mov_b64 s[0:1], 0
.LBB11_1027:
	s_andn2_b64 vcc, exec, s[0:1]
	s_cbranch_vccnz .LBB11_1029
; %bb.1028:
	s_movk_i32 s0, 0x1ff
	v_and_or_b32 v4, v37, s0, v36
	v_cmp_ne_u32_e32 vcc, 0, v4
	v_lshrrev_b32_e32 v5, 8, v37
	s_movk_i32 s0, 0xffe
	v_cndmask_b32_e64 v4, 0, 1, vcc
	v_bfe_u32 v6, v37, 20, 11
	v_and_or_b32 v4, v5, s0, v4
	v_sub_u32_e32 v7, 0x3f1, v6
	v_or_b32_e32 v5, 0x1000, v4
	v_med3_i32 v7, v7, 0, 13
	v_lshrrev_b32_e32 v8, v7, v5
	v_lshlrev_b32_e32 v7, v7, v8
	v_cmp_ne_u32_e32 vcc, v7, v5
	v_add_u32_e32 v6, 0xfffffc10, v6
	v_lshl_or_b32 v7, v6, 12, v4
	v_cndmask_b32_e64 v5, 0, 1, vcc
	v_or_b32_e32 v5, v8, v5
	v_cmp_gt_i32_e32 vcc, 1, v6
	s_movk_i32 s0, 0x40f
	s_nop 0
	v_cndmask_b32_e32 v5, v7, v5, vcc
	v_and_b32_e32 v7, 7, v5
	v_cmp_lt_i32_e32 vcc, 5, v7
	v_lshrrev_b32_e32 v5, 2, v5
	s_nop 0
	v_cndmask_b32_e64 v8, 0, 1, vcc
	v_cmp_eq_u32_e32 vcc, 3, v7
	s_nop 1
	v_cndmask_b32_e64 v7, 0, 1, vcc
	v_or_b32_e32 v7, v7, v8
	v_add_u32_e32 v5, v5, v7
	v_mov_b32_e32 v7, 0x7c00
	v_cmp_gt_i32_e32 vcc, 31, v6
	v_mov_b32_e32 v8, 0x7e00
	s_nop 0
	v_cndmask_b32_e32 v5, v7, v5, vcc
	v_cmp_ne_u32_e32 vcc, 0, v4
	s_nop 1
	v_cndmask_b32_e32 v4, v7, v8, vcc
	v_cmp_eq_u32_e32 vcc, s0, v6
	s_mov_b32 s0, 0x8000
	s_nop 0
	v_cndmask_b32_e32 v4, v5, v4, vcc
	v_and_b32_sdwa v5, v37, s0 dst_sel:DWORD dst_unused:UNUSED_PAD src0_sel:WORD_1 src1_sel:DWORD
	s_mov_b32 s0, 0xffff
	v_bitop3_b32 v4, v5, s0, v4 bitop3:0xc8
	global_store_dword v[2:3], v4, off
.LBB11_1029:
	s_mov_b64 s[0:1], 0
.LBB11_1030:
	s_andn2_b64 vcc, exec, s[0:1]
	s_cbranch_vccnz .LBB11_1039
; %bb.1031:
	s_cmp_lt_i32 s4, 6
	s_mov_b64 s[0:1], -1
	s_cbranch_scc1 .LBB11_1037
; %bb.1032:
	s_cmp_gt_i32 s4, 6
	s_cbranch_scc0 .LBB11_1034
; %bb.1033:
	global_store_dwordx2 v[2:3], v[36:37], off
	s_mov_b64 s[0:1], 0
.LBB11_1034:
	s_andn2_b64 vcc, exec, s[0:1]
	s_cbranch_vccnz .LBB11_1036
; %bb.1035:
	v_cvt_f32_f64_e32 v4, v[36:37]
	global_store_dword v[2:3], v4, off
.LBB11_1036:
	s_mov_b64 s[0:1], 0
.LBB11_1037:
	s_andn2_b64 vcc, exec, s[0:1]
	s_cbranch_vccnz .LBB11_1039
; %bb.1038:
	s_movk_i32 s0, 0x1ff
	v_and_or_b32 v4, v37, s0, v36
	v_cmp_ne_u32_e32 vcc, 0, v4
	v_lshrrev_b32_e32 v5, 8, v37
	s_movk_i32 s0, 0xffe
	v_cndmask_b32_e64 v4, 0, 1, vcc
	v_bfe_u32 v6, v37, 20, 11
	v_and_or_b32 v4, v5, s0, v4
	v_sub_u32_e32 v7, 0x3f1, v6
	v_or_b32_e32 v5, 0x1000, v4
	v_med3_i32 v7, v7, 0, 13
	v_lshrrev_b32_e32 v8, v7, v5
	v_lshlrev_b32_e32 v7, v7, v8
	v_cmp_ne_u32_e32 vcc, v7, v5
	v_add_u32_e32 v6, 0xfffffc10, v6
	v_lshl_or_b32 v7, v6, 12, v4
	v_cndmask_b32_e64 v5, 0, 1, vcc
	v_or_b32_e32 v5, v8, v5
	v_cmp_gt_i32_e32 vcc, 1, v6
	s_movk_i32 s0, 0x40f
	s_nop 0
	v_cndmask_b32_e32 v5, v7, v5, vcc
	v_and_b32_e32 v7, 7, v5
	v_cmp_lt_i32_e32 vcc, 5, v7
	v_lshrrev_b32_e32 v5, 2, v5
	s_nop 0
	v_cndmask_b32_e64 v8, 0, 1, vcc
	v_cmp_eq_u32_e32 vcc, 3, v7
	s_nop 1
	v_cndmask_b32_e64 v7, 0, 1, vcc
	v_or_b32_e32 v7, v7, v8
	v_add_u32_e32 v5, v5, v7
	v_mov_b32_e32 v7, 0x7c00
	v_cmp_gt_i32_e32 vcc, 31, v6
	v_mov_b32_e32 v8, 0x7e00
	s_nop 0
	v_cndmask_b32_e32 v5, v7, v5, vcc
	v_cmp_ne_u32_e32 vcc, 0, v4
	s_nop 1
	v_cndmask_b32_e32 v4, v7, v8, vcc
	v_cmp_eq_u32_e32 vcc, s0, v6
	s_mov_b32 s0, 0x8000
	s_nop 0
	v_cndmask_b32_e32 v4, v5, v4, vcc
	v_lshrrev_b32_e32 v5, 16, v37
	v_and_or_b32 v4, v5, s0, v4
	global_store_short v[2:3], v4, off
.LBB11_1039:
	s_mov_b64 s[0:1], 0
.LBB11_1040:
	s_andn2_b64 vcc, exec, s[0:1]
	s_cbranch_vccnz .LBB11_1056
; %bb.1041:
	s_cmp_lt_i32 s4, 2
	s_mov_b64 s[0:1], -1
	s_cbranch_scc1 .LBB11_1051
; %bb.1042:
	s_cmp_lt_i32 s4, 3
	s_cbranch_scc1 .LBB11_1048
; %bb.1043:
	s_cmp_gt_i32 s4, 3
	s_cbranch_scc0 .LBB11_1045
; %bb.1044:
	v_trunc_f64_e32 v[4:5], v[36:37]
	s_movk_i32 s0, 0xffe0
	v_ldexp_f64 v[6:7], v[4:5], s0
	v_floor_f64_e32 v[6:7], v[6:7]
	v_fmac_f64_e32 v[4:5], 0xc1f00000, v[6:7]
	v_cvt_i32_f64_e32 v9, v[6:7]
	v_cvt_u32_f64_e32 v8, v[4:5]
	global_store_dwordx2 v[2:3], v[8:9], off
	s_mov_b64 s[0:1], 0
.LBB11_1045:
	s_andn2_b64 vcc, exec, s[0:1]
	s_cbranch_vccnz .LBB11_1047
; %bb.1046:
	v_cvt_i32_f64_e32 v4, v[36:37]
	global_store_dword v[2:3], v4, off
.LBB11_1047:
	s_mov_b64 s[0:1], 0
.LBB11_1048:
	s_andn2_b64 vcc, exec, s[0:1]
	s_cbranch_vccnz .LBB11_1050
; %bb.1049:
	v_cvt_i32_f64_e32 v4, v[36:37]
	global_store_short v[2:3], v4, off
.LBB11_1050:
	s_mov_b64 s[0:1], 0
.LBB11_1051:
	s_andn2_b64 vcc, exec, s[0:1]
	s_cbranch_vccnz .LBB11_1056
; %bb.1052:
	s_cmp_gt_i32 s4, 0
	s_mov_b64 s[0:1], -1
	s_cbranch_scc0 .LBB11_1054
; %bb.1053:
	v_cvt_i32_f64_e32 v4, v[36:37]
	global_store_byte v[2:3], v4, off
	s_mov_b64 s[0:1], 0
.LBB11_1054:
	s_andn2_b64 vcc, exec, s[0:1]
	s_cbranch_vccnz .LBB11_1056
; %bb.1055:
	v_trunc_f64_e32 v[4:5], v[36:37]
	s_movk_i32 s0, 0xffe0
	v_ldexp_f64 v[6:7], v[4:5], s0
	v_floor_f64_e32 v[6:7], v[6:7]
	v_fmac_f64_e32 v[4:5], 0xc1f00000, v[6:7]
	v_cvt_u32_f64_e32 v4, v[4:5]
	global_store_byte v[2:3], v4, off
.LBB11_1056:
	s_branch .LBB11_942
.LBB11_1057:
	s_mov_b64 s[0:1], 0
	s_mov_b64 s[4:5], 0
                                        ; implicit-def: $sgpr12
                                        ; implicit-def: $vgpr4_vgpr5
.LBB11_1058:
	s_and_b64 s[56:57], s[4:5], exec
	s_andn2_b64 s[4:5], s[48:49], exec
	s_and_b64 s[2:3], s[2:3], exec
	s_and_b64 s[0:1], s[0:1], exec
	s_or_b64 s[48:49], s[4:5], s[2:3]
.LBB11_1059:
	s_or_b64 exec, exec, s[50:51]
	s_and_saveexec_b64 s[2:3], s[48:49]
	s_cbranch_execz .LBB11_1062
; %bb.1060:
	; divergent unreachable
	s_or_b64 exec, exec, s[2:3]
	s_and_saveexec_b64 s[2:3], s[56:57]
	s_xor_b64 s[2:3], exec, s[2:3]
	s_cbranch_execnz .LBB11_1063
.LBB11_1061:
	s_or_b64 exec, exec, s[2:3]
	s_and_saveexec_b64 s[2:3], s[0:1]
	s_cbranch_execnz .LBB11_1064
	s_branch .LBB11_1101
.LBB11_1062:
	s_or_b64 exec, exec, s[2:3]
	s_and_saveexec_b64 s[2:3], s[56:57]
	s_xor_b64 s[2:3], exec, s[2:3]
	s_cbranch_execz .LBB11_1061
.LBB11_1063:
	v_cmp_neq_f64_e32 vcc, 0, v[0:1]
	s_nop 1
	v_cndmask_b32_e64 v2, 0, 1, vcc
	global_store_byte v[4:5], v2, off
	s_or_b64 exec, exec, s[2:3]
	s_and_saveexec_b64 s[2:3], s[0:1]
	s_cbranch_execz .LBB11_1101
.LBB11_1064:
	s_sext_i32_i16 s2, s12
	s_cmp_lt_i32 s2, 5
	s_mov_b64 s[0:1], -1
	s_cbranch_scc1 .LBB11_1085
; %bb.1065:
	s_cmp_lt_i32 s2, 8
	s_cbranch_scc1 .LBB11_1075
; %bb.1066:
	s_cmp_lt_i32 s2, 9
	s_cbranch_scc1 .LBB11_1072
; %bb.1067:
	s_cmp_gt_i32 s2, 9
	s_cbranch_scc0 .LBB11_1069
; %bb.1068:
	v_mov_b32_e32 v2, 0
	v_mov_b32_e32 v3, v2
	global_store_dwordx4 v[4:5], v[0:3], off
	s_mov_b64 s[0:1], 0
.LBB11_1069:
	s_andn2_b64 vcc, exec, s[0:1]
	s_cbranch_vccnz .LBB11_1071
; %bb.1070:
	v_cvt_f32_f64_e32 v2, v[0:1]
	v_mov_b32_e32 v3, 0
	global_store_dwordx2 v[4:5], v[2:3], off
.LBB11_1071:
	s_mov_b64 s[0:1], 0
.LBB11_1072:
	s_andn2_b64 vcc, exec, s[0:1]
	s_cbranch_vccnz .LBB11_1074
; %bb.1073:
	s_movk_i32 s0, 0x1ff
	v_and_or_b32 v2, v1, s0, v0
	v_cmp_ne_u32_e32 vcc, 0, v2
	v_lshrrev_b32_e32 v3, 8, v1
	s_movk_i32 s0, 0xffe
	v_cndmask_b32_e64 v2, 0, 1, vcc
	v_bfe_u32 v6, v1, 20, 11
	v_and_or_b32 v2, v3, s0, v2
	v_sub_u32_e32 v7, 0x3f1, v6
	v_or_b32_e32 v3, 0x1000, v2
	v_med3_i32 v7, v7, 0, 13
	v_lshrrev_b32_e32 v8, v7, v3
	v_lshlrev_b32_e32 v7, v7, v8
	v_cmp_ne_u32_e32 vcc, v7, v3
	v_add_u32_e32 v6, 0xfffffc10, v6
	v_lshl_or_b32 v7, v6, 12, v2
	v_cndmask_b32_e64 v3, 0, 1, vcc
	v_or_b32_e32 v3, v8, v3
	v_cmp_gt_i32_e32 vcc, 1, v6
	s_movk_i32 s0, 0x40f
	s_nop 0
	v_cndmask_b32_e32 v3, v7, v3, vcc
	v_and_b32_e32 v7, 7, v3
	v_cmp_lt_i32_e32 vcc, 5, v7
	v_lshrrev_b32_e32 v3, 2, v3
	s_nop 0
	v_cndmask_b32_e64 v8, 0, 1, vcc
	v_cmp_eq_u32_e32 vcc, 3, v7
	s_nop 1
	v_cndmask_b32_e64 v7, 0, 1, vcc
	v_or_b32_e32 v7, v7, v8
	v_add_u32_e32 v3, v3, v7
	v_mov_b32_e32 v7, 0x7c00
	v_cmp_gt_i32_e32 vcc, 31, v6
	v_mov_b32_e32 v8, 0x7e00
	s_nop 0
	v_cndmask_b32_e32 v3, v7, v3, vcc
	v_cmp_ne_u32_e32 vcc, 0, v2
	s_nop 1
	v_cndmask_b32_e32 v2, v7, v8, vcc
	v_cmp_eq_u32_e32 vcc, s0, v6
	s_mov_b32 s0, 0x8000
	s_nop 0
	v_cndmask_b32_e32 v2, v3, v2, vcc
	v_and_b32_sdwa v3, v1, s0 dst_sel:DWORD dst_unused:UNUSED_PAD src0_sel:WORD_1 src1_sel:DWORD
	s_mov_b32 s0, 0xffff
	v_bitop3_b32 v2, v3, s0, v2 bitop3:0xc8
	global_store_dword v[4:5], v2, off
.LBB11_1074:
	s_mov_b64 s[0:1], 0
.LBB11_1075:
	s_andn2_b64 vcc, exec, s[0:1]
	s_cbranch_vccnz .LBB11_1084
; %bb.1076:
	s_sext_i32_i16 s2, s12
	s_cmp_lt_i32 s2, 6
	s_mov_b64 s[0:1], -1
	s_cbranch_scc1 .LBB11_1082
; %bb.1077:
	s_cmp_gt_i32 s2, 6
	s_cbranch_scc0 .LBB11_1079
; %bb.1078:
	global_store_dwordx2 v[4:5], v[0:1], off
	s_mov_b64 s[0:1], 0
.LBB11_1079:
	s_andn2_b64 vcc, exec, s[0:1]
	s_cbranch_vccnz .LBB11_1081
; %bb.1080:
	v_cvt_f32_f64_e32 v2, v[0:1]
	global_store_dword v[4:5], v2, off
.LBB11_1081:
	s_mov_b64 s[0:1], 0
.LBB11_1082:
	s_andn2_b64 vcc, exec, s[0:1]
	s_cbranch_vccnz .LBB11_1084
; %bb.1083:
	s_movk_i32 s0, 0x1ff
	v_and_or_b32 v2, v1, s0, v0
	v_cmp_ne_u32_e32 vcc, 0, v2
	v_lshrrev_b32_e32 v3, 8, v1
	s_movk_i32 s0, 0xffe
	v_cndmask_b32_e64 v2, 0, 1, vcc
	v_bfe_u32 v6, v1, 20, 11
	v_and_or_b32 v2, v3, s0, v2
	v_sub_u32_e32 v7, 0x3f1, v6
	v_or_b32_e32 v3, 0x1000, v2
	v_med3_i32 v7, v7, 0, 13
	v_lshrrev_b32_e32 v8, v7, v3
	v_lshlrev_b32_e32 v7, v7, v8
	v_cmp_ne_u32_e32 vcc, v7, v3
	v_add_u32_e32 v6, 0xfffffc10, v6
	v_lshl_or_b32 v7, v6, 12, v2
	v_cndmask_b32_e64 v3, 0, 1, vcc
	v_or_b32_e32 v3, v8, v3
	v_cmp_gt_i32_e32 vcc, 1, v6
	s_movk_i32 s0, 0x40f
	s_nop 0
	v_cndmask_b32_e32 v3, v7, v3, vcc
	v_and_b32_e32 v7, 7, v3
	v_cmp_lt_i32_e32 vcc, 5, v7
	v_lshrrev_b32_e32 v3, 2, v3
	s_nop 0
	v_cndmask_b32_e64 v8, 0, 1, vcc
	v_cmp_eq_u32_e32 vcc, 3, v7
	s_nop 1
	v_cndmask_b32_e64 v7, 0, 1, vcc
	v_or_b32_e32 v7, v7, v8
	v_add_u32_e32 v3, v3, v7
	v_mov_b32_e32 v7, 0x7c00
	v_cmp_gt_i32_e32 vcc, 31, v6
	v_mov_b32_e32 v8, 0x7e00
	s_nop 0
	v_cndmask_b32_e32 v3, v7, v3, vcc
	v_cmp_ne_u32_e32 vcc, 0, v2
	s_nop 1
	v_cndmask_b32_e32 v2, v7, v8, vcc
	v_cmp_eq_u32_e32 vcc, s0, v6
	s_mov_b32 s0, 0x8000
	s_nop 0
	v_cndmask_b32_e32 v2, v3, v2, vcc
	v_lshrrev_b32_e32 v3, 16, v1
	v_and_or_b32 v2, v3, s0, v2
	global_store_short v[4:5], v2, off
.LBB11_1084:
	s_mov_b64 s[0:1], 0
.LBB11_1085:
	s_andn2_b64 vcc, exec, s[0:1]
	s_cbranch_vccnz .LBB11_1101
; %bb.1086:
	s_sext_i32_i16 s2, s12
	s_cmp_lt_i32 s2, 2
	s_mov_b64 s[0:1], -1
	s_cbranch_scc1 .LBB11_1096
; %bb.1087:
	s_cmp_lt_i32 s2, 3
	s_cbranch_scc1 .LBB11_1093
; %bb.1088:
	s_cmp_gt_i32 s2, 3
	s_cbranch_scc0 .LBB11_1090
; %bb.1089:
	v_trunc_f64_e32 v[2:3], v[0:1]
	s_movk_i32 s0, 0xffe0
	v_ldexp_f64 v[6:7], v[2:3], s0
	v_floor_f64_e32 v[6:7], v[6:7]
	v_fmac_f64_e32 v[2:3], 0xc1f00000, v[6:7]
	v_cvt_i32_f64_e32 v9, v[6:7]
	v_cvt_u32_f64_e32 v8, v[2:3]
	global_store_dwordx2 v[4:5], v[8:9], off
	s_mov_b64 s[0:1], 0
.LBB11_1090:
	s_andn2_b64 vcc, exec, s[0:1]
	s_cbranch_vccnz .LBB11_1092
; %bb.1091:
	v_cvt_i32_f64_e32 v2, v[0:1]
	global_store_dword v[4:5], v2, off
.LBB11_1092:
	s_mov_b64 s[0:1], 0
.LBB11_1093:
	s_andn2_b64 vcc, exec, s[0:1]
	s_cbranch_vccnz .LBB11_1095
; %bb.1094:
	v_cvt_i32_f64_e32 v2, v[0:1]
	global_store_short v[4:5], v2, off
.LBB11_1095:
	s_mov_b64 s[0:1], 0
.LBB11_1096:
	s_andn2_b64 vcc, exec, s[0:1]
	s_cbranch_vccnz .LBB11_1101
; %bb.1097:
	s_sext_i32_i16 s0, s12
	s_cmp_gt_i32 s0, 0
	s_mov_b64 s[0:1], -1
	s_cbranch_scc0 .LBB11_1099
; %bb.1098:
	v_cvt_i32_f64_e32 v2, v[0:1]
	global_store_byte v[4:5], v2, off
	s_mov_b64 s[0:1], 0
.LBB11_1099:
	s_andn2_b64 vcc, exec, s[0:1]
	s_cbranch_vccnz .LBB11_1101
; %bb.1100:
	v_trunc_f64_e32 v[0:1], v[0:1]
	s_movk_i32 s0, 0xffe0
	v_ldexp_f64 v[2:3], v[0:1], s0
	v_floor_f64_e32 v[2:3], v[2:3]
	v_fmac_f64_e32 v[0:1], 0xc1f00000, v[2:3]
	v_cvt_u32_f64_e32 v0, v[0:1]
	global_store_byte v[4:5], v0, off
	s_endpgm
.LBB11_1101:
	s_endpgm
.LBB11_1102:
	s_mov_b64 s[4:5], 0
	s_mov_b64 s[0:1], -1
	s_branch .LBB11_1058
.LBB11_1103:
	s_andn2_saveexec_b64 s[8:9], s[8:9]
	s_cbranch_execz .LBB11_655
.LBB11_1104:
	s_mov_b32 s12, 0x46000000
	v_add_f32_e64 v5, |v4|, s12
	v_and_b32_e32 v5, 0xff, v5
	v_cmp_ne_u32_e32 vcc, 0, v5
	s_andn2_b64 s[6:7], s[6:7], exec
	s_and_b64 s[12:13], vcc, exec
	s_or_b64 s[6:7], s[6:7], s[12:13]
	s_or_b64 exec, exec, s[8:9]
	v_mov_b32_e32 v6, 0
	s_and_saveexec_b64 s[8:9], s[6:7]
	s_cbranch_execnz .LBB11_656
	s_branch .LBB11_657
.LBB11_1105:
	s_or_b64 s[2:3], s[48:49], exec
	s_trap 2
	s_cbranch_execz .LBB11_703
	s_branch .LBB11_704
.LBB11_1106:
	s_andn2_saveexec_b64 s[6:7], s[6:7]
	s_cbranch_execz .LBB11_668
.LBB11_1107:
	s_mov_b32 s8, 0x42800000
	v_add_f32_e64 v5, |v4|, s8
	v_and_b32_e32 v5, 0xff, v5
	v_cmp_ne_u32_e32 vcc, 0, v5
	s_andn2_b64 s[4:5], s[4:5], exec
	s_and_b64 s[8:9], vcc, exec
	s_or_b64 s[4:5], s[4:5], s[8:9]
	s_or_b64 exec, exec, s[6:7]
	v_mov_b32_e32 v6, 0
	s_and_saveexec_b64 s[6:7], s[4:5]
	s_cbranch_execnz .LBB11_669
	s_branch .LBB11_670
.LBB11_1108:
	s_andn2_saveexec_b64 s[10:11], s[10:11]
	s_cbranch_execz .LBB11_773
.LBB11_1109:
	s_mov_b32 s14, 0x46000000
	v_add_f32_e64 v5, |v4|, s14
	v_and_b32_e32 v5, 0xff, v5
	v_cmp_ne_u32_e32 vcc, 0, v5
	s_andn2_b64 s[8:9], s[8:9], exec
	s_and_b64 s[14:15], vcc, exec
	s_or_b64 s[8:9], s[8:9], s[14:15]
	s_or_b64 exec, exec, s[10:11]
	v_mov_b32_e32 v6, 0
	s_and_saveexec_b64 s[10:11], s[8:9]
	s_cbranch_execnz .LBB11_774
	s_branch .LBB11_775
.LBB11_1110:
	s_trap 2
	s_or_b64 s[2:3], s[2:3], exec
	s_cbranch_execz .LBB11_821
	s_branch .LBB11_822
.LBB11_1111:
	s_andn2_saveexec_b64 s[8:9], s[8:9]
	s_cbranch_execz .LBB11_786
.LBB11_1112:
	s_mov_b32 s10, 0x42800000
	v_add_f32_e64 v5, |v4|, s10
	v_and_b32_e32 v5, 0xff, v5
	v_cmp_ne_u32_e32 vcc, 0, v5
	s_andn2_b64 s[6:7], s[6:7], exec
	s_and_b64 s[10:11], vcc, exec
	s_or_b64 s[6:7], s[6:7], s[10:11]
	s_or_b64 exec, exec, s[8:9]
	v_mov_b32_e32 v6, 0
	s_and_saveexec_b64 s[8:9], s[6:7]
	s_cbranch_execnz .LBB11_787
	s_branch .LBB11_788
.LBB11_1113:
	s_andn2_saveexec_b64 s[10:11], s[10:11]
	s_cbranch_execz .LBB11_891
.LBB11_1114:
	s_mov_b32 s14, 0x46000000
	v_add_f32_e64 v5, |v4|, s14
	v_and_b32_e32 v5, 0xff, v5
	v_cmp_ne_u32_e32 vcc, 0, v5
	s_andn2_b64 s[8:9], s[8:9], exec
	s_and_b64 s[14:15], vcc, exec
	s_or_b64 s[8:9], s[8:9], s[14:15]
	s_or_b64 exec, exec, s[10:11]
	v_mov_b32_e32 v6, 0
	s_and_saveexec_b64 s[10:11], s[8:9]
	s_cbranch_execnz .LBB11_892
	s_branch .LBB11_893
.LBB11_1115:
	s_trap 2
	s_or_b64 s[2:3], s[2:3], exec
	s_cbranch_execz .LBB11_939
	s_branch .LBB11_940
.LBB11_1116:
	s_andn2_saveexec_b64 s[6:7], s[6:7]
	s_cbranch_execz .LBB11_341
.LBB11_1117:
	s_mov_b32 s10, 0x46000000
	v_add_f32_e64 v3, |v2|, s10
	v_and_b32_e32 v3, 0xff, v3
	v_cmp_ne_u32_e32 vcc, 0, v3
	s_andn2_b64 s[4:5], s[4:5], exec
	s_and_b64 s[10:11], vcc, exec
	s_or_b64 s[4:5], s[4:5], s[10:11]
	s_or_b64 exec, exec, s[6:7]
	v_mov_b32_e32 v6, 0
	s_and_saveexec_b64 s[6:7], s[4:5]
	s_cbranch_execnz .LBB11_342
	s_branch .LBB11_343
.LBB11_1118:
	s_andn2_saveexec_b64 s[8:9], s[8:9]
	s_cbranch_execz .LBB11_904
.LBB11_1119:
	s_mov_b32 s10, 0x42800000
	v_add_f32_e64 v5, |v4|, s10
	v_and_b32_e32 v5, 0xff, v5
	v_cmp_ne_u32_e32 vcc, 0, v5
	s_andn2_b64 s[6:7], s[6:7], exec
	s_and_b64 s[10:11], vcc, exec
	s_or_b64 s[6:7], s[6:7], s[10:11]
	s_or_b64 exec, exec, s[8:9]
	v_mov_b32_e32 v6, 0
	s_and_saveexec_b64 s[8:9], s[6:7]
	s_cbranch_execnz .LBB11_905
	s_branch .LBB11_906
.LBB11_1120:
	s_andn2_saveexec_b64 s[10:11], s[10:11]
	s_cbranch_execz .LBB11_971
.LBB11_1121:
	s_mov_b32 s14, 0x46000000
	v_add_f32_e64 v3, |v2|, s14
	v_and_b32_e32 v3, 0xff, v3
	v_cmp_ne_u32_e32 vcc, 0, v3
	s_andn2_b64 s[8:9], s[8:9], exec
	s_and_b64 s[14:15], vcc, exec
	s_or_b64 s[8:9], s[8:9], s[14:15]
	s_or_b64 exec, exec, s[10:11]
	v_mov_b32_e32 v6, 0
	s_and_saveexec_b64 s[10:11], s[8:9]
	s_cbranch_execnz .LBB11_972
	s_branch .LBB11_973
.LBB11_1122:
	s_mov_b64 s[4:5], 0
	s_or_b64 s[2:3], s[2:3], exec
	s_trap 2
	s_branch .LBB11_1017
.LBB11_1123:
	s_andn2_saveexec_b64 s[6:7], s[6:7]
	s_cbranch_execz .LBB11_354
.LBB11_1124:
	s_mov_b32 s10, 0x42800000
	v_add_f32_e64 v3, |v2|, s10
	v_and_b32_e32 v3, 0xff, v3
	v_cmp_ne_u32_e32 vcc, 0, v3
	s_andn2_b64 s[4:5], s[4:5], exec
	s_and_b64 s[10:11], vcc, exec
	s_or_b64 s[4:5], s[4:5], s[10:11]
	s_or_b64 exec, exec, s[6:7]
	v_mov_b32_e32 v6, 0
	s_and_saveexec_b64 s[6:7], s[4:5]
	s_cbranch_execnz .LBB11_355
	s_branch .LBB11_356
.LBB11_1125:
	s_andn2_saveexec_b64 s[6:7], s[6:7]
	s_cbranch_execz .LBB11_479
.LBB11_1126:
	s_mov_b32 s8, 0x46000000
	v_add_f32_e64 v3, |v2|, s8
	v_and_b32_e32 v3, 0xff, v3
	v_cmp_ne_u32_e32 vcc, 0, v3
	s_andn2_b64 s[4:5], s[4:5], exec
	s_and_b64 s[8:9], vcc, exec
	s_or_b64 s[4:5], s[4:5], s[8:9]
	s_or_b64 exec, exec, s[6:7]
	v_mov_b32_e32 v6, 0
	s_and_saveexec_b64 s[6:7], s[4:5]
	s_cbranch_execnz .LBB11_480
	s_branch .LBB11_481
.LBB11_1127:
	s_andn2_saveexec_b64 s[8:9], s[8:9]
	s_cbranch_execz .LBB11_983
.LBB11_1128:
	s_mov_b32 s10, 0x42800000
	v_add_f32_e64 v3, |v2|, s10
	v_and_b32_e32 v3, 0xff, v3
	v_cmp_ne_u32_e32 vcc, 0, v3
	s_andn2_b64 s[6:7], s[6:7], exec
	s_and_b64 s[10:11], vcc, exec
	s_or_b64 s[6:7], s[6:7], s[10:11]
	s_or_b64 exec, exec, s[8:9]
	v_mov_b32_e32 v6, 0
	s_and_saveexec_b64 s[8:9], s[6:7]
	s_cbranch_execnz .LBB11_984
	s_branch .LBB11_985
.LBB11_1129:
	s_andn2_saveexec_b64 s[8:9], s[8:9]
	s_cbranch_execz .LBB11_491
.LBB11_1130:
	s_mov_b32 s12, 0x42800000
	v_add_f32_e64 v3, |v2|, s12
	v_and_b32_e32 v3, 0xff, v3
	v_cmp_ne_u32_e32 vcc, 0, v3
	s_andn2_b64 s[6:7], s[6:7], exec
	s_and_b64 s[12:13], vcc, exec
	s_or_b64 s[6:7], s[6:7], s[12:13]
	s_or_b64 exec, exec, s[8:9]
	v_mov_b32_e32 v6, 0
	s_and_saveexec_b64 s[8:9], s[6:7]
	s_cbranch_execnz .LBB11_492
	s_branch .LBB11_493
	.section	.rodata,"a",@progbits
	.p2align	6, 0x0
	.amdhsa_kernel _ZN2at6native32elementwise_kernel_manual_unrollILi128ELi4EZNS0_15gpu_kernel_implIZZZNS0_12_GLOBAL__N_119airy_ai_kernel_cudaERNS_18TensorIteratorBaseEENKUlvE_clEvENKUlvE_clEvEUldE_EEvS5_RKT_EUlibE0_EEviT1_
		.amdhsa_group_segment_fixed_size 0
		.amdhsa_private_segment_fixed_size 0
		.amdhsa_kernarg_size 360
		.amdhsa_user_sgpr_count 2
		.amdhsa_user_sgpr_dispatch_ptr 0
		.amdhsa_user_sgpr_queue_ptr 0
		.amdhsa_user_sgpr_kernarg_segment_ptr 1
		.amdhsa_user_sgpr_dispatch_id 0
		.amdhsa_user_sgpr_kernarg_preload_length 0
		.amdhsa_user_sgpr_kernarg_preload_offset 0
		.amdhsa_user_sgpr_private_segment_size 0
		.amdhsa_uses_dynamic_stack 0
		.amdhsa_enable_private_segment 0
		.amdhsa_system_sgpr_workgroup_id_x 1
		.amdhsa_system_sgpr_workgroup_id_y 0
		.amdhsa_system_sgpr_workgroup_id_z 0
		.amdhsa_system_sgpr_workgroup_info 0
		.amdhsa_system_vgpr_workitem_id 0
		.amdhsa_next_free_vgpr 54
		.amdhsa_next_free_sgpr 87
		.amdhsa_accum_offset 56
		.amdhsa_reserve_vcc 1
		.amdhsa_float_round_mode_32 0
		.amdhsa_float_round_mode_16_64 0
		.amdhsa_float_denorm_mode_32 3
		.amdhsa_float_denorm_mode_16_64 3
		.amdhsa_dx10_clamp 1
		.amdhsa_ieee_mode 1
		.amdhsa_fp16_overflow 0
		.amdhsa_tg_split 0
		.amdhsa_exception_fp_ieee_invalid_op 0
		.amdhsa_exception_fp_denorm_src 0
		.amdhsa_exception_fp_ieee_div_zero 0
		.amdhsa_exception_fp_ieee_overflow 0
		.amdhsa_exception_fp_ieee_underflow 0
		.amdhsa_exception_fp_ieee_inexact 0
		.amdhsa_exception_int_div_zero 0
	.end_amdhsa_kernel
	.section	.text._ZN2at6native32elementwise_kernel_manual_unrollILi128ELi4EZNS0_15gpu_kernel_implIZZZNS0_12_GLOBAL__N_119airy_ai_kernel_cudaERNS_18TensorIteratorBaseEENKUlvE_clEvENKUlvE_clEvEUldE_EEvS5_RKT_EUlibE0_EEviT1_,"axG",@progbits,_ZN2at6native32elementwise_kernel_manual_unrollILi128ELi4EZNS0_15gpu_kernel_implIZZZNS0_12_GLOBAL__N_119airy_ai_kernel_cudaERNS_18TensorIteratorBaseEENKUlvE_clEvENKUlvE_clEvEUldE_EEvS5_RKT_EUlibE0_EEviT1_,comdat
.Lfunc_end11:
	.size	_ZN2at6native32elementwise_kernel_manual_unrollILi128ELi4EZNS0_15gpu_kernel_implIZZZNS0_12_GLOBAL__N_119airy_ai_kernel_cudaERNS_18TensorIteratorBaseEENKUlvE_clEvENKUlvE_clEvEUldE_EEvS5_RKT_EUlibE0_EEviT1_, .Lfunc_end11-_ZN2at6native32elementwise_kernel_manual_unrollILi128ELi4EZNS0_15gpu_kernel_implIZZZNS0_12_GLOBAL__N_119airy_ai_kernel_cudaERNS_18TensorIteratorBaseEENKUlvE_clEvENKUlvE_clEvEUldE_EEvS5_RKT_EUlibE0_EEviT1_
                                        ; -- End function
	.set _ZN2at6native32elementwise_kernel_manual_unrollILi128ELi4EZNS0_15gpu_kernel_implIZZZNS0_12_GLOBAL__N_119airy_ai_kernel_cudaERNS_18TensorIteratorBaseEENKUlvE_clEvENKUlvE_clEvEUldE_EEvS5_RKT_EUlibE0_EEviT1_.num_vgpr, max(54, .L_ZN2at6native6invokeIZZZNS0_12_GLOBAL__N_119airy_ai_kernel_cudaERNS_18TensorIteratorBaseEENKUlvE_clEvENKUlvE_clEvEUldE_j15function_traitsIS7_EEENT1_11result_typeERKT_PrKPcPKT0_PKN3c1010ScalarTypeEi.num_vgpr)
	.set _ZN2at6native32elementwise_kernel_manual_unrollILi128ELi4EZNS0_15gpu_kernel_implIZZZNS0_12_GLOBAL__N_119airy_ai_kernel_cudaERNS_18TensorIteratorBaseEENKUlvE_clEvENKUlvE_clEvEUldE_EEvS5_RKT_EUlibE0_EEviT1_.num_agpr, max(0, .L_ZN2at6native6invokeIZZZNS0_12_GLOBAL__N_119airy_ai_kernel_cudaERNS_18TensorIteratorBaseEENKUlvE_clEvENKUlvE_clEvEUldE_j15function_traitsIS7_EEENT1_11result_typeERKT_PrKPcPKT0_PKN3c1010ScalarTypeEi.num_agpr)
	.set _ZN2at6native32elementwise_kernel_manual_unrollILi128ELi4EZNS0_15gpu_kernel_implIZZZNS0_12_GLOBAL__N_119airy_ai_kernel_cudaERNS_18TensorIteratorBaseEENKUlvE_clEvENKUlvE_clEvEUldE_EEvS5_RKT_EUlibE0_EEviT1_.numbered_sgpr, max(87, .L_ZN2at6native6invokeIZZZNS0_12_GLOBAL__N_119airy_ai_kernel_cudaERNS_18TensorIteratorBaseEENKUlvE_clEvENKUlvE_clEvEUldE_j15function_traitsIS7_EEENT1_11result_typeERKT_PrKPcPKT0_PKN3c1010ScalarTypeEi.numbered_sgpr)
	.set _ZN2at6native32elementwise_kernel_manual_unrollILi128ELi4EZNS0_15gpu_kernel_implIZZZNS0_12_GLOBAL__N_119airy_ai_kernel_cudaERNS_18TensorIteratorBaseEENKUlvE_clEvENKUlvE_clEvEUldE_EEvS5_RKT_EUlibE0_EEviT1_.num_named_barrier, max(0, .L_ZN2at6native6invokeIZZZNS0_12_GLOBAL__N_119airy_ai_kernel_cudaERNS_18TensorIteratorBaseEENKUlvE_clEvENKUlvE_clEvEUldE_j15function_traitsIS7_EEENT1_11result_typeERKT_PrKPcPKT0_PKN3c1010ScalarTypeEi.num_named_barrier)
	.set _ZN2at6native32elementwise_kernel_manual_unrollILi128ELi4EZNS0_15gpu_kernel_implIZZZNS0_12_GLOBAL__N_119airy_ai_kernel_cudaERNS_18TensorIteratorBaseEENKUlvE_clEvENKUlvE_clEvEUldE_EEvS5_RKT_EUlibE0_EEviT1_.private_seg_size, 0+max(.L_ZN2at6native6invokeIZZZNS0_12_GLOBAL__N_119airy_ai_kernel_cudaERNS_18TensorIteratorBaseEENKUlvE_clEvENKUlvE_clEvEUldE_j15function_traitsIS7_EEENT1_11result_typeERKT_PrKPcPKT0_PKN3c1010ScalarTypeEi.private_seg_size)
	.set _ZN2at6native32elementwise_kernel_manual_unrollILi128ELi4EZNS0_15gpu_kernel_implIZZZNS0_12_GLOBAL__N_119airy_ai_kernel_cudaERNS_18TensorIteratorBaseEENKUlvE_clEvENKUlvE_clEvEUldE_EEvS5_RKT_EUlibE0_EEviT1_.uses_vcc, or(1, .L_ZN2at6native6invokeIZZZNS0_12_GLOBAL__N_119airy_ai_kernel_cudaERNS_18TensorIteratorBaseEENKUlvE_clEvENKUlvE_clEvEUldE_j15function_traitsIS7_EEENT1_11result_typeERKT_PrKPcPKT0_PKN3c1010ScalarTypeEi.uses_vcc)
	.set _ZN2at6native32elementwise_kernel_manual_unrollILi128ELi4EZNS0_15gpu_kernel_implIZZZNS0_12_GLOBAL__N_119airy_ai_kernel_cudaERNS_18TensorIteratorBaseEENKUlvE_clEvENKUlvE_clEvEUldE_EEvS5_RKT_EUlibE0_EEviT1_.uses_flat_scratch, or(0, .L_ZN2at6native6invokeIZZZNS0_12_GLOBAL__N_119airy_ai_kernel_cudaERNS_18TensorIteratorBaseEENKUlvE_clEvENKUlvE_clEvEUldE_j15function_traitsIS7_EEENT1_11result_typeERKT_PrKPcPKT0_PKN3c1010ScalarTypeEi.uses_flat_scratch)
	.set _ZN2at6native32elementwise_kernel_manual_unrollILi128ELi4EZNS0_15gpu_kernel_implIZZZNS0_12_GLOBAL__N_119airy_ai_kernel_cudaERNS_18TensorIteratorBaseEENKUlvE_clEvENKUlvE_clEvEUldE_EEvS5_RKT_EUlibE0_EEviT1_.has_dyn_sized_stack, or(0, .L_ZN2at6native6invokeIZZZNS0_12_GLOBAL__N_119airy_ai_kernel_cudaERNS_18TensorIteratorBaseEENKUlvE_clEvENKUlvE_clEvEUldE_j15function_traitsIS7_EEENT1_11result_typeERKT_PrKPcPKT0_PKN3c1010ScalarTypeEi.has_dyn_sized_stack)
	.set _ZN2at6native32elementwise_kernel_manual_unrollILi128ELi4EZNS0_15gpu_kernel_implIZZZNS0_12_GLOBAL__N_119airy_ai_kernel_cudaERNS_18TensorIteratorBaseEENKUlvE_clEvENKUlvE_clEvEUldE_EEvS5_RKT_EUlibE0_EEviT1_.has_recursion, or(0, .L_ZN2at6native6invokeIZZZNS0_12_GLOBAL__N_119airy_ai_kernel_cudaERNS_18TensorIteratorBaseEENKUlvE_clEvENKUlvE_clEvEUldE_j15function_traitsIS7_EEENT1_11result_typeERKT_PrKPcPKT0_PKN3c1010ScalarTypeEi.has_recursion)
	.set _ZN2at6native32elementwise_kernel_manual_unrollILi128ELi4EZNS0_15gpu_kernel_implIZZZNS0_12_GLOBAL__N_119airy_ai_kernel_cudaERNS_18TensorIteratorBaseEENKUlvE_clEvENKUlvE_clEvEUldE_EEvS5_RKT_EUlibE0_EEviT1_.has_indirect_call, or(0, .L_ZN2at6native6invokeIZZZNS0_12_GLOBAL__N_119airy_ai_kernel_cudaERNS_18TensorIteratorBaseEENKUlvE_clEvENKUlvE_clEvEUldE_j15function_traitsIS7_EEENT1_11result_typeERKT_PrKPcPKT0_PKN3c1010ScalarTypeEi.has_indirect_call)
	.section	.AMDGPU.csdata,"",@progbits
; Kernel info:
; codeLenInByte = 26144
; TotalNumSgprs: 93
; NumVgprs: 54
; NumAgprs: 0
; TotalNumVgprs: 54
; ScratchSize: 0
; MemoryBound: 0
; FloatMode: 240
; IeeeMode: 1
; LDSByteSize: 0 bytes/workgroup (compile time only)
; SGPRBlocks: 11
; VGPRBlocks: 6
; NumSGPRsForWavesPerEU: 93
; NumVGPRsForWavesPerEU: 54
; AccumOffset: 56
; Occupancy: 8
; WaveLimiterHint : 1
; COMPUTE_PGM_RSRC2:SCRATCH_EN: 0
; COMPUTE_PGM_RSRC2:USER_SGPR: 2
; COMPUTE_PGM_RSRC2:TRAP_HANDLER: 0
; COMPUTE_PGM_RSRC2:TGID_X_EN: 1
; COMPUTE_PGM_RSRC2:TGID_Y_EN: 0
; COMPUTE_PGM_RSRC2:TGID_Z_EN: 0
; COMPUTE_PGM_RSRC2:TIDIG_COMP_CNT: 0
; COMPUTE_PGM_RSRC3_GFX90A:ACCUM_OFFSET: 13
; COMPUTE_PGM_RSRC3_GFX90A:TG_SPLIT: 0
	.text
	.p2align	2                               ; -- Begin function _ZN2at6native25elementwise_kernel_helperILb0EZZZNS0_12_GLOBAL__N_119airy_ai_kernel_cudaERNS_18TensorIteratorBaseEENKUlvE_clEvENKUlvE0_clEvEUlfE_NS0_6memory8policies11unroll_baseILi256ESt5arrayIPcLm2EE23TrivialOffsetCalculatorILi1EjESF_NS8_15LoadWithoutCastENS8_16StoreWithoutCastELi4ELi1EEEEEvT0_T1_
	.type	_ZN2at6native25elementwise_kernel_helperILb0EZZZNS0_12_GLOBAL__N_119airy_ai_kernel_cudaERNS_18TensorIteratorBaseEENKUlvE_clEvENKUlvE0_clEvEUlfE_NS0_6memory8policies11unroll_baseILi256ESt5arrayIPcLm2EE23TrivialOffsetCalculatorILi1EjESF_NS8_15LoadWithoutCastENS8_16StoreWithoutCastELi4ELi1EEEEEvT0_T1_,@function
_ZN2at6native25elementwise_kernel_helperILb0EZZZNS0_12_GLOBAL__N_119airy_ai_kernel_cudaERNS_18TensorIteratorBaseEENKUlvE_clEvENKUlvE0_clEvEUlfE_NS0_6memory8policies11unroll_baseILi256ESt5arrayIPcLm2EE23TrivialOffsetCalculatorILi1EjESF_NS8_15LoadWithoutCastENS8_16StoreWithoutCastELi4ELi1EEEEEvT0_T1_: ; @_ZN2at6native25elementwise_kernel_helperILb0EZZZNS0_12_GLOBAL__N_119airy_ai_kernel_cudaERNS_18TensorIteratorBaseEENKUlvE_clEvENKUlvE0_clEvEUlfE_NS0_6memory8policies11unroll_baseILi256ESt5arrayIPcLm2EE23TrivialOffsetCalculatorILi1EjESF_NS8_15LoadWithoutCastENS8_16StoreWithoutCastELi4ELi1EEEEEvT0_T1_
; %bb.0:
	s_waitcnt vmcnt(0) expcnt(0) lgkmcnt(0)
	v_and_b32_e32 v20, 0x3ff, v31
	s_lshl_b32 s20, s12, 10
	v_cmp_lt_i32_e64 s[0:1], v20, v4
	v_mov_b32_e32 v15, 0
	v_or_b32_e32 v8, s20, v20
	v_mov_b32_e32 v7, 0
	v_mov_b32_e32 v5, v20
	s_and_saveexec_b64 s[2:3], s[0:1]
	s_cbranch_execz .LBB12_2
; %bb.1:
	v_mov_b32_e32 v9, 0
	v_lshl_add_u64 v[6:7], v[8:9], 2, v[2:3]
	flat_load_dword v7, v[6:7]
	v_add_u32_e32 v5, 0x100, v20
.LBB12_2:
	s_or_b64 exec, exec, s[2:3]
	v_cmp_lt_i32_e32 vcc, v5, v4
	s_and_saveexec_b64 s[2:3], vcc
	s_cbranch_execz .LBB12_4
; %bb.3:
	v_add_u32_e32 v10, s20, v5
	v_mov_b32_e32 v11, 0
	v_lshl_add_u64 v[10:11], v[10:11], 2, v[2:3]
	flat_load_dword v15, v[10:11]
	v_add_u32_e32 v5, 0x100, v5
.LBB12_4:
	s_or_b64 exec, exec, s[2:3]
	v_cmp_lt_i32_e32 vcc, v5, v4
	v_mov_b32_e32 v11, 0
	v_mov_b32_e32 v13, 0
	s_and_saveexec_b64 s[2:3], vcc
	s_cbranch_execz .LBB12_6
; %bb.5:
	v_add_u32_e32 v12, s20, v5
	v_mov_b32_e32 v13, 0
	v_lshl_add_u64 v[12:13], v[12:13], 2, v[2:3]
	flat_load_dword v13, v[12:13]
	v_add_u32_e32 v5, 0x100, v5
.LBB12_6:
	s_or_b64 exec, exec, s[2:3]
	v_cmp_lt_i32_e32 vcc, v5, v4
	s_and_saveexec_b64 s[2:3], vcc
	s_cbranch_execz .LBB12_8
; %bb.7:
	v_add_u32_e32 v10, s20, v5
	v_mov_b32_e32 v11, 0
	v_lshl_add_u64 v[2:3], v[10:11], 2, v[2:3]
	flat_load_dword v11, v[2:3]
.LBB12_8:
	s_or_b64 exec, exec, s[2:3]
	v_mov_b32_e32 v2, 0
	v_mov_b32_e32 v5, v2
	;; [unrolled: 1-line block ×4, first 2 shown]
	s_and_saveexec_b64 s[8:9], s[0:1]
	s_cbranch_execz .LBB12_32
; %bb.9:
	s_mov_b32 s2, 0x7f800000
	s_waitcnt vmcnt(0) lgkmcnt(0)
	v_cmp_neq_f32_e64 s[2:3], |v7|, s2
	v_mov_b32_e32 v2, 0x7fc00000
	s_and_saveexec_b64 s[10:11], s[2:3]
	s_cbranch_execz .LBB12_31
; %bb.10:
	s_mov_b32 s2, 0x42cfc8b4
	v_cmp_nlt_f32_e32 vcc, s2, v7
	v_mov_b32_e32 v2, 0
	s_and_saveexec_b64 s[12:13], vcc
	s_cbranch_execz .LBB12_30
; %bb.11:
	s_mov_b32 s2, 0xc005c28f
	v_cmp_ngt_f32_e32 vcc, s2, v7
                                        ; implicit-def: $vgpr2
	s_and_saveexec_b64 s[2:3], vcc
	s_xor_b64 s[4:5], exec, s[2:3]
	s_cbranch_execz .LBB12_19
; %bb.12:
	s_mov_b32 s2, 0x4005c28f
	v_cmp_nle_f32_e64 s[6:7], s2, v7
	v_cmp_le_f32_e32 vcc, s2, v7
	v_mov_b32_e32 v2, 0
	s_mov_b64 s[2:3], s[6:7]
	s_and_saveexec_b64 s[14:15], vcc
	s_cbranch_execz .LBB12_14
; %bb.13:
	s_mov_b32 s16, 0xf800000
	v_mul_f32_e32 v2, 0x4f800000, v7
	v_cmp_gt_f32_e32 vcc, s16, v7
	v_add_f32_e32 v5, v7, v7
	s_mov_b32 s17, 0x40400000
	v_cndmask_b32_e32 v2, v7, v2, vcc
	v_sqrt_f32_e32 v3, v2
	s_nop 0
	v_add_u32_e32 v6, -1, v3
	v_fma_f32 v9, -v6, v3, v2
	v_cmp_ge_f32_e64 s[2:3], 0, v9
	v_add_u32_e32 v9, 1, v3
	s_nop 0
	v_cndmask_b32_e64 v6, v3, v6, s[2:3]
	v_fma_f32 v3, -v9, v3, v2
	v_cmp_lt_f32_e64 s[2:3], 0, v3
	s_nop 1
	v_cndmask_b32_e64 v3, v6, v9, s[2:3]
	v_mul_f32_e32 v6, 0x37800000, v3
	v_mov_b32_e32 v9, 0x260
	v_cndmask_b32_e32 v3, v3, v6, vcc
	v_cmp_class_f32_e32 vcc, v2, v9
	s_nop 1
	v_cndmask_b32_e32 v10, v3, v2, vcc
	v_mul_f32_e32 v2, v5, v10
	v_div_scale_f32 v3, s[2:3], s17, s17, v2
	v_rcp_f32_e32 v5, v3
	s_nop 0
	v_fma_f32 v6, -v3, v5, 1.0
	v_fmac_f32_e32 v5, v6, v5
	v_div_scale_f32 v6, vcc, v2, s17, v2
	v_mul_f32_e32 v12, v6, v5
	v_fma_f32 v14, -v3, v12, v6
	v_fmac_f32_e32 v12, v14, v5
	v_fma_f32 v3, -v3, v12, v6
	v_div_fmas_f32 v3, v3, v5, v12
	v_div_fixup_f32 v5, v3, s17, v2
	v_div_scale_f32 v2, s[2:3], v5, v5, 1.0
	v_rcp_f32_e32 v3, v2
	s_mov_b32 s2, 0x3eb16d71
	s_mov_b32 s3, 0x3f114de0
	v_fma_f32 v6, -v2, v3, 1.0
	v_fmac_f32_e32 v3, v6, v3
	v_div_scale_f32 v6, vcc, 1.0, v5, 1.0
	v_mul_f32_e32 v12, v6, v3
	v_fma_f32 v14, -v2, v12, v6
	v_fmac_f32_e32 v12, v14, v3
	v_fma_f32 v2, -v2, v12, v6
	v_div_fmas_f32 v2, v2, v3, v12
	v_div_fixup_f32 v2, v2, v5, 1.0
	v_mul_f32_e32 v6, 0, v2
	v_pk_add_f32 v[16:17], v[6:7], s[2:3] op_sel_hi:[0,1]
	s_mov_b32 s2, 0x41401f1c
	s_mov_b32 s3, 0x416c19a0
	v_pk_fma_f32 v[16:17], v[2:3], v[16:17], s[2:3] op_sel_hi:[0,1,1]
	s_mov_b32 s2, 0x42988f28
	s_mov_b32 s3, 0x42a9071e
	v_pk_fma_f32 v[16:17], v[2:3], v[16:17], s[2:3] op_sel_hi:[0,1,1]
	;; [unrolled: 3-line block ×6, first 2 shown]
	v_pk_fma_f32 v[2:3], v[2:3], v[16:17], 1.0 op_sel_hi:[0,1,0]
	v_div_scale_f32 v6, s[2:3], v3, v3, v2
	v_rcp_f32_e32 v12, v6
	v_cmp_gt_f32_e64 s[2:3], s16, v10
	v_fma_f32 v14, -v6, v12, 1.0
	v_fmac_f32_e32 v12, v14, v12
	v_div_scale_f32 v14, vcc, v2, v3, v2
	v_mul_f32_e32 v16, v14, v12
	v_fma_f32 v17, -v6, v16, v14
	v_fmac_f32_e32 v16, v17, v12
	v_fma_f32 v6, -v6, v16, v14
	v_mul_f32_e32 v14, 0x4f800000, v10
	v_cndmask_b32_e64 v10, v10, v14, s[2:3]
	v_sqrt_f32_e32 v14, v10
	v_div_fmas_f32 v6, v6, v12, v16
	v_div_fixup_f32 v2, v6, v3, v2
	v_add_u32_e32 v3, -1, v14
	v_fma_f32 v6, -v3, v14, v10
	v_cmp_ge_f32_e32 vcc, 0, v6
	v_add_u32_e32 v6, 1, v14
	v_fma_f32 v12, -v6, v14, v10
	v_cndmask_b32_e32 v3, v14, v3, vcc
	v_cmp_lt_f32_e32 vcc, 0, v12
	s_nop 1
	v_cndmask_b32_e32 v3, v3, v6, vcc
	v_mul_f32_e32 v6, 0x37800000, v3
	v_cndmask_b32_e64 v3, v3, v6, s[2:3]
	v_cmp_class_f32_e32 vcc, v10, v9
	s_mov_b32 s2, 0x3fb8aa3b
	v_mul_f32_e32 v6, 0x3fb8aa3b, v5
	v_cndmask_b32_e32 v3, v3, v10, vcc
	v_fma_f32 v9, v5, s2, -v6
	v_rndne_f32_e32 v10, v6
	v_fmamk_f32 v9, v5, 0x32a5705f, v9
	v_sub_f32_e32 v6, v6, v10
	v_add_f32_e32 v6, v6, v9
	v_exp_f32_e32 v6, v6
	v_cvt_i32_f32_e32 v9, v10
	s_mov_b32 s2, 0x3f106ebb
	s_mov_b32 s3, 2.0
	v_pk_mul_f32 v[2:3], v[2:3], s[2:3]
	s_mov_b32 s2, 0xc2ce8ed0
	v_ldexp_f32 v6, v6, v9
	v_cmp_ngt_f32_e32 vcc, s2, v5
	s_mov_b32 s2, 0x42b17218
	v_mov_b32_e32 v9, 0x7f800000
	v_cndmask_b32_e32 v6, 0, v6, vcc
	v_cmp_nlt_f32_e32 vcc, s2, v5
	s_nop 1
	v_cndmask_b32_e32 v5, v9, v6, vcc
	v_mul_f32_e32 v3, v3, v5
	v_div_scale_f32 v5, s[2:3], v3, v3, v2
	v_rcp_f32_e32 v6, v5
	s_mov_b32 s2, 0x41052018
	v_fma_f32 v9, -v5, v6, 1.0
	v_fmac_f32_e32 v6, v9, v6
	v_div_scale_f32 v9, vcc, v2, v3, v2
	v_mul_f32_e32 v10, v9, v6
	v_fma_f32 v12, -v5, v10, v9
	v_fmac_f32_e32 v10, v12, v6
	v_fma_f32 v5, -v5, v10, v9
	v_div_fmas_f32 v5, v5, v6, v10
	v_cmp_nlt_f32_e32 vcc, s2, v7
	s_andn2_b64 s[2:3], s[6:7], exec
	s_and_b64 s[16:17], vcc, exec
	v_div_fixup_f32 v2, v5, v3, v2
	s_or_b64 s[2:3], s[2:3], s[16:17]
.LBB12_14:
	s_or_b64 exec, exec, s[14:15]
	s_and_saveexec_b64 s[14:15], s[2:3]
	s_cbranch_execz .LBB12_18
; %bb.15:
	v_mul_f32_e32 v3, v7, v7
	v_mul_f32_e32 v16, v7, v3
	v_mov_b32_e32 v17, v16
	s_mov_b64 s[16:17], 0
	v_mov_b32_e32 v3, 1.0
	v_mov_b32_e32 v6, 1.0
	;; [unrolled: 1-line block ×3, first 2 shown]
	s_brev_b32 s18, 44
	v_mov_b32_e32 v19, v7
.LBB12_16:                              ; =>This Inner Loop Header: Depth=1
	v_pk_mul_f32 v[18:19], v[16:17], v[18:19]
	v_add_f32_e32 v5, 1.0, v3
	v_add_f32_e32 v9, 1.0, v5
	v_div_scale_f32 v10, s[2:3], v5, v5, v18
	v_rcp_f32_e32 v14, v10
	v_div_scale_f32 v21, s[2:3], v9, v9, v19
	v_rcp_f32_e32 v23, v21
	v_fma_f32 v24, -v10, v14, 1.0
	v_div_scale_f32 v12, vcc, v18, v5, v18
	v_fmac_f32_e32 v14, v24, v14
	v_fma_f32 v24, -v21, v23, 1.0
	v_div_scale_f32 v22, s[2:3], v19, v9, v19
	v_mul_f32_e32 v25, v12, v14
	v_fmac_f32_e32 v23, v24, v23
	v_fma_f32 v24, -v10, v25, v12
	v_mul_f32_e32 v26, v22, v23
	v_fmac_f32_e32 v25, v24, v14
	v_fma_f32 v24, -v21, v26, v22
	v_fma_f32 v10, -v10, v25, v12
	v_fmac_f32_e32 v26, v24, v23
	v_div_fmas_f32 v10, v10, v14, v25
	v_fma_f32 v12, -v21, v26, v22
	s_mov_b64 vcc, s[2:3]
	v_div_fixup_f32 v5, v10, v5, v18
	v_div_fmas_f32 v10, v12, v23, v26
	v_add_f32_e32 v3, 1.0, v9
	v_div_fixup_f32 v10, v10, v9, v19
	v_div_scale_f32 v12, s[2:3], v9, v9, v5
	v_div_scale_f32 v18, s[22:23], v3, v3, v10
	v_rcp_f32_e32 v21, v12
	v_rcp_f32_e32 v22, v18
	v_div_scale_f32 v14, s[2:3], v5, v9, v5
	v_fma_f32 v23, -v12, v21, 1.0
	v_fma_f32 v24, -v18, v22, 1.0
	v_div_scale_f32 v19, vcc, v10, v3, v10
	v_fmac_f32_e32 v21, v23, v21
	v_fmac_f32_e32 v22, v24, v22
	v_mul_f32_e32 v23, v14, v21
	v_mul_f32_e32 v24, v19, v22
	v_fma_f32 v25, -v12, v23, v14
	v_fma_f32 v26, -v18, v24, v19
	v_fmac_f32_e32 v23, v25, v21
	v_fmac_f32_e32 v24, v26, v22
	v_fma_f32 v12, -v12, v23, v14
	v_fma_f32 v14, -v18, v24, v19
	v_div_fmas_f32 v14, v14, v22, v24
	s_mov_b64 vcc, s[2:3]
	v_div_fixup_f32 v19, v14, v3, v10
	v_div_fmas_f32 v10, v12, v21, v23
	v_div_fixup_f32 v18, v10, v9, v5
	v_pk_add_f32 v[6:7], v[6:7], v[18:19]
	s_nop 0
	v_div_scale_f32 v5, s[2:3], v6, v6, v18
	v_rcp_f32_e32 v9, v5
	v_div_scale_f32 v10, vcc, v18, v6, v18
	v_fma_f32 v12, -v5, v9, 1.0
	v_fmac_f32_e32 v9, v12, v9
	v_mul_f32_e32 v12, v10, v9
	v_fma_f32 v14, -v5, v12, v10
	v_fmac_f32_e32 v12, v14, v9
	v_fma_f32 v5, -v5, v12, v10
	v_div_fmas_f32 v5, v5, v9, v12
	v_div_fixup_f32 v5, v5, v6, v18
	v_cmp_ngt_f32_e64 s[2:3], |v5|, s18
	s_or_b64 s[16:17], s[2:3], s[16:17]
	s_andn2_b64 exec, exec, s[16:17]
	s_cbranch_execnz .LBB12_16
; %bb.17:
	s_or_b64 exec, exec, s[16:17]
	s_mov_b32 s2, 0x3eb5c63d
	s_mov_b32 s3, 0x3e8483fa
	v_pk_mul_f32 v[6:7], v[6:7], s[2:3]
	s_nop 0
	v_sub_f32_e32 v3, v6, v7
	v_cndmask_b32_e64 v2, v2, v3, s[6:7]
.LBB12_18:
	s_or_b64 exec, exec, s[14:15]
                                        ; implicit-def: $vgpr7
.LBB12_19:
	s_andn2_saveexec_b64 s[14:15], s[4:5]
	s_cbranch_execz .LBB12_29
; %bb.20:
	s_mov_b32 s2, 0x8f800000
	v_mul_f32_e32 v2, 0xcf800000, v7
	v_cmp_lt_f32_e32 vcc, s2, v7
	v_mul_f32_e32 v5, -2.0, v7
	s_mov_b32 s4, 0x40400000
	v_cndmask_b32_e64 v2, -v7, v2, vcc
	v_sqrt_f32_e32 v3, v2
	s_nop 0
	v_add_u32_e32 v6, -1, v3
	v_fma_f32 v7, -v6, v3, v2
	v_cmp_ge_f32_e64 s[2:3], 0, v7
	v_add_u32_e32 v7, 1, v3
	s_nop 0
	v_cndmask_b32_e64 v6, v3, v6, s[2:3]
	v_fma_f32 v3, -v7, v3, v2
	v_cmp_lt_f32_e64 s[2:3], 0, v3
	s_nop 1
	v_cndmask_b32_e64 v3, v6, v7, s[2:3]
	v_mul_f32_e32 v6, 0x37800000, v3
	v_cndmask_b32_e32 v3, v3, v6, vcc
	v_mov_b32_e32 v6, 0x260
	v_cmp_class_f32_e32 vcc, v2, v6
	s_nop 1
	v_cndmask_b32_e32 v2, v3, v2, vcc
	v_mul_f32_e32 v3, v5, v2
	v_div_scale_f32 v5, s[2:3], s4, s4, v3
	v_rcp_f32_e32 v6, v5
	s_brev_b32 s2, 18
	v_fma_f32 v7, -v5, v6, 1.0
	v_fmac_f32_e32 v6, v7, v6
	v_div_scale_f32 v7, vcc, v3, s4, v3
	v_mul_f32_e32 v9, v7, v6
	v_fma_f32 v10, -v5, v9, v7
	v_fmac_f32_e32 v9, v10, v6
	v_fma_f32 v5, -v5, v9, v7
	v_div_fmas_f32 v5, v5, v6, v9
	v_div_fixup_f32 v6, v5, s4, v3
	v_add_f32_e32 v3, 0x3f490fdb, v6
	v_and_b32_e32 v5, 0x7fffffff, v3
	v_cmp_nlt_f32_e64 s[16:17], |v3|, s2
	v_lshrrev_b32_e32 v14, 23, v5
                                        ; implicit-def: $vgpr7
                                        ; implicit-def: $vgpr9
	s_and_saveexec_b64 s[2:3], s[16:17]
	s_xor_b64 s[18:19], exec, s[2:3]
	s_cbranch_execz .LBB12_22
; %bb.21:
	v_add_u32_e32 v7, 0xffffff88, v14
	v_not_b32_e32 v9, 63
	v_cmp_lt_u32_e32 vcc, 63, v7
	s_mov_b32 s6, 0xfe5163ab
	v_mov_b32_e32 v19, 0
	v_cndmask_b32_e32 v9, 0, v9, vcc
	v_add_u32_e32 v7, v9, v7
	v_not_b32_e32 v9, 31
	v_cmp_lt_u32_e64 s[2:3], 31, v7
	s_nop 1
	v_cndmask_b32_e64 v10, 0, v9, s[2:3]
	v_add_u32_e32 v7, v10, v7
	v_cmp_lt_u32_e64 s[4:5], 31, v7
	s_nop 1
	v_cndmask_b32_e64 v9, 0, v9, s[4:5]
	v_add_u32_e32 v7, v9, v7
	v_and_b32_e32 v9, 0x7fffff, v5
	v_or_b32_e32 v9, 0x800000, v9
	v_mad_u64_u32 v[16:17], s[6:7], v9, s6, 0
	v_mov_b32_e32 v18, v17
	s_mov_b32 s6, 0x3c439041
	v_mad_u64_u32 v[22:23], s[6:7], v9, s6, v[18:19]
	v_mov_b32_e32 v18, v23
	s_mov_b32 s6, 0xdb629599
	;; [unrolled: 3-line block ×6, first 2 shown]
	v_mad_u64_u32 v[18:19], s[6:7], v9, s6, v[18:19]
	v_cndmask_b32_e32 v10, v30, v26, vcc
	v_cndmask_b32_e32 v9, v18, v28, vcc
	;; [unrolled: 1-line block ×3, first 2 shown]
	v_cndmask_b32_e64 v12, v9, v10, s[2:3]
	v_cndmask_b32_e64 v9, v17, v9, s[2:3]
	v_cndmask_b32_e32 v17, v28, v24, vcc
	v_cndmask_b32_e64 v10, v10, v17, s[2:3]
	v_cndmask_b32_e64 v9, v9, v12, s[4:5]
	;; [unrolled: 1-line block ×3, first 2 shown]
	v_sub_u32_e32 v18, 32, v7
	v_alignbit_b32 v19, v9, v12, v18
	v_cmp_eq_u32_e64 s[6:7], 0, v7
	v_cndmask_b32_e32 v16, v24, v16, vcc
	s_nop 0
	v_cndmask_b32_e64 v7, v19, v9, s[6:7]
	v_cndmask_b32_e32 v9, v26, v22, vcc
	v_cndmask_b32_e64 v17, v17, v9, s[2:3]
	v_cndmask_b32_e64 v10, v10, v17, s[4:5]
	v_alignbit_b32 v19, v12, v10, v18
	v_cndmask_b32_e64 v12, v19, v12, s[6:7]
	v_bfe_u32 v22, v7, 29, 1
	v_cndmask_b32_e64 v9, v9, v16, s[2:3]
	v_alignbit_b32 v19, v7, v12, 30
	v_sub_u32_e32 v23, 0, v22
	v_cndmask_b32_e64 v9, v17, v9, s[4:5]
	v_xor_b32_e32 v19, v19, v23
	v_alignbit_b32 v16, v10, v9, v18
	v_cndmask_b32_e64 v10, v16, v10, s[6:7]
	v_ffbh_u32_e32 v16, v19
	v_alignbit_b32 v12, v12, v10, 30
	v_min_u32_e32 v16, 32, v16
	v_alignbit_b32 v9, v10, v9, 30
	v_xor_b32_e32 v12, v12, v23
	v_sub_u32_e32 v17, 31, v16
	v_xor_b32_e32 v9, v9, v23
	v_alignbit_b32 v18, v19, v12, v17
	v_alignbit_b32 v9, v12, v9, v17
	;; [unrolled: 1-line block ×3, first 2 shown]
	v_ffbh_u32_e32 v12, v10
	v_min_u32_e32 v12, 32, v12
	v_lshrrev_b32_e32 v21, 29, v7
	v_not_b32_e32 v17, v12
	v_alignbit_b32 v9, v10, v9, v17
	v_lshlrev_b32_e32 v10, 31, v21
	v_or_b32_e32 v17, 0x33000000, v10
	v_add_lshl_u32 v12, v12, v16, 23
	v_lshrrev_b32_e32 v9, 9, v9
	v_sub_u32_e32 v12, v17, v12
	v_or_b32_e32 v10, 0.5, v10
	v_lshlrev_b32_e32 v16, 23, v16
	v_or_b32_e32 v9, v12, v9
	v_lshrrev_b32_e32 v12, 9, v18
	v_sub_u32_e32 v10, v10, v16
	v_or_b32_e32 v10, v12, v10
	s_mov_b32 s2, 0x3fc90fda
	v_mul_f32_e32 v12, 0x3fc90fda, v10
	v_fma_f32 v16, v10, s2, -v12
	v_fmamk_f32 v10, v10, 0x33a22168, v16
	v_fmac_f32_e32 v10, 0x3fc90fda, v9
	v_lshrrev_b32_e32 v7, 30, v7
	v_add_f32_e32 v9, v12, v10
	v_add_u32_e32 v7, v22, v7
	s_andn2_saveexec_b64 s[2:3], s[18:19]
	s_cbranch_execz .LBB12_24
	s_branch .LBB12_23
.LBB12_22:
	s_andn2_saveexec_b64 s[2:3], s[18:19]
	s_cbranch_execz .LBB12_24
.LBB12_23:
	s_mov_b32 s4, 0x3f22f983
	v_mul_f32_e64 v7, |v3|, s4
	v_rndne_f32_e32 v9, v7
	s_mov_b32 s4, 0xbfc90fda
	v_cvt_i32_f32_e32 v7, v9
	v_fma_f32 v10, v9, s4, |v3|
	v_fmamk_f32 v10, v9, 0xb3a22168, v10
	v_fmamk_f32 v9, v9, 0xa7c234c4, v10
.LBB12_24:
	s_or_b64 exec, exec, s[2:3]
                                        ; implicit-def: $vgpr10
                                        ; implicit-def: $vgpr12
	s_and_saveexec_b64 s[2:3], s[16:17]
	s_xor_b64 s[16:17], exec, s[2:3]
	s_cbranch_execz .LBB12_26
; %bb.25:
	v_add_u32_e32 v10, 0xffffff88, v14
	v_not_b32_e32 v12, 63
	v_cmp_lt_u32_e32 vcc, 63, v10
	s_mov_b32 s6, 0xfe5163ab
	v_mov_b32_e32 v19, 0
	v_cndmask_b32_e32 v12, 0, v12, vcc
	v_add_u32_e32 v10, v12, v10
	v_not_b32_e32 v12, 31
	v_cmp_lt_u32_e64 s[2:3], 31, v10
	s_nop 1
	v_cndmask_b32_e64 v14, 0, v12, s[2:3]
	v_add_u32_e32 v10, v14, v10
	v_cmp_lt_u32_e64 s[4:5], 31, v10
	s_nop 1
	v_cndmask_b32_e64 v12, 0, v12, s[4:5]
	v_add_u32_e32 v10, v12, v10
	v_and_b32_e32 v12, 0x7fffff, v5
	v_or_b32_e32 v12, 0x800000, v12
	v_mad_u64_u32 v[16:17], s[6:7], v12, s6, 0
	v_mov_b32_e32 v18, v17
	s_mov_b32 s6, 0x3c439041
	v_mad_u64_u32 v[22:23], s[6:7], v12, s6, v[18:19]
	v_mov_b32_e32 v18, v23
	s_mov_b32 s6, 0xdb629599
	;; [unrolled: 3-line block ×6, first 2 shown]
	v_mad_u64_u32 v[18:19], s[6:7], v12, s6, v[18:19]
	v_cndmask_b32_e32 v14, v30, v26, vcc
	v_cndmask_b32_e32 v12, v18, v28, vcc
	;; [unrolled: 1-line block ×3, first 2 shown]
	v_cndmask_b32_e64 v17, v12, v14, s[2:3]
	v_cndmask_b32_e64 v12, v18, v12, s[2:3]
	v_cndmask_b32_e32 v18, v28, v24, vcc
	v_cndmask_b32_e64 v14, v14, v18, s[2:3]
	v_cndmask_b32_e64 v12, v12, v17, s[4:5]
	v_cndmask_b32_e64 v17, v17, v14, s[4:5]
	v_sub_u32_e32 v19, 32, v10
	v_alignbit_b32 v21, v12, v17, v19
	v_cmp_eq_u32_e64 s[6:7], 0, v10
	v_cndmask_b32_e32 v16, v24, v16, vcc
	s_nop 0
	v_cndmask_b32_e64 v10, v21, v12, s[6:7]
	v_cndmask_b32_e32 v12, v26, v22, vcc
	v_cndmask_b32_e64 v18, v18, v12, s[2:3]
	v_cndmask_b32_e64 v14, v14, v18, s[4:5]
	v_alignbit_b32 v21, v17, v14, v19
	v_cndmask_b32_e64 v12, v12, v16, s[2:3]
	v_cndmask_b32_e64 v17, v21, v17, s[6:7]
	v_bfe_u32 v23, v10, 29, 1
	v_cndmask_b32_e64 v12, v18, v12, s[4:5]
	v_alignbit_b32 v21, v10, v17, 30
	v_sub_u32_e32 v25, 0, v23
	v_alignbit_b32 v16, v14, v12, v19
	v_xor_b32_e32 v21, v21, v25
	v_cndmask_b32_e64 v14, v16, v14, s[6:7]
	v_alignbit_b32 v16, v17, v14, 30
	v_ffbh_u32_e32 v17, v21
	v_min_u32_e32 v17, 32, v17
	v_alignbit_b32 v12, v14, v12, 30
	v_xor_b32_e32 v16, v16, v25
	v_sub_u32_e32 v18, 31, v17
	v_xor_b32_e32 v12, v12, v25
	v_alignbit_b32 v19, v21, v16, v18
	v_alignbit_b32 v12, v16, v12, v18
	;; [unrolled: 1-line block ×3, first 2 shown]
	v_ffbh_u32_e32 v16, v14
	v_min_u32_e32 v16, 32, v16
	v_lshrrev_b32_e32 v22, 29, v10
	v_not_b32_e32 v18, v16
	v_alignbit_b32 v12, v14, v12, v18
	v_lshlrev_b32_e32 v14, 31, v22
	v_or_b32_e32 v18, 0x33000000, v14
	v_add_lshl_u32 v16, v16, v17, 23
	v_lshrrev_b32_e32 v12, 9, v12
	v_sub_u32_e32 v16, v18, v16
	v_or_b32_e32 v14, 0.5, v14
	v_lshlrev_b32_e32 v17, 23, v17
	v_or_b32_e32 v12, v16, v12
	v_lshrrev_b32_e32 v16, 9, v19
	v_sub_u32_e32 v14, v14, v17
	v_or_b32_e32 v14, v16, v14
	s_mov_b32 s2, 0x3fc90fda
	v_mul_f32_e32 v16, 0x3fc90fda, v14
	v_fma_f32 v17, v14, s2, -v16
	v_fmamk_f32 v14, v14, 0x33a22168, v17
	v_fmac_f32_e32 v14, 0x3fc90fda, v12
	v_lshrrev_b32_e32 v10, 30, v10
	v_add_f32_e32 v12, v16, v14
	v_add_u32_e32 v10, v23, v10
	s_andn2_saveexec_b64 s[2:3], s[16:17]
	s_cbranch_execnz .LBB12_27
	s_branch .LBB12_28
.LBB12_26:
	s_andn2_saveexec_b64 s[2:3], s[16:17]
	s_cbranch_execz .LBB12_28
.LBB12_27:
	s_mov_b32 s4, 0x3f22f983
	v_mul_f32_e64 v10, |v3|, s4
	v_rndne_f32_e32 v12, v10
	s_mov_b32 s4, 0xbfc90fda
	v_cvt_i32_f32_e32 v10, v12
	v_fma_f32 v14, v12, s4, |v3|
	v_fmamk_f32 v14, v12, 0xb3a22168, v14
	v_fmamk_f32 v12, v12, 0xa7c234c4, v14
.LBB12_28:
	s_or_b64 exec, exec, s[2:3]
	v_div_scale_f32 v14, s[2:3], v6, v6, 1.0
	v_rcp_f32_e32 v16, v14
	v_div_scale_f32 v17, vcc, 1.0, v6, 1.0
	v_xor_b32_e32 v5, v5, v3
	v_fma_f32 v18, -v14, v16, 1.0
	v_fmac_f32_e32 v16, v18, v16
	v_mul_f32_e32 v18, v17, v16
	v_fma_f32 v19, -v14, v18, v17
	v_fmac_f32_e32 v18, v19, v16
	v_fma_f32 v14, -v14, v18, v17
	v_div_fmas_f32 v14, v14, v16, v18
	v_div_fixup_f32 v6, v14, v6, 1.0
	v_mul_f32_e32 v14, v6, v6
	v_mov_b32_e32 v16, 0xbe06db67
	v_mul_f32_e32 v18, v9, v9
	v_mov_b32_e32 v19, 0x3c0881c4
	v_fmac_f32_e32 v16, 0, v14
	v_mov_b32_e32 v17, 0x4155b259
	v_fmamk_f32 v21, v18, 0xb94c1982, v19
	v_fmaak_f32 v16, v14, v16, 0xbf205f75
	v_fmac_f32_e32 v17, 0, v14
	v_fmaak_f32 v21, v18, v21, 0xbe2aaa9d
	v_fmaak_f32 v16, v14, v16, 0xbf3172ce
	;; [unrolled: 1-line block ×3, first 2 shown]
	v_mul_f32_e32 v21, v18, v21
	v_fmaak_f32 v16, v14, v16, 0xbe8f3f52
	v_fmaak_f32 v17, v14, v17, 0x41d5e4c5
	v_fmac_f32_e32 v9, v9, v21
	v_mov_b32_e32 v21, 0xbab64f3b
	v_fmaak_f32 v16, v14, v16, 0xbd497b78
	v_fmaak_f32 v17, v14, v17, 0x4112fe41
	v_fmamk_f32 v23, v18, 0x37d75334, v21
	v_fmaak_f32 v16, v14, v16, 0xbb85200e
	v_fmaak_f32 v17, v14, v17, 0x3fbcd65a
	;; [unrolled: 1-line block ×8, first 2 shown]
	v_fma_f32 v18, v18, v23, 1.0
	v_and_b32_e32 v23, 1, v7
	v_lshlrev_b32_e32 v7, 30, v7
	v_fmaak_f32 v17, v14, v17, 0x389e46bd
	v_fmaak_f32 v16, v14, v16, 0xb29020e8
	v_cmp_eq_u32_e32 vcc, 0, v23
	v_and_b32_e32 v7, 0x80000000, v7
	v_fmaak_f32 v17, v14, v17, 0x34f295ce
	v_cndmask_b32_e32 v9, v18, v9, vcc
	v_xor_b32_e32 v5, v5, v7
	v_mul_f32_e32 v7, v14, v16
	v_xor_b32_e32 v5, v5, v9
	v_div_scale_f32 v9, s[2:3], v17, v17, v7
	v_rcp_f32_e32 v16, v9
	s_movk_i32 s4, 0x1f8
	v_mov_b32_e32 v18, 0x7fc00000
	v_cmp_class_f32_e64 s[2:3], v3, s4
	s_mov_b32 s4, 0xf800000
	s_mov_b32 s7, 0x3f106ebb
	v_cndmask_b32_e64 v3, v18, v5, s[2:3]
	v_fma_f32 v5, -v9, v16, 1.0
	v_fmac_f32_e32 v16, v5, v16
	v_div_scale_f32 v5, vcc, v7, v17, v7
	v_mul_f32_e32 v23, v5, v16
	v_fma_f32 v26, -v9, v23, v5
	v_fmac_f32_e32 v23, v26, v16
	v_fma_f32 v5, -v9, v23, v5
	v_div_fmas_f32 v5, v5, v16, v23
	v_mul_f32_e32 v16, 0x4f800000, v2
	v_cmp_gt_f32_e32 vcc, s4, v2
	v_div_fixup_f32 v5, v5, v17, v7
	v_mov_b32_e32 v7, 0x3ca1a92f
	v_cndmask_b32_e32 v2, v2, v16, vcc
	v_sqrt_f32_e32 v16, v2
	v_fmac_f32_e32 v7, 0, v14
	v_mov_b32_e32 v9, 0x4114f160
	v_fmaak_f32 v7, v14, v7, 0x3ec83ea8
	v_add_u32_e32 v17, -1, v16
	v_fma_f32 v23, -v17, v16, v2
	v_cmp_ge_f32_e64 s[4:5], 0, v23
	v_add_u32_e32 v23, 1, v16
	v_fmac_f32_e32 v9, 0, v14
	v_cndmask_b32_e64 v17, v16, v17, s[4:5]
	v_fma_f32 v16, -v23, v16, v2
	v_cmp_lt_f32_e64 s[4:5], 0, v16
	v_fmaak_f32 v7, v14, v7, 0x3f886c1a
	v_fmaak_f32 v9, v14, v9, 0x419eaeae
	v_cndmask_b32_e64 v16, v17, v23, s[4:5]
	v_mul_f32_e32 v17, 0x37800000, v16
	v_cndmask_b32_e32 v16, v16, v17, vcc
	v_mov_b32_e32 v17, 0x260
	v_fmaak_f32 v7, v14, v7, 0x3f706d65
	v_fmaak_f32 v9, v14, v9, 0x417908dc
	v_cmp_class_f32_e32 vcc, v2, v17
	v_fmaak_f32 v7, v14, v7, 0x3eb3f34e
	v_fmaak_f32 v9, v14, v9, 0x40af4271
	v_cndmask_b32_e32 v2, v16, v2, vcc
	v_fmaak_f32 v7, v14, v7, 0x3d81d209
	v_fmaak_f32 v9, v14, v9, 0x3f744c96
	v_div_scale_f32 v16, s[4:5], v2, v2, s7
	v_fmaak_f32 v7, v14, v7, 0x3bbff4d0
	v_fmaak_f32 v9, v14, v9, 0x3db110ef
	v_rcp_f32_e32 v17, v16
	v_fmaak_f32 v7, v14, v7, 0x39944bb3
	v_fmaak_f32 v9, v14, v9, 0x3b873823
	;; [unrolled: 1-line block ×8, first 2 shown]
	v_fma_f32 v14, -v16, v17, 1.0
	v_fmac_f32_e32 v17, v14, v17
	v_div_scale_f32 v14, vcc, s7, v2, s7
	v_mul_f32_e32 v23, v14, v17
	v_fma_f32 v26, -v16, v23, v14
	v_fmac_f32_e32 v23, v26, v17
	v_fma_f32 v14, -v16, v23, v14
	v_div_fmas_f32 v14, v14, v17, v23
	v_div_fixup_f32 v2, v14, v2, s7
	v_mul_f32_e32 v14, v12, v12
	v_mov_b32_e32 v22, 0xbe2aaa9d
	v_fmac_f32_e32 v19, 0xb94c1982, v14
	v_mov_b32_e32 v24, 0x3d2aabf7
	v_fmac_f32_e32 v22, v14, v19
	v_fmac_f32_e32 v21, 0x37d75334, v14
	v_mov_b32_e32 v25, 0xbf000004
	v_mul_f32_e32 v16, v14, v22
	v_fmac_f32_e32 v24, v14, v21
	v_fmac_f32_e32 v12, v12, v16
	v_fmac_f32_e32 v25, v14, v24
	v_and_b32_e32 v16, 1, v10
	v_mul_f32_e32 v6, v6, v7
	v_fma_f32 v14, v14, v25, 1.0
	v_cmp_eq_u32_e32 vcc, 0, v16
	v_div_scale_f32 v7, s[4:5], v9, v9, v6
	s_nop 0
	v_cndmask_b32_e64 v12, -v12, v14, vcc
	v_rcp_f32_e32 v14, v7
	s_brev_b32 s6, 1
	v_lshlrev_b32_e32 v10, 30, v10
	v_bitop3_b32 v10, v10, v12, s6 bitop3:0x6c
	v_fma_f32 v12, -v7, v14, 1.0
	v_fmac_f32_e32 v14, v12, v14
	v_div_scale_f32 v12, vcc, v6, v9, v6
	v_mul_f32_e32 v16, v12, v14
	v_fma_f32 v17, -v7, v16, v12
	v_fmac_f32_e32 v16, v17, v14
	v_fma_f32 v7, -v7, v16, v12
	v_div_fmas_f32 v7, v7, v14, v16
	v_cndmask_b32_e64 v10, v18, v10, s[2:3]
	v_div_fixup_f32 v6, v7, v9, v6
	v_add_f32_e32 v5, 1.0, v5
	v_mul_f32_e32 v6, v6, v10
	v_fma_f32 v3, v5, v3, -v6
	v_mul_f32_e32 v2, v2, v3
.LBB12_29:
	s_or_b64 exec, exec, s[14:15]
.LBB12_30:
	s_or_b64 exec, exec, s[12:13]
.LBB12_31:
	s_or_b64 exec, exec, s[10:11]
	v_mov_b32_e32 v5, 0
	v_mov_b32_e32 v6, v5
	;; [unrolled: 1-line block ×3, first 2 shown]
.LBB12_32:
	s_or_b64 exec, exec, s[8:9]
	s_waitcnt vmcnt(0) lgkmcnt(0)
	v_add_u32_e32 v7, 0x100, v20
	v_cmp_lt_i32_e32 vcc, v7, v4
	s_and_saveexec_b64 s[8:9], vcc
	s_cbranch_execz .LBB12_56
; %bb.33:
	s_mov_b32 s2, 0x7f800000
	v_cmp_neq_f32_e64 s[2:3], |v15|, s2
	v_mov_b32_e32 v5, 0x7fc00000
	s_and_saveexec_b64 s[10:11], s[2:3]
	s_cbranch_execz .LBB12_55
; %bb.34:
	s_mov_b32 s2, 0x42cfc8b4
	v_cmp_nlt_f32_e32 vcc, s2, v15
	v_mov_b32_e32 v5, 0
	s_and_saveexec_b64 s[12:13], vcc
	s_cbranch_execz .LBB12_54
; %bb.35:
	s_mov_b32 s2, 0xc005c28f
	v_cmp_ngt_f32_e32 vcc, s2, v15
	s_and_saveexec_b64 s[2:3], vcc
	s_xor_b64 s[4:5], exec, s[2:3]
                                        ; implicit-def: $vgpr5
	s_cbranch_execz .LBB12_43
; %bb.36:
	s_mov_b32 s2, 0x4005c28f
	v_cmp_nle_f32_e64 s[6:7], s2, v15
	v_cmp_le_f32_e32 vcc, s2, v15
	v_mov_b32_e32 v5, 0
	s_mov_b64 s[2:3], s[6:7]
	s_and_saveexec_b64 s[14:15], vcc
	s_cbranch_execz .LBB12_38
; %bb.37:
	s_mov_b32 s16, 0xf800000
	v_mul_f32_e32 v5, 0x4f800000, v15
	v_cmp_gt_f32_e32 vcc, s16, v15
	v_add_f32_e32 v10, v15, v15
	s_mov_b32 s17, 0x40400000
	v_cndmask_b32_e32 v5, v15, v5, vcc
	v_sqrt_f32_e32 v9, v5
	s_nop 0
	v_add_u32_e32 v12, -1, v9
	v_fma_f32 v14, -v12, v9, v5
	v_cmp_ge_f32_e64 s[2:3], 0, v14
	v_add_u32_e32 v14, 1, v9
	s_nop 0
	v_cndmask_b32_e64 v12, v9, v12, s[2:3]
	v_fma_f32 v9, -v14, v9, v5
	v_cmp_lt_f32_e64 s[2:3], 0, v9
	s_nop 1
	v_cndmask_b32_e64 v9, v12, v14, s[2:3]
	v_mul_f32_e32 v12, 0x37800000, v9
	v_mov_b32_e32 v14, 0x260
	v_cndmask_b32_e32 v9, v9, v12, vcc
	v_cmp_class_f32_e32 vcc, v5, v14
	s_nop 1
	v_cndmask_b32_e32 v5, v9, v5, vcc
	v_mul_f32_e32 v9, v10, v5
	v_div_scale_f32 v10, s[2:3], s17, s17, v9
	v_rcp_f32_e32 v12, v10
	s_nop 0
	v_fma_f32 v16, -v10, v12, 1.0
	v_fmac_f32_e32 v12, v16, v12
	v_div_scale_f32 v16, vcc, v9, s17, v9
	v_mul_f32_e32 v17, v16, v12
	v_fma_f32 v18, -v10, v17, v16
	v_fmac_f32_e32 v17, v18, v12
	v_fma_f32 v10, -v10, v17, v16
	v_div_fmas_f32 v10, v10, v12, v17
	v_div_fixup_f32 v9, v10, s17, v9
	v_div_scale_f32 v10, s[2:3], v9, v9, 1.0
	v_rcp_f32_e32 v12, v10
	s_mov_b32 s2, 0x3eb16d71
	s_mov_b32 s3, 0x3f114de0
	v_fma_f32 v16, -v10, v12, 1.0
	v_fmac_f32_e32 v12, v16, v12
	v_div_scale_f32 v16, vcc, 1.0, v9, 1.0
	v_mul_f32_e32 v17, v16, v12
	v_fma_f32 v18, -v10, v17, v16
	v_fmac_f32_e32 v17, v18, v12
	v_fma_f32 v10, -v10, v17, v16
	v_div_fmas_f32 v10, v10, v12, v17
	v_div_fixup_f32 v10, v10, v9, 1.0
	v_mul_f32_e32 v12, 0, v10
	v_pk_add_f32 v[16:17], v[12:13], s[2:3] op_sel_hi:[0,1]
	s_mov_b32 s2, 0x41401f1c
	s_mov_b32 s3, 0x416c19a0
	v_pk_fma_f32 v[16:17], v[10:11], v[16:17], s[2:3] op_sel_hi:[0,1,1]
	s_mov_b32 s2, 0x42988f28
	s_mov_b32 s3, 0x42a9071e
	v_pk_fma_f32 v[16:17], v[10:11], v[16:17], s[2:3] op_sel_hi:[0,1,1]
	;; [unrolled: 3-line block ×6, first 2 shown]
	v_pk_fma_f32 v[16:17], v[10:11], v[16:17], 1.0 op_sel_hi:[0,1,0]
	v_div_scale_f32 v10, s[2:3], v17, v17, v16
	v_rcp_f32_e32 v12, v10
	v_cmp_gt_f32_e64 s[2:3], s16, v5
	v_fma_f32 v18, -v10, v12, 1.0
	v_fmac_f32_e32 v12, v18, v12
	v_div_scale_f32 v18, vcc, v16, v17, v16
	v_mul_f32_e32 v19, v18, v12
	v_fma_f32 v21, -v10, v19, v18
	v_fmac_f32_e32 v19, v21, v12
	v_fma_f32 v10, -v10, v19, v18
	v_mul_f32_e32 v18, 0x4f800000, v5
	v_cndmask_b32_e64 v5, v5, v18, s[2:3]
	v_sqrt_f32_e32 v18, v5
	v_div_fmas_f32 v10, v10, v12, v19
	v_div_fixup_f32 v16, v10, v17, v16
	v_add_u32_e32 v10, -1, v18
	v_fma_f32 v12, -v10, v18, v5
	v_cmp_ge_f32_e32 vcc, 0, v12
	v_add_u32_e32 v12, 1, v18
	v_fma_f32 v17, -v12, v18, v5
	v_cndmask_b32_e32 v10, v18, v10, vcc
	v_cmp_lt_f32_e32 vcc, 0, v17
	s_nop 1
	v_cndmask_b32_e32 v10, v10, v12, vcc
	v_mul_f32_e32 v12, 0x37800000, v10
	v_cndmask_b32_e64 v10, v10, v12, s[2:3]
	v_cmp_class_f32_e32 vcc, v5, v14
	s_mov_b32 s2, 0x3fb8aa3b
	s_nop 0
	v_cndmask_b32_e32 v17, v10, v5, vcc
	v_mul_f32_e32 v5, 0x3fb8aa3b, v9
	v_fma_f32 v10, v9, s2, -v5
	v_rndne_f32_e32 v12, v5
	v_fmamk_f32 v10, v9, 0x32a5705f, v10
	v_sub_f32_e32 v5, v5, v12
	v_add_f32_e32 v5, v5, v10
	v_exp_f32_e32 v5, v5
	v_cvt_i32_f32_e32 v10, v12
	s_mov_b32 s2, 0x3f106ebb
	s_mov_b32 s3, 2.0
	v_pk_mul_f32 v[16:17], v[16:17], s[2:3]
	s_mov_b32 s2, 0xc2ce8ed0
	v_ldexp_f32 v5, v5, v10
	v_cmp_ngt_f32_e32 vcc, s2, v9
	s_mov_b32 s2, 0x42b17218
	v_mov_b32_e32 v10, 0x7f800000
	v_cndmask_b32_e32 v5, 0, v5, vcc
	v_cmp_nlt_f32_e32 vcc, s2, v9
	s_nop 1
	v_cndmask_b32_e32 v5, v10, v5, vcc
	v_mul_f32_e32 v5, v17, v5
	v_div_scale_f32 v9, s[2:3], v5, v5, v16
	v_rcp_f32_e32 v10, v9
	s_mov_b32 s2, 0x41052018
	v_fma_f32 v12, -v9, v10, 1.0
	v_fmac_f32_e32 v10, v12, v10
	v_div_scale_f32 v12, vcc, v16, v5, v16
	v_mul_f32_e32 v14, v12, v10
	v_fma_f32 v17, -v9, v14, v12
	v_fmac_f32_e32 v14, v17, v10
	v_fma_f32 v9, -v9, v14, v12
	v_div_fmas_f32 v9, v9, v10, v14
	v_cmp_nlt_f32_e32 vcc, s2, v15
	s_andn2_b64 s[2:3], s[6:7], exec
	s_and_b64 s[16:17], vcc, exec
	v_div_fixup_f32 v5, v9, v5, v16
	s_or_b64 s[2:3], s[2:3], s[16:17]
.LBB12_38:
	s_or_b64 exec, exec, s[14:15]
	s_and_saveexec_b64 s[14:15], s[2:3]
	s_cbranch_execz .LBB12_42
; %bb.39:
	v_mul_f32_e32 v9, v15, v15
	v_mul_f32_e32 v16, v15, v9
	v_mov_b32_e32 v17, v16
	s_mov_b64 s[16:17], 0
	v_mov_b32_e32 v9, 1.0
	v_mov_b32_e32 v14, 1.0
	;; [unrolled: 1-line block ×3, first 2 shown]
	s_brev_b32 s18, 44
	v_mov_b32_e32 v19, v15
.LBB12_40:                              ; =>This Inner Loop Header: Depth=1
	v_pk_mul_f32 v[18:19], v[16:17], v[18:19]
	v_add_f32_e32 v10, 1.0, v9
	v_add_f32_e32 v12, 1.0, v10
	v_div_scale_f32 v21, s[2:3], v10, v10, v18
	v_rcp_f32_e32 v23, v21
	v_div_scale_f32 v24, s[2:3], v12, v12, v19
	v_rcp_f32_e32 v26, v24
	v_fma_f32 v27, -v21, v23, 1.0
	v_div_scale_f32 v22, vcc, v18, v10, v18
	v_fmac_f32_e32 v23, v27, v23
	v_fma_f32 v27, -v24, v26, 1.0
	v_div_scale_f32 v25, s[2:3], v19, v12, v19
	v_mul_f32_e32 v28, v22, v23
	v_fmac_f32_e32 v26, v27, v26
	v_fma_f32 v27, -v21, v28, v22
	v_mul_f32_e32 v29, v25, v26
	v_fmac_f32_e32 v28, v27, v23
	v_fma_f32 v27, -v24, v29, v25
	v_fma_f32 v21, -v21, v28, v22
	v_fmac_f32_e32 v29, v27, v26
	v_div_fmas_f32 v21, v21, v23, v28
	v_fma_f32 v22, -v24, v29, v25
	s_mov_b64 vcc, s[2:3]
	v_div_fixup_f32 v10, v21, v10, v18
	v_div_fmas_f32 v18, v22, v26, v29
	v_add_f32_e32 v9, 1.0, v12
	v_div_fixup_f32 v18, v18, v12, v19
	v_div_scale_f32 v19, s[2:3], v12, v12, v10
	v_div_scale_f32 v22, s[22:23], v9, v9, v18
	v_rcp_f32_e32 v24, v19
	v_rcp_f32_e32 v25, v22
	v_div_scale_f32 v21, s[2:3], v10, v12, v10
	v_fma_f32 v26, -v19, v24, 1.0
	v_fma_f32 v27, -v22, v25, 1.0
	v_div_scale_f32 v23, vcc, v18, v9, v18
	v_fmac_f32_e32 v24, v26, v24
	v_fmac_f32_e32 v25, v27, v25
	v_mul_f32_e32 v26, v21, v24
	v_mul_f32_e32 v27, v23, v25
	v_fma_f32 v28, -v19, v26, v21
	v_fma_f32 v29, -v22, v27, v23
	v_fmac_f32_e32 v26, v28, v24
	v_fmac_f32_e32 v27, v29, v25
	v_fma_f32 v21, -v19, v26, v21
	v_fma_f32 v19, -v22, v27, v23
	v_div_fmas_f32 v19, v19, v25, v27
	s_mov_b64 vcc, s[2:3]
	v_div_fixup_f32 v19, v19, v9, v18
	v_div_fmas_f32 v18, v21, v24, v26
	v_div_fixup_f32 v18, v18, v12, v10
	v_pk_add_f32 v[14:15], v[14:15], v[18:19]
	s_nop 0
	v_div_scale_f32 v10, s[2:3], v14, v14, v18
	v_rcp_f32_e32 v12, v10
	v_div_scale_f32 v21, vcc, v18, v14, v18
	v_fma_f32 v22, -v10, v12, 1.0
	v_fmac_f32_e32 v12, v22, v12
	v_mul_f32_e32 v22, v21, v12
	v_fma_f32 v23, -v10, v22, v21
	v_fmac_f32_e32 v22, v23, v12
	v_fma_f32 v10, -v10, v22, v21
	v_div_fmas_f32 v10, v10, v12, v22
	v_div_fixup_f32 v10, v10, v14, v18
	v_cmp_ngt_f32_e64 s[2:3], |v10|, s18
	s_or_b64 s[16:17], s[2:3], s[16:17]
	s_andn2_b64 exec, exec, s[16:17]
	s_cbranch_execnz .LBB12_40
; %bb.41:
	s_or_b64 exec, exec, s[16:17]
	s_mov_b32 s2, 0x3eb5c63d
	s_mov_b32 s3, 0x3e8483fa
	v_pk_mul_f32 v[14:15], v[14:15], s[2:3]
	s_nop 0
	v_sub_f32_e32 v9, v14, v15
	v_cndmask_b32_e64 v5, v5, v9, s[6:7]
.LBB12_42:
	s_or_b64 exec, exec, s[14:15]
                                        ; implicit-def: $vgpr15
.LBB12_43:
	s_andn2_saveexec_b64 s[14:15], s[4:5]
	s_cbranch_execz .LBB12_53
; %bb.44:
	s_mov_b32 s2, 0x8f800000
	v_mul_f32_e32 v5, 0xcf800000, v15
	v_cmp_lt_f32_e32 vcc, s2, v15
	v_mul_f32_e32 v10, -2.0, v15
	s_mov_b32 s4, 0x40400000
	v_cndmask_b32_e64 v5, -v15, v5, vcc
	v_sqrt_f32_e32 v9, v5
	s_nop 0
	v_add_u32_e32 v12, -1, v9
	v_fma_f32 v14, -v12, v9, v5
	v_cmp_ge_f32_e64 s[2:3], 0, v14
	v_add_u32_e32 v14, 1, v9
	s_nop 0
	v_cndmask_b32_e64 v12, v9, v12, s[2:3]
	v_fma_f32 v9, -v14, v9, v5
	v_cmp_lt_f32_e64 s[2:3], 0, v9
	s_nop 1
	v_cndmask_b32_e64 v9, v12, v14, s[2:3]
	v_mul_f32_e32 v12, 0x37800000, v9
	v_cndmask_b32_e32 v9, v9, v12, vcc
	v_mov_b32_e32 v12, 0x260
	v_cmp_class_f32_e32 vcc, v5, v12
	s_nop 1
	v_cndmask_b32_e32 v5, v9, v5, vcc
	v_mul_f32_e32 v9, v10, v5
	v_div_scale_f32 v10, s[2:3], s4, s4, v9
	v_rcp_f32_e32 v12, v10
	s_brev_b32 s2, 18
	v_fma_f32 v14, -v10, v12, 1.0
	v_fmac_f32_e32 v12, v14, v12
	v_div_scale_f32 v14, vcc, v9, s4, v9
	v_mul_f32_e32 v15, v14, v12
	v_fma_f32 v16, -v10, v15, v14
	v_fmac_f32_e32 v15, v16, v12
	v_fma_f32 v10, -v10, v15, v14
	v_div_fmas_f32 v10, v10, v12, v15
	v_div_fixup_f32 v12, v10, s4, v9
	v_add_f32_e32 v9, 0x3f490fdb, v12
	v_and_b32_e32 v10, 0x7fffffff, v9
	v_cmp_nlt_f32_e64 s[16:17], |v9|, s2
	v_lshrrev_b32_e32 v18, 23, v10
                                        ; implicit-def: $vgpr14
                                        ; implicit-def: $vgpr15
	s_and_saveexec_b64 s[2:3], s[16:17]
	s_xor_b64 s[18:19], exec, s[2:3]
	s_cbranch_execz .LBB12_46
; %bb.45:
	v_add_u32_e32 v14, 0xffffff88, v18
	v_not_b32_e32 v15, 63
	v_cmp_lt_u32_e32 vcc, 63, v14
	s_mov_b32 s6, 0xfe5163ab
	v_mov_b32_e32 v17, 0
	v_cndmask_b32_e32 v15, 0, v15, vcc
	v_add_u32_e32 v14, v15, v14
	v_not_b32_e32 v15, 31
	v_cmp_lt_u32_e64 s[2:3], 31, v14
	s_nop 1
	v_cndmask_b32_e64 v16, 0, v15, s[2:3]
	v_add_u32_e32 v14, v16, v14
	v_cmp_lt_u32_e64 s[4:5], 31, v14
	s_nop 1
	v_cndmask_b32_e64 v15, 0, v15, s[4:5]
	v_add_u32_e32 v19, v15, v14
	v_and_b32_e32 v14, 0x7fffff, v10
	v_or_b32_e32 v21, 0x800000, v14
	v_mad_u64_u32 v[14:15], s[6:7], v21, s6, 0
	v_mov_b32_e32 v16, v15
	s_mov_b32 s6, 0x3c439041
	v_mad_u64_u32 v[22:23], s[6:7], v21, s6, v[16:17]
	v_mov_b32_e32 v16, v23
	s_mov_b32 s6, 0xdb629599
	;; [unrolled: 3-line block ×6, first 2 shown]
	v_mad_u64_u32 v[16:17], s[6:7], v21, s6, v[16:17]
	v_cndmask_b32_e32 v15, v30, v26, vcc
	v_cndmask_b32_e32 v16, v16, v28, vcc
	;; [unrolled: 1-line block ×3, first 2 shown]
	v_cndmask_b32_e64 v21, v16, v15, s[2:3]
	v_cndmask_b32_e64 v16, v17, v16, s[2:3]
	v_cndmask_b32_e32 v17, v28, v24, vcc
	v_cndmask_b32_e64 v15, v15, v17, s[2:3]
	v_sub_u32_e32 v23, 32, v19
	v_cmp_eq_u32_e64 s[6:7], 0, v19
	v_cndmask_b32_e32 v19, v26, v22, vcc
	v_cndmask_b32_e64 v16, v16, v21, s[4:5]
	v_cndmask_b32_e64 v21, v21, v15, s[4:5]
	;; [unrolled: 1-line block ×3, first 2 shown]
	v_alignbit_b32 v25, v16, v21, v23
	v_cndmask_b32_e64 v15, v15, v17, s[4:5]
	v_cndmask_b32_e64 v16, v25, v16, s[6:7]
	v_alignbit_b32 v22, v21, v15, v23
	v_cndmask_b32_e32 v14, v24, v14, vcc
	v_cndmask_b32_e64 v21, v22, v21, s[6:7]
	v_bfe_u32 v26, v16, 29, 1
	v_cndmask_b32_e64 v14, v19, v14, s[2:3]
	v_alignbit_b32 v22, v16, v21, 30
	v_sub_u32_e32 v27, 0, v26
	v_cndmask_b32_e64 v14, v17, v14, s[4:5]
	v_xor_b32_e32 v22, v22, v27
	v_alignbit_b32 v17, v15, v14, v23
	v_cndmask_b32_e64 v15, v17, v15, s[6:7]
	v_ffbh_u32_e32 v19, v22
	v_alignbit_b32 v17, v21, v15, 30
	v_min_u32_e32 v19, 32, v19
	v_alignbit_b32 v14, v15, v14, 30
	v_xor_b32_e32 v17, v17, v27
	v_sub_u32_e32 v21, 31, v19
	v_xor_b32_e32 v14, v14, v27
	v_alignbit_b32 v22, v22, v17, v21
	v_alignbit_b32 v14, v17, v14, v21
	;; [unrolled: 1-line block ×3, first 2 shown]
	v_ffbh_u32_e32 v17, v15
	v_min_u32_e32 v17, 32, v17
	v_lshrrev_b32_e32 v25, 29, v16
	v_not_b32_e32 v21, v17
	v_alignbit_b32 v14, v15, v14, v21
	v_lshlrev_b32_e32 v15, 31, v25
	v_or_b32_e32 v21, 0x33000000, v15
	v_add_lshl_u32 v17, v17, v19, 23
	v_lshrrev_b32_e32 v14, 9, v14
	v_sub_u32_e32 v17, v21, v17
	v_or_b32_e32 v15, 0.5, v15
	v_lshlrev_b32_e32 v19, 23, v19
	v_or_b32_e32 v14, v17, v14
	v_lshrrev_b32_e32 v17, 9, v22
	v_sub_u32_e32 v15, v15, v19
	v_or_b32_e32 v15, v17, v15
	s_mov_b32 s2, 0x3fc90fda
	v_mul_f32_e32 v17, 0x3fc90fda, v15
	v_fma_f32 v19, v15, s2, -v17
	v_fmamk_f32 v15, v15, 0x33a22168, v19
	v_fmac_f32_e32 v15, 0x3fc90fda, v14
	v_lshrrev_b32_e32 v14, 30, v16
	v_add_f32_e32 v15, v17, v15
	v_add_u32_e32 v14, v26, v14
	s_andn2_saveexec_b64 s[2:3], s[18:19]
	s_cbranch_execz .LBB12_48
	s_branch .LBB12_47
.LBB12_46:
	s_andn2_saveexec_b64 s[2:3], s[18:19]
	s_cbranch_execz .LBB12_48
.LBB12_47:
	s_mov_b32 s4, 0x3f22f983
	v_mul_f32_e64 v14, |v9|, s4
	v_rndne_f32_e32 v15, v14
	s_mov_b32 s4, 0xbfc90fda
	v_cvt_i32_f32_e32 v14, v15
	v_fma_f32 v16, v15, s4, |v9|
	v_fmamk_f32 v16, v15, 0xb3a22168, v16
	v_fmamk_f32 v15, v15, 0xa7c234c4, v16
.LBB12_48:
	s_or_b64 exec, exec, s[2:3]
                                        ; implicit-def: $vgpr16
                                        ; implicit-def: $vgpr17
	s_and_saveexec_b64 s[2:3], s[16:17]
	s_xor_b64 s[16:17], exec, s[2:3]
	s_cbranch_execz .LBB12_50
; %bb.49:
	v_add_u32_e32 v16, 0xffffff88, v18
	v_not_b32_e32 v17, 63
	v_cmp_lt_u32_e32 vcc, 63, v16
	s_mov_b32 s6, 0xfe5163ab
	v_mov_b32_e32 v19, 0
	v_cndmask_b32_e32 v17, 0, v17, vcc
	v_add_u32_e32 v16, v17, v16
	v_not_b32_e32 v17, 31
	v_cmp_lt_u32_e64 s[2:3], 31, v16
	s_nop 1
	v_cndmask_b32_e64 v18, 0, v17, s[2:3]
	v_add_u32_e32 v16, v18, v16
	v_cmp_lt_u32_e64 s[4:5], 31, v16
	s_nop 1
	v_cndmask_b32_e64 v17, 0, v17, s[4:5]
	v_add_u32_e32 v21, v17, v16
	v_and_b32_e32 v16, 0x7fffff, v10
	v_or_b32_e32 v32, 0x800000, v16
	v_mad_u64_u32 v[16:17], s[6:7], v32, s6, 0
	v_mov_b32_e32 v18, v17
	s_mov_b32 s6, 0x3c439041
	v_mad_u64_u32 v[22:23], s[6:7], v32, s6, v[18:19]
	v_mov_b32_e32 v18, v23
	s_mov_b32 s6, 0xdb629599
	;; [unrolled: 3-line block ×6, first 2 shown]
	v_mad_u64_u32 v[18:19], s[6:7], v32, s6, v[18:19]
	v_cndmask_b32_e32 v17, v30, v26, vcc
	v_cndmask_b32_e32 v18, v18, v28, vcc
	;; [unrolled: 1-line block ×3, first 2 shown]
	v_cndmask_b32_e64 v23, v18, v17, s[2:3]
	v_cndmask_b32_e64 v18, v19, v18, s[2:3]
	v_cndmask_b32_e32 v19, v28, v24, vcc
	v_cndmask_b32_e64 v17, v17, v19, s[2:3]
	v_sub_u32_e32 v25, 32, v21
	v_cmp_eq_u32_e64 s[6:7], 0, v21
	v_cndmask_b32_e32 v21, v26, v22, vcc
	v_cndmask_b32_e64 v18, v18, v23, s[4:5]
	v_cndmask_b32_e64 v23, v23, v17, s[4:5]
	;; [unrolled: 1-line block ×3, first 2 shown]
	v_alignbit_b32 v27, v18, v23, v25
	v_cndmask_b32_e64 v17, v17, v19, s[4:5]
	v_cndmask_b32_e64 v18, v27, v18, s[6:7]
	v_alignbit_b32 v22, v23, v17, v25
	v_cndmask_b32_e32 v16, v24, v16, vcc
	v_cndmask_b32_e64 v22, v22, v23, s[6:7]
	v_bfe_u32 v27, v18, 29, 1
	v_cndmask_b32_e64 v16, v21, v16, s[2:3]
	v_alignbit_b32 v23, v18, v22, 30
	v_sub_u32_e32 v28, 0, v27
	v_cndmask_b32_e64 v16, v19, v16, s[4:5]
	v_xor_b32_e32 v23, v23, v28
	v_alignbit_b32 v19, v17, v16, v25
	v_cndmask_b32_e64 v17, v19, v17, s[6:7]
	v_ffbh_u32_e32 v21, v23
	v_alignbit_b32 v19, v22, v17, 30
	v_min_u32_e32 v21, 32, v21
	v_alignbit_b32 v16, v17, v16, 30
	v_xor_b32_e32 v19, v19, v28
	v_sub_u32_e32 v22, 31, v21
	v_xor_b32_e32 v16, v16, v28
	v_alignbit_b32 v23, v23, v19, v22
	v_alignbit_b32 v16, v19, v16, v22
	;; [unrolled: 1-line block ×3, first 2 shown]
	v_ffbh_u32_e32 v19, v17
	v_min_u32_e32 v19, 32, v19
	v_lshrrev_b32_e32 v26, 29, v18
	v_not_b32_e32 v22, v19
	v_alignbit_b32 v16, v17, v16, v22
	v_lshlrev_b32_e32 v17, 31, v26
	v_or_b32_e32 v22, 0x33000000, v17
	v_add_lshl_u32 v19, v19, v21, 23
	v_lshrrev_b32_e32 v16, 9, v16
	v_sub_u32_e32 v19, v22, v19
	v_or_b32_e32 v17, 0.5, v17
	v_lshlrev_b32_e32 v21, 23, v21
	v_or_b32_e32 v16, v19, v16
	v_lshrrev_b32_e32 v19, 9, v23
	v_sub_u32_e32 v17, v17, v21
	v_or_b32_e32 v17, v19, v17
	s_mov_b32 s2, 0x3fc90fda
	v_mul_f32_e32 v19, 0x3fc90fda, v17
	v_fma_f32 v21, v17, s2, -v19
	v_fmamk_f32 v17, v17, 0x33a22168, v21
	v_fmac_f32_e32 v17, 0x3fc90fda, v16
	v_lshrrev_b32_e32 v16, 30, v18
	v_add_f32_e32 v17, v19, v17
	v_add_u32_e32 v16, v27, v16
	s_andn2_saveexec_b64 s[2:3], s[16:17]
	s_cbranch_execnz .LBB12_51
	s_branch .LBB12_52
.LBB12_50:
	s_andn2_saveexec_b64 s[2:3], s[16:17]
	s_cbranch_execz .LBB12_52
.LBB12_51:
	s_mov_b32 s4, 0x3f22f983
	v_mul_f32_e64 v16, |v9|, s4
	v_rndne_f32_e32 v17, v16
	s_mov_b32 s4, 0xbfc90fda
	v_cvt_i32_f32_e32 v16, v17
	v_fma_f32 v18, v17, s4, |v9|
	v_fmamk_f32 v18, v17, 0xb3a22168, v18
	v_fmamk_f32 v17, v17, 0xa7c234c4, v18
.LBB12_52:
	s_or_b64 exec, exec, s[2:3]
	v_div_scale_f32 v18, s[2:3], v12, v12, 1.0
	v_rcp_f32_e32 v19, v18
	v_div_scale_f32 v21, vcc, 1.0, v12, 1.0
	v_xor_b32_e32 v10, v10, v9
	v_fma_f32 v22, -v18, v19, 1.0
	v_fmac_f32_e32 v19, v22, v19
	v_mul_f32_e32 v22, v21, v19
	v_fma_f32 v23, -v18, v22, v21
	v_fmac_f32_e32 v22, v23, v19
	v_fma_f32 v18, -v18, v22, v21
	v_div_fmas_f32 v18, v18, v19, v22
	v_div_fixup_f32 v12, v18, v12, 1.0
	v_mul_f32_e32 v18, v12, v12
	v_mov_b32_e32 v19, 0xbe06db67
	v_mul_f32_e32 v22, v15, v15
	v_mov_b32_e32 v23, 0x3c0881c4
	v_fmac_f32_e32 v19, 0, v18
	v_mov_b32_e32 v21, 0x4155b259
	v_fmamk_f32 v24, v22, 0xb94c1982, v23
	v_fmaak_f32 v19, v18, v19, 0xbf205f75
	v_fmac_f32_e32 v21, 0, v18
	v_fmaak_f32 v24, v22, v24, 0xbe2aaa9d
	v_fmaak_f32 v19, v18, v19, 0xbf3172ce
	;; [unrolled: 1-line block ×3, first 2 shown]
	v_mul_f32_e32 v24, v22, v24
	v_fmaak_f32 v19, v18, v19, 0xbe8f3f52
	v_fmaak_f32 v21, v18, v21, 0x41d5e4c5
	v_fmac_f32_e32 v15, v15, v24
	v_mov_b32_e32 v24, 0xbab64f3b
	v_fmaak_f32 v19, v18, v19, 0xbd497b78
	v_fmaak_f32 v21, v18, v21, 0x4112fe41
	v_fmamk_f32 v26, v22, 0x37d75334, v24
	v_fmaak_f32 v19, v18, v19, 0xbb85200e
	v_fmaak_f32 v21, v18, v21, 0x3fbcd65a
	;; [unrolled: 1-line block ×8, first 2 shown]
	v_fma_f32 v22, v22, v26, 1.0
	v_and_b32_e32 v26, 1, v14
	v_lshlrev_b32_e32 v14, 30, v14
	v_fmaak_f32 v21, v18, v21, 0x389e46bd
	v_fmaak_f32 v19, v18, v19, 0xb29020e8
	v_cmp_eq_u32_e32 vcc, 0, v26
	v_and_b32_e32 v14, 0x80000000, v14
	v_fmaak_f32 v21, v18, v21, 0x34f295ce
	v_cndmask_b32_e32 v15, v22, v15, vcc
	v_xor_b32_e32 v10, v10, v14
	v_mul_f32_e32 v14, v18, v19
	v_xor_b32_e32 v10, v10, v15
	v_div_scale_f32 v15, s[2:3], v21, v21, v14
	v_rcp_f32_e32 v19, v15
	s_movk_i32 s4, 0x1f8
	v_mov_b32_e32 v22, 0x7fc00000
	v_cmp_class_f32_e64 s[2:3], v9, s4
	s_mov_b32 s4, 0xf800000
	s_mov_b32 s7, 0x3f106ebb
	v_cndmask_b32_e64 v9, v22, v10, s[2:3]
	v_fma_f32 v10, -v15, v19, 1.0
	v_fmac_f32_e32 v19, v10, v19
	v_div_scale_f32 v10, vcc, v14, v21, v14
	v_mul_f32_e32 v26, v10, v19
	v_fma_f32 v29, -v15, v26, v10
	v_fmac_f32_e32 v26, v29, v19
	v_fma_f32 v10, -v15, v26, v10
	v_div_fmas_f32 v10, v10, v19, v26
	v_mul_f32_e32 v19, 0x4f800000, v5
	v_cmp_gt_f32_e32 vcc, s4, v5
	v_div_fixup_f32 v10, v10, v21, v14
	v_mov_b32_e32 v14, 0x3ca1a92f
	v_cndmask_b32_e32 v5, v5, v19, vcc
	v_sqrt_f32_e32 v19, v5
	v_fmac_f32_e32 v14, 0, v18
	v_mov_b32_e32 v15, 0x4114f160
	v_fmaak_f32 v14, v18, v14, 0x3ec83ea8
	v_add_u32_e32 v21, -1, v19
	v_fma_f32 v26, -v21, v19, v5
	v_cmp_ge_f32_e64 s[4:5], 0, v26
	v_add_u32_e32 v26, 1, v19
	v_fmac_f32_e32 v15, 0, v18
	v_cndmask_b32_e64 v21, v19, v21, s[4:5]
	v_fma_f32 v19, -v26, v19, v5
	v_cmp_lt_f32_e64 s[4:5], 0, v19
	v_fmaak_f32 v14, v18, v14, 0x3f886c1a
	v_fmaak_f32 v15, v18, v15, 0x419eaeae
	v_cndmask_b32_e64 v19, v21, v26, s[4:5]
	v_mul_f32_e32 v21, 0x37800000, v19
	v_cndmask_b32_e32 v19, v19, v21, vcc
	v_mov_b32_e32 v21, 0x260
	v_fmaak_f32 v14, v18, v14, 0x3f706d65
	v_fmaak_f32 v15, v18, v15, 0x417908dc
	v_cmp_class_f32_e32 vcc, v5, v21
	v_fmaak_f32 v14, v18, v14, 0x3eb3f34e
	v_fmaak_f32 v15, v18, v15, 0x40af4271
	v_cndmask_b32_e32 v5, v19, v5, vcc
	v_fmaak_f32 v14, v18, v14, 0x3d81d209
	v_fmaak_f32 v15, v18, v15, 0x3f744c96
	v_div_scale_f32 v19, s[4:5], v5, v5, s7
	v_fmaak_f32 v14, v18, v14, 0x3bbff4d0
	v_fmaak_f32 v15, v18, v15, 0x3db110ef
	v_rcp_f32_e32 v21, v19
	v_fmaak_f32 v14, v18, v14, 0x39944bb3
	v_fmaak_f32 v15, v18, v15, 0x3b873823
	;; [unrolled: 1-line block ×8, first 2 shown]
	v_fma_f32 v18, -v19, v21, 1.0
	v_fmac_f32_e32 v21, v18, v21
	v_div_scale_f32 v18, vcc, s7, v5, s7
	v_mul_f32_e32 v26, v18, v21
	v_fma_f32 v29, -v19, v26, v18
	v_fmac_f32_e32 v26, v29, v21
	v_fma_f32 v18, -v19, v26, v18
	v_div_fmas_f32 v18, v18, v21, v26
	v_div_fixup_f32 v5, v18, v5, s7
	v_mul_f32_e32 v18, v17, v17
	v_mov_b32_e32 v25, 0xbe2aaa9d
	v_fmac_f32_e32 v23, 0xb94c1982, v18
	v_mov_b32_e32 v27, 0x3d2aabf7
	v_fmac_f32_e32 v25, v18, v23
	v_fmac_f32_e32 v24, 0x37d75334, v18
	v_mov_b32_e32 v28, 0xbf000004
	v_mul_f32_e32 v19, v18, v25
	v_fmac_f32_e32 v27, v18, v24
	v_fmac_f32_e32 v17, v17, v19
	v_fmac_f32_e32 v28, v18, v27
	v_and_b32_e32 v19, 1, v16
	v_mul_f32_e32 v12, v12, v14
	v_fma_f32 v18, v18, v28, 1.0
	v_cmp_eq_u32_e32 vcc, 0, v19
	v_div_scale_f32 v14, s[4:5], v15, v15, v12
	s_nop 0
	v_cndmask_b32_e64 v17, -v17, v18, vcc
	v_rcp_f32_e32 v18, v14
	s_brev_b32 s6, 1
	v_lshlrev_b32_e32 v16, 30, v16
	v_bitop3_b32 v16, v16, v17, s6 bitop3:0x6c
	v_fma_f32 v17, -v14, v18, 1.0
	v_fmac_f32_e32 v18, v17, v18
	v_div_scale_f32 v17, vcc, v12, v15, v12
	v_mul_f32_e32 v19, v17, v18
	v_fma_f32 v21, -v14, v19, v17
	v_fmac_f32_e32 v19, v21, v18
	v_fma_f32 v14, -v14, v19, v17
	v_div_fmas_f32 v14, v14, v18, v19
	v_cndmask_b32_e64 v16, v22, v16, s[2:3]
	v_div_fixup_f32 v12, v14, v15, v12
	v_add_f32_e32 v10, 1.0, v10
	v_mul_f32_e32 v12, v12, v16
	v_fma_f32 v9, v10, v9, -v12
	v_mul_f32_e32 v5, v5, v9
.LBB12_53:
	s_or_b64 exec, exec, s[14:15]
.LBB12_54:
	s_or_b64 exec, exec, s[12:13]
.LBB12_55:
	s_or_b64 exec, exec, s[10:11]
.LBB12_56:
	s_or_b64 exec, exec, s[8:9]
	v_add_u32_e32 v9, 0x200, v20
	v_cmp_lt_i32_e32 vcc, v9, v4
	s_and_saveexec_b64 s[8:9], vcc
	s_cbranch_execz .LBB12_80
; %bb.57:
	s_mov_b32 s2, 0x7f800000
	v_cmp_neq_f32_e64 s[2:3], |v13|, s2
	v_mov_b32_e32 v6, 0x7fc00000
	s_and_saveexec_b64 s[10:11], s[2:3]
	s_cbranch_execz .LBB12_79
; %bb.58:
	s_mov_b32 s2, 0x42cfc8b4
	v_cmp_nlt_f32_e32 vcc, s2, v13
	v_mov_b32_e32 v6, 0
	s_and_saveexec_b64 s[12:13], vcc
	s_cbranch_execz .LBB12_78
; %bb.59:
	s_mov_b32 s2, 0xc005c28f
	v_cmp_ngt_f32_e32 vcc, s2, v13
	s_and_saveexec_b64 s[2:3], vcc
	s_xor_b64 s[4:5], exec, s[2:3]
                                        ; implicit-def: $vgpr6
	s_cbranch_execz .LBB12_67
; %bb.60:
	s_mov_b32 s2, 0x4005c28f
	v_cmp_nle_f32_e64 s[6:7], s2, v13
	v_cmp_le_f32_e32 vcc, s2, v13
	v_mov_b32_e32 v6, 0
	s_mov_b64 s[2:3], s[6:7]
	s_and_saveexec_b64 s[14:15], vcc
	s_cbranch_execz .LBB12_62
; %bb.61:
	s_mov_b32 s16, 0xf800000
	v_mul_f32_e32 v6, 0x4f800000, v13
	v_cmp_gt_f32_e32 vcc, s16, v13
	v_add_f32_e32 v10, v13, v13
	s_mov_b32 s17, 0x40400000
	v_cndmask_b32_e32 v6, v13, v6, vcc
	v_sqrt_f32_e32 v9, v6
	s_nop 0
	v_add_u32_e32 v12, -1, v9
	v_fma_f32 v14, -v12, v9, v6
	v_cmp_ge_f32_e64 s[2:3], 0, v14
	v_add_u32_e32 v14, 1, v9
	s_nop 0
	v_cndmask_b32_e64 v12, v9, v12, s[2:3]
	v_fma_f32 v9, -v14, v9, v6
	v_cmp_lt_f32_e64 s[2:3], 0, v9
	s_nop 1
	v_cndmask_b32_e64 v9, v12, v14, s[2:3]
	v_mul_f32_e32 v12, 0x37800000, v9
	v_cndmask_b32_e32 v9, v9, v12, vcc
	v_mov_b32_e32 v12, 0x260
	v_cmp_class_f32_e32 vcc, v6, v12
	s_nop 1
	v_cndmask_b32_e32 v9, v9, v6, vcc
	v_mul_f32_e32 v6, v10, v9
	v_div_scale_f32 v10, s[2:3], s17, s17, v6
	v_rcp_f32_e32 v14, v10
	s_nop 0
	v_fma_f32 v15, -v10, v14, 1.0
	v_fmac_f32_e32 v14, v15, v14
	v_div_scale_f32 v15, vcc, v6, s17, v6
	v_mul_f32_e32 v16, v15, v14
	v_fma_f32 v17, -v10, v16, v15
	v_fmac_f32_e32 v16, v17, v14
	v_fma_f32 v10, -v10, v16, v15
	v_div_fmas_f32 v10, v10, v14, v16
	v_div_fixup_f32 v16, v10, s17, v6
	v_div_scale_f32 v6, s[2:3], v16, v16, 1.0
	v_rcp_f32_e32 v10, v6
	s_mov_b32 s2, 0x3eb16d71
	s_mov_b32 s3, 0x3f114de0
	v_fma_f32 v14, -v6, v10, 1.0
	v_fmac_f32_e32 v10, v14, v10
	v_div_scale_f32 v14, vcc, 1.0, v16, 1.0
	v_mul_f32_e32 v15, v14, v10
	v_fma_f32 v17, -v6, v15, v14
	v_fmac_f32_e32 v15, v17, v10
	v_fma_f32 v6, -v6, v15, v14
	v_div_fmas_f32 v6, v6, v10, v15
	v_div_fixup_f32 v6, v6, v16, 1.0
	v_mul_f32_e32 v10, 0, v6
	v_pk_add_f32 v[14:15], v[10:11], s[2:3] op_sel_hi:[0,1]
	s_mov_b32 s2, 0x41401f1c
	s_mov_b32 s3, 0x416c19a0
	v_pk_fma_f32 v[14:15], v[6:7], v[14:15], s[2:3] op_sel_hi:[0,1,1]
	s_mov_b32 s2, 0x42988f28
	s_mov_b32 s3, 0x42a9071e
	v_pk_fma_f32 v[14:15], v[6:7], v[14:15], s[2:3] op_sel_hi:[0,1,1]
	;; [unrolled: 3-line block ×6, first 2 shown]
	v_pk_fma_f32 v[14:15], v[6:7], v[14:15], 1.0 op_sel_hi:[0,1,0]
	v_div_scale_f32 v6, s[2:3], v15, v15, v14
	v_rcp_f32_e32 v10, v6
	v_cmp_gt_f32_e64 s[2:3], s16, v9
	v_fma_f32 v17, -v6, v10, 1.0
	v_fmac_f32_e32 v10, v17, v10
	v_div_scale_f32 v17, vcc, v14, v15, v14
	v_mul_f32_e32 v18, v17, v10
	v_fma_f32 v19, -v6, v18, v17
	v_fmac_f32_e32 v18, v19, v10
	v_fma_f32 v6, -v6, v18, v17
	v_mul_f32_e32 v17, 0x4f800000, v9
	v_cndmask_b32_e64 v9, v9, v17, s[2:3]
	v_sqrt_f32_e32 v17, v9
	v_div_fmas_f32 v6, v6, v10, v18
	v_div_fixup_f32 v14, v6, v15, v14
	v_add_u32_e32 v6, -1, v17
	v_fma_f32 v10, -v6, v17, v9
	v_cmp_ge_f32_e32 vcc, 0, v10
	v_add_u32_e32 v10, 1, v17
	v_fma_f32 v15, -v10, v17, v9
	v_cndmask_b32_e32 v6, v17, v6, vcc
	v_cmp_lt_f32_e32 vcc, 0, v15
	s_nop 1
	v_cndmask_b32_e32 v6, v6, v10, vcc
	v_mul_f32_e32 v10, 0x37800000, v6
	v_cndmask_b32_e64 v6, v6, v10, s[2:3]
	v_cmp_class_f32_e32 vcc, v9, v12
	s_mov_b32 s2, 0x3fb8aa3b
	s_nop 0
	v_cndmask_b32_e32 v15, v6, v9, vcc
	v_mul_f32_e32 v6, 0x3fb8aa3b, v16
	v_fma_f32 v9, v16, s2, -v6
	v_rndne_f32_e32 v10, v6
	v_fmamk_f32 v9, v16, 0x32a5705f, v9
	v_sub_f32_e32 v6, v6, v10
	v_add_f32_e32 v6, v6, v9
	v_exp_f32_e32 v6, v6
	v_cvt_i32_f32_e32 v9, v10
	s_mov_b32 s2, 0x3f106ebb
	s_mov_b32 s3, 2.0
	v_pk_mul_f32 v[14:15], v[14:15], s[2:3]
	s_mov_b32 s2, 0xc2ce8ed0
	v_ldexp_f32 v6, v6, v9
	v_cmp_ngt_f32_e32 vcc, s2, v16
	s_mov_b32 s2, 0x42b17218
	v_mov_b32_e32 v9, 0x7f800000
	v_cndmask_b32_e32 v6, 0, v6, vcc
	v_cmp_nlt_f32_e32 vcc, s2, v16
	s_nop 1
	v_cndmask_b32_e32 v6, v9, v6, vcc
	v_mul_f32_e32 v6, v15, v6
	v_div_scale_f32 v9, s[2:3], v6, v6, v14
	v_rcp_f32_e32 v10, v9
	s_mov_b32 s2, 0x41052018
	v_fma_f32 v12, -v9, v10, 1.0
	v_fmac_f32_e32 v10, v12, v10
	v_div_scale_f32 v12, vcc, v14, v6, v14
	v_mul_f32_e32 v15, v12, v10
	v_fma_f32 v16, -v9, v15, v12
	v_fmac_f32_e32 v15, v16, v10
	v_fma_f32 v9, -v9, v15, v12
	v_div_fmas_f32 v9, v9, v10, v15
	v_cmp_nlt_f32_e32 vcc, s2, v13
	s_andn2_b64 s[2:3], s[6:7], exec
	s_and_b64 s[16:17], vcc, exec
	v_div_fixup_f32 v6, v9, v6, v14
	s_or_b64 s[2:3], s[2:3], s[16:17]
.LBB12_62:
	s_or_b64 exec, exec, s[14:15]
	s_and_saveexec_b64 s[14:15], s[2:3]
	s_cbranch_execz .LBB12_66
; %bb.63:
	v_mul_f32_e32 v9, v13, v13
	v_mul_f32_e32 v14, v13, v9
	v_mov_b32_e32 v15, v14
	s_mov_b64 s[16:17], 0
	v_mov_b32_e32 v9, 1.0
	v_mov_b32_e32 v12, 1.0
	;; [unrolled: 1-line block ×3, first 2 shown]
	s_brev_b32 s18, 44
	v_mov_b32_e32 v17, v13
.LBB12_64:                              ; =>This Inner Loop Header: Depth=1
	v_pk_mul_f32 v[16:17], v[14:15], v[16:17]
	v_add_f32_e32 v10, 1.0, v9
	v_add_f32_e32 v18, 1.0, v10
	v_div_scale_f32 v19, s[2:3], v10, v10, v16
	v_rcp_f32_e32 v22, v19
	v_div_scale_f32 v23, s[2:3], v18, v18, v17
	v_rcp_f32_e32 v25, v23
	v_fma_f32 v26, -v19, v22, 1.0
	v_div_scale_f32 v21, vcc, v16, v10, v16
	v_fmac_f32_e32 v22, v26, v22
	v_fma_f32 v26, -v23, v25, 1.0
	v_div_scale_f32 v24, s[2:3], v17, v18, v17
	v_mul_f32_e32 v27, v21, v22
	v_fmac_f32_e32 v25, v26, v25
	v_fma_f32 v26, -v19, v27, v21
	v_mul_f32_e32 v28, v24, v25
	v_fmac_f32_e32 v27, v26, v22
	v_fma_f32 v26, -v23, v28, v24
	v_fma_f32 v19, -v19, v27, v21
	v_fmac_f32_e32 v28, v26, v25
	v_div_fmas_f32 v19, v19, v22, v27
	v_fma_f32 v21, -v23, v28, v24
	s_mov_b64 vcc, s[2:3]
	v_div_fixup_f32 v10, v19, v10, v16
	v_div_fmas_f32 v16, v21, v25, v28
	v_add_f32_e32 v9, 1.0, v18
	v_div_fixup_f32 v16, v16, v18, v17
	v_div_scale_f32 v17, s[2:3], v18, v18, v10
	v_div_scale_f32 v21, s[22:23], v9, v9, v16
	v_rcp_f32_e32 v23, v17
	v_rcp_f32_e32 v24, v21
	v_div_scale_f32 v19, s[2:3], v10, v18, v10
	v_fma_f32 v25, -v17, v23, 1.0
	v_fma_f32 v26, -v21, v24, 1.0
	v_div_scale_f32 v22, vcc, v16, v9, v16
	v_fmac_f32_e32 v23, v25, v23
	v_fmac_f32_e32 v24, v26, v24
	v_mul_f32_e32 v25, v19, v23
	v_mul_f32_e32 v26, v22, v24
	v_fma_f32 v27, -v17, v25, v19
	v_fma_f32 v28, -v21, v26, v22
	v_fmac_f32_e32 v25, v27, v23
	v_fmac_f32_e32 v26, v28, v24
	v_fma_f32 v19, -v17, v25, v19
	v_fma_f32 v17, -v21, v26, v22
	v_div_fmas_f32 v17, v17, v24, v26
	s_mov_b64 vcc, s[2:3]
	v_div_fixup_f32 v17, v17, v9, v16
	v_div_fmas_f32 v16, v19, v23, v25
	v_div_fixup_f32 v16, v16, v18, v10
	v_pk_add_f32 v[12:13], v[12:13], v[16:17]
	s_nop 0
	v_div_scale_f32 v10, s[2:3], v12, v12, v16
	v_rcp_f32_e32 v18, v10
	v_div_scale_f32 v19, vcc, v16, v12, v16
	v_fma_f32 v21, -v10, v18, 1.0
	v_fmac_f32_e32 v18, v21, v18
	v_mul_f32_e32 v21, v19, v18
	v_fma_f32 v22, -v10, v21, v19
	v_fmac_f32_e32 v21, v22, v18
	v_fma_f32 v10, -v10, v21, v19
	v_div_fmas_f32 v10, v10, v18, v21
	v_div_fixup_f32 v10, v10, v12, v16
	v_cmp_ngt_f32_e64 s[2:3], |v10|, s18
	s_or_b64 s[16:17], s[2:3], s[16:17]
	s_andn2_b64 exec, exec, s[16:17]
	s_cbranch_execnz .LBB12_64
; %bb.65:
	s_or_b64 exec, exec, s[16:17]
	s_mov_b32 s2, 0x3eb5c63d
	s_mov_b32 s3, 0x3e8483fa
	v_pk_mul_f32 v[12:13], v[12:13], s[2:3]
	s_nop 0
	v_sub_f32_e32 v9, v12, v13
	v_cndmask_b32_e64 v6, v6, v9, s[6:7]
.LBB12_66:
	s_or_b64 exec, exec, s[14:15]
                                        ; implicit-def: $vgpr13
.LBB12_67:
	s_andn2_saveexec_b64 s[14:15], s[4:5]
	s_cbranch_execz .LBB12_77
; %bb.68:
	s_mov_b32 s2, 0x8f800000
	v_mul_f32_e32 v6, 0xcf800000, v13
	v_cmp_lt_f32_e32 vcc, s2, v13
	v_mul_f32_e32 v10, -2.0, v13
	s_mov_b32 s4, 0x40400000
	v_cndmask_b32_e64 v6, -v13, v6, vcc
	v_sqrt_f32_e32 v9, v6
	s_nop 0
	v_add_u32_e32 v12, -1, v9
	v_fma_f32 v13, -v12, v9, v6
	v_cmp_ge_f32_e64 s[2:3], 0, v13
	v_add_u32_e32 v13, 1, v9
	s_nop 0
	v_cndmask_b32_e64 v12, v9, v12, s[2:3]
	v_fma_f32 v9, -v13, v9, v6
	v_cmp_lt_f32_e64 s[2:3], 0, v9
	s_nop 1
	v_cndmask_b32_e64 v9, v12, v13, s[2:3]
	v_mul_f32_e32 v12, 0x37800000, v9
	v_cndmask_b32_e32 v9, v9, v12, vcc
	v_mov_b32_e32 v12, 0x260
	v_cmp_class_f32_e32 vcc, v6, v12
	s_nop 1
	v_cndmask_b32_e32 v6, v9, v6, vcc
	v_mul_f32_e32 v9, v10, v6
	v_div_scale_f32 v10, s[2:3], s4, s4, v9
	v_rcp_f32_e32 v12, v10
	s_brev_b32 s2, 18
	v_fma_f32 v13, -v10, v12, 1.0
	v_fmac_f32_e32 v12, v13, v12
	v_div_scale_f32 v13, vcc, v9, s4, v9
	v_mul_f32_e32 v14, v13, v12
	v_fma_f32 v15, -v10, v14, v13
	v_fmac_f32_e32 v14, v15, v12
	v_fma_f32 v10, -v10, v14, v13
	v_div_fmas_f32 v10, v10, v12, v14
	v_div_fixup_f32 v12, v10, s4, v9
	v_add_f32_e32 v9, 0x3f490fdb, v12
	v_and_b32_e32 v10, 0x7fffffff, v9
	v_cmp_nlt_f32_e64 s[16:17], |v9|, s2
	v_lshrrev_b32_e32 v17, 23, v10
                                        ; implicit-def: $vgpr13
                                        ; implicit-def: $vgpr14
	s_and_saveexec_b64 s[2:3], s[16:17]
	s_xor_b64 s[18:19], exec, s[2:3]
	s_cbranch_execz .LBB12_70
; %bb.69:
	v_add_u32_e32 v13, 0xffffff88, v17
	v_not_b32_e32 v14, 63
	v_cmp_lt_u32_e32 vcc, 63, v13
	s_mov_b32 s6, 0xfe5163ab
	v_mov_b32_e32 v19, 0
	v_cndmask_b32_e32 v14, 0, v14, vcc
	v_add_u32_e32 v13, v14, v13
	v_not_b32_e32 v14, 31
	v_cmp_lt_u32_e64 s[2:3], 31, v13
	s_nop 1
	v_cndmask_b32_e64 v15, 0, v14, s[2:3]
	v_add_u32_e32 v13, v15, v13
	v_cmp_lt_u32_e64 s[4:5], 31, v13
	s_nop 1
	v_cndmask_b32_e64 v14, 0, v14, s[4:5]
	v_add_u32_e32 v13, v14, v13
	v_and_b32_e32 v14, 0x7fffff, v10
	v_or_b32_e32 v16, 0x800000, v14
	v_mad_u64_u32 v[14:15], s[6:7], v16, s6, 0
	v_mov_b32_e32 v18, v15
	s_mov_b32 s6, 0x3c439041
	v_mad_u64_u32 v[22:23], s[6:7], v16, s6, v[18:19]
	v_mov_b32_e32 v18, v23
	s_mov_b32 s6, 0xdb629599
	;; [unrolled: 3-line block ×6, first 2 shown]
	v_mad_u64_u32 v[18:19], s[6:7], v16, s6, v[18:19]
	v_cndmask_b32_e32 v15, v30, v26, vcc
	v_cndmask_b32_e32 v16, v18, v28, vcc
	;; [unrolled: 1-line block ×3, first 2 shown]
	v_cndmask_b32_e64 v18, v16, v15, s[2:3]
	v_cndmask_b32_e64 v16, v19, v16, s[2:3]
	v_cndmask_b32_e32 v19, v28, v24, vcc
	v_cndmask_b32_e64 v15, v15, v19, s[2:3]
	v_cndmask_b32_e64 v16, v16, v18, s[4:5]
	;; [unrolled: 1-line block ×3, first 2 shown]
	v_sub_u32_e32 v21, 32, v13
	v_alignbit_b32 v23, v16, v18, v21
	v_cmp_eq_u32_e64 s[6:7], 0, v13
	v_cndmask_b32_e32 v14, v24, v14, vcc
	s_nop 0
	v_cndmask_b32_e64 v13, v23, v16, s[6:7]
	v_cndmask_b32_e32 v16, v26, v22, vcc
	v_cndmask_b32_e64 v19, v19, v16, s[2:3]
	v_cndmask_b32_e64 v15, v15, v19, s[4:5]
	v_alignbit_b32 v22, v18, v15, v21
	v_cndmask_b32_e64 v14, v16, v14, s[2:3]
	v_cndmask_b32_e64 v18, v22, v18, s[6:7]
	v_bfe_u32 v25, v13, 29, 1
	v_cndmask_b32_e64 v14, v19, v14, s[4:5]
	v_alignbit_b32 v22, v13, v18, 30
	v_sub_u32_e32 v26, 0, v25
	v_alignbit_b32 v16, v15, v14, v21
	v_xor_b32_e32 v22, v22, v26
	v_cndmask_b32_e64 v15, v16, v15, s[6:7]
	v_alignbit_b32 v16, v18, v15, 30
	v_ffbh_u32_e32 v18, v22
	v_min_u32_e32 v18, 32, v18
	v_alignbit_b32 v14, v15, v14, 30
	v_xor_b32_e32 v16, v16, v26
	v_sub_u32_e32 v19, 31, v18
	v_xor_b32_e32 v14, v14, v26
	v_alignbit_b32 v21, v22, v16, v19
	v_alignbit_b32 v14, v16, v14, v19
	;; [unrolled: 1-line block ×3, first 2 shown]
	v_ffbh_u32_e32 v16, v15
	v_min_u32_e32 v16, 32, v16
	v_lshrrev_b32_e32 v23, 29, v13
	v_not_b32_e32 v19, v16
	v_alignbit_b32 v14, v15, v14, v19
	v_lshlrev_b32_e32 v15, 31, v23
	v_or_b32_e32 v19, 0x33000000, v15
	v_add_lshl_u32 v16, v16, v18, 23
	v_lshrrev_b32_e32 v14, 9, v14
	v_sub_u32_e32 v16, v19, v16
	v_or_b32_e32 v15, 0.5, v15
	v_lshlrev_b32_e32 v18, 23, v18
	v_or_b32_e32 v14, v16, v14
	v_lshrrev_b32_e32 v16, 9, v21
	v_sub_u32_e32 v15, v15, v18
	v_or_b32_e32 v15, v16, v15
	s_mov_b32 s2, 0x3fc90fda
	v_mul_f32_e32 v16, 0x3fc90fda, v15
	v_fma_f32 v18, v15, s2, -v16
	v_fmamk_f32 v15, v15, 0x33a22168, v18
	v_fmac_f32_e32 v15, 0x3fc90fda, v14
	v_lshrrev_b32_e32 v13, 30, v13
	v_add_f32_e32 v14, v16, v15
	v_add_u32_e32 v13, v25, v13
	s_andn2_saveexec_b64 s[2:3], s[18:19]
	s_cbranch_execz .LBB12_72
	s_branch .LBB12_71
.LBB12_70:
	s_andn2_saveexec_b64 s[2:3], s[18:19]
	s_cbranch_execz .LBB12_72
.LBB12_71:
	s_mov_b32 s4, 0x3f22f983
	v_mul_f32_e64 v13, |v9|, s4
	v_rndne_f32_e32 v14, v13
	s_mov_b32 s4, 0xbfc90fda
	v_cvt_i32_f32_e32 v13, v14
	v_fma_f32 v15, v14, s4, |v9|
	v_fmamk_f32 v15, v14, 0xb3a22168, v15
	v_fmamk_f32 v14, v14, 0xa7c234c4, v15
.LBB12_72:
	s_or_b64 exec, exec, s[2:3]
                                        ; implicit-def: $vgpr15
                                        ; implicit-def: $vgpr16
	s_and_saveexec_b64 s[2:3], s[16:17]
	s_xor_b64 s[16:17], exec, s[2:3]
	s_cbranch_execz .LBB12_74
; %bb.73:
	v_add_u32_e32 v15, 0xffffff88, v17
	v_not_b32_e32 v16, 63
	v_cmp_lt_u32_e32 vcc, 63, v15
	s_mov_b32 s6, 0xfe5163ab
	v_mov_b32_e32 v19, 0
	v_cndmask_b32_e32 v16, 0, v16, vcc
	v_add_u32_e32 v15, v16, v15
	v_not_b32_e32 v16, 31
	v_cmp_lt_u32_e64 s[2:3], 31, v15
	s_nop 1
	v_cndmask_b32_e64 v17, 0, v16, s[2:3]
	v_add_u32_e32 v15, v17, v15
	v_cmp_lt_u32_e64 s[4:5], 31, v15
	s_nop 1
	v_cndmask_b32_e64 v16, 0, v16, s[4:5]
	v_add_u32_e32 v15, v16, v15
	v_and_b32_e32 v16, 0x7fffff, v10
	v_or_b32_e32 v21, 0x800000, v16
	v_mad_u64_u32 v[16:17], s[6:7], v21, s6, 0
	v_mov_b32_e32 v18, v17
	s_mov_b32 s6, 0x3c439041
	v_mad_u64_u32 v[22:23], s[6:7], v21, s6, v[18:19]
	v_mov_b32_e32 v18, v23
	s_mov_b32 s6, 0xdb629599
	v_mad_u64_u32 v[24:25], s[6:7], v21, s6, v[18:19]
	v_mov_b32_e32 v18, v25
	s_mov_b32 s6, 0xf534ddc0
	v_mad_u64_u32 v[26:27], s[6:7], v21, s6, v[18:19]
	v_mov_b32_e32 v18, v27
	s_mov_b32 s6, 0xfc2757d1
	v_mad_u64_u32 v[28:29], s[6:7], v21, s6, v[18:19]
	v_mov_b32_e32 v18, v29
	s_mov_b32 s6, 0x4e441529
	v_mad_u64_u32 v[30:31], s[6:7], v21, s6, v[18:19]
	v_mov_b32_e32 v18, v31
	s_mov_b32 s6, 0xa2f9836e
	v_mad_u64_u32 v[18:19], s[6:7], v21, s6, v[18:19]
	v_cndmask_b32_e32 v17, v30, v26, vcc
	v_cndmask_b32_e32 v18, v18, v28, vcc
	;; [unrolled: 1-line block ×3, first 2 shown]
	v_cndmask_b32_e64 v21, v18, v17, s[2:3]
	v_cndmask_b32_e64 v18, v19, v18, s[2:3]
	v_cndmask_b32_e32 v19, v28, v24, vcc
	v_cndmask_b32_e64 v17, v17, v19, s[2:3]
	v_cndmask_b32_e64 v18, v18, v21, s[4:5]
	;; [unrolled: 1-line block ×3, first 2 shown]
	v_sub_u32_e32 v23, 32, v15
	v_alignbit_b32 v25, v18, v21, v23
	v_cmp_eq_u32_e64 s[6:7], 0, v15
	v_cndmask_b32_e32 v16, v24, v16, vcc
	s_nop 0
	v_cndmask_b32_e64 v15, v25, v18, s[6:7]
	v_cndmask_b32_e32 v18, v26, v22, vcc
	v_cndmask_b32_e64 v19, v19, v18, s[2:3]
	v_cndmask_b32_e64 v17, v17, v19, s[4:5]
	v_alignbit_b32 v22, v21, v17, v23
	v_cndmask_b32_e64 v21, v22, v21, s[6:7]
	v_bfe_u32 v26, v15, 29, 1
	v_cndmask_b32_e64 v16, v18, v16, s[2:3]
	v_alignbit_b32 v22, v15, v21, 30
	v_sub_u32_e32 v27, 0, v26
	v_cndmask_b32_e64 v16, v19, v16, s[4:5]
	v_xor_b32_e32 v22, v22, v27
	v_alignbit_b32 v18, v17, v16, v23
	v_cndmask_b32_e64 v17, v18, v17, s[6:7]
	v_ffbh_u32_e32 v19, v22
	v_alignbit_b32 v18, v21, v17, 30
	v_min_u32_e32 v19, 32, v19
	v_alignbit_b32 v16, v17, v16, 30
	v_xor_b32_e32 v18, v18, v27
	v_sub_u32_e32 v21, 31, v19
	v_xor_b32_e32 v16, v16, v27
	v_alignbit_b32 v22, v22, v18, v21
	v_alignbit_b32 v16, v18, v16, v21
	;; [unrolled: 1-line block ×3, first 2 shown]
	v_ffbh_u32_e32 v18, v17
	v_min_u32_e32 v18, 32, v18
	v_lshrrev_b32_e32 v25, 29, v15
	v_not_b32_e32 v21, v18
	v_alignbit_b32 v16, v17, v16, v21
	v_lshlrev_b32_e32 v17, 31, v25
	v_or_b32_e32 v21, 0x33000000, v17
	v_add_lshl_u32 v18, v18, v19, 23
	v_lshrrev_b32_e32 v16, 9, v16
	v_sub_u32_e32 v18, v21, v18
	v_or_b32_e32 v17, 0.5, v17
	v_lshlrev_b32_e32 v19, 23, v19
	v_or_b32_e32 v16, v18, v16
	v_lshrrev_b32_e32 v18, 9, v22
	v_sub_u32_e32 v17, v17, v19
	v_or_b32_e32 v17, v18, v17
	s_mov_b32 s2, 0x3fc90fda
	v_mul_f32_e32 v18, 0x3fc90fda, v17
	v_fma_f32 v19, v17, s2, -v18
	v_fmamk_f32 v17, v17, 0x33a22168, v19
	v_fmac_f32_e32 v17, 0x3fc90fda, v16
	v_lshrrev_b32_e32 v15, 30, v15
	v_add_f32_e32 v16, v18, v17
	v_add_u32_e32 v15, v26, v15
	s_andn2_saveexec_b64 s[2:3], s[16:17]
	s_cbranch_execnz .LBB12_75
	s_branch .LBB12_76
.LBB12_74:
	s_andn2_saveexec_b64 s[2:3], s[16:17]
	s_cbranch_execz .LBB12_76
.LBB12_75:
	s_mov_b32 s4, 0x3f22f983
	v_mul_f32_e64 v15, |v9|, s4
	v_rndne_f32_e32 v16, v15
	s_mov_b32 s4, 0xbfc90fda
	v_cvt_i32_f32_e32 v15, v16
	v_fma_f32 v17, v16, s4, |v9|
	v_fmamk_f32 v17, v16, 0xb3a22168, v17
	v_fmamk_f32 v16, v16, 0xa7c234c4, v17
.LBB12_76:
	s_or_b64 exec, exec, s[2:3]
	v_div_scale_f32 v17, s[2:3], v12, v12, 1.0
	v_rcp_f32_e32 v18, v17
	v_div_scale_f32 v19, vcc, 1.0, v12, 1.0
	v_xor_b32_e32 v10, v10, v9
	v_fma_f32 v21, -v17, v18, 1.0
	v_fmac_f32_e32 v18, v21, v18
	v_mul_f32_e32 v21, v19, v18
	v_fma_f32 v22, -v17, v21, v19
	v_fmac_f32_e32 v21, v22, v18
	v_fma_f32 v17, -v17, v21, v19
	v_div_fmas_f32 v17, v17, v18, v21
	v_div_fixup_f32 v12, v17, v12, 1.0
	v_mul_f32_e32 v17, v12, v12
	v_mov_b32_e32 v18, 0xbe06db67
	v_mul_f32_e32 v21, v14, v14
	v_mov_b32_e32 v22, 0x3c0881c4
	v_fmac_f32_e32 v18, 0, v17
	v_mov_b32_e32 v19, 0x4155b259
	v_fmamk_f32 v23, v21, 0xb94c1982, v22
	v_fmaak_f32 v18, v17, v18, 0xbf205f75
	v_fmac_f32_e32 v19, 0, v17
	v_fmaak_f32 v23, v21, v23, 0xbe2aaa9d
	v_fmaak_f32 v18, v17, v18, 0xbf3172ce
	v_fmaak_f32 v19, v17, v19, 0x4202bae2
	v_mul_f32_e32 v23, v21, v23
	v_fmaak_f32 v18, v17, v18, 0xbe8f3f52
	v_fmaak_f32 v19, v17, v19, 0x41d5e4c5
	v_fmac_f32_e32 v14, v14, v23
	v_mov_b32_e32 v23, 0xbab64f3b
	v_fmaak_f32 v18, v17, v18, 0xbd497b78
	v_fmaak_f32 v19, v17, v19, 0x4112fe41
	v_fmamk_f32 v25, v21, 0x37d75334, v23
	v_fmaak_f32 v18, v17, v18, 0xbb85200e
	v_fmaak_f32 v19, v17, v19, 0x3fbcd65a
	v_fmaak_f32 v25, v21, v25, 0x3d2aabf7
	v_fmaak_f32 v18, v17, v18, 0xb9270375
	v_fmaak_f32 v19, v17, v19, 0x3deced66
	v_fmaak_f32 v25, v21, v25, 0xbf000004
	v_fmaak_f32 v18, v17, v18, 0xb63a53c1
	v_fmaak_f32 v19, v17, v19, 0x3b904657
	v_fma_f32 v21, v21, v25, 1.0
	v_and_b32_e32 v25, 1, v13
	v_lshlrev_b32_e32 v13, 30, v13
	v_fmaak_f32 v19, v17, v19, 0x389e46bd
	v_fmaak_f32 v18, v17, v18, 0xb29020e8
	v_cmp_eq_u32_e32 vcc, 0, v25
	v_and_b32_e32 v13, 0x80000000, v13
	v_fmaak_f32 v19, v17, v19, 0x34f295ce
	v_cndmask_b32_e32 v14, v21, v14, vcc
	v_xor_b32_e32 v10, v10, v13
	v_mul_f32_e32 v13, v17, v18
	v_xor_b32_e32 v10, v10, v14
	v_div_scale_f32 v14, s[2:3], v19, v19, v13
	v_rcp_f32_e32 v18, v14
	s_movk_i32 s4, 0x1f8
	v_mov_b32_e32 v21, 0x7fc00000
	v_cmp_class_f32_e64 s[2:3], v9, s4
	s_mov_b32 s4, 0xf800000
	s_mov_b32 s7, 0x3f106ebb
	v_cndmask_b32_e64 v9, v21, v10, s[2:3]
	v_fma_f32 v10, -v14, v18, 1.0
	v_fmac_f32_e32 v18, v10, v18
	v_div_scale_f32 v10, vcc, v13, v19, v13
	v_mul_f32_e32 v25, v10, v18
	v_fma_f32 v28, -v14, v25, v10
	v_fmac_f32_e32 v25, v28, v18
	v_fma_f32 v10, -v14, v25, v10
	v_div_fmas_f32 v10, v10, v18, v25
	v_mul_f32_e32 v18, 0x4f800000, v6
	v_cmp_gt_f32_e32 vcc, s4, v6
	v_div_fixup_f32 v10, v10, v19, v13
	v_mov_b32_e32 v13, 0x3ca1a92f
	v_cndmask_b32_e32 v6, v6, v18, vcc
	v_sqrt_f32_e32 v18, v6
	v_fmac_f32_e32 v13, 0, v17
	v_mov_b32_e32 v14, 0x4114f160
	v_fmaak_f32 v13, v17, v13, 0x3ec83ea8
	v_add_u32_e32 v19, -1, v18
	v_fma_f32 v25, -v19, v18, v6
	v_cmp_ge_f32_e64 s[4:5], 0, v25
	v_add_u32_e32 v25, 1, v18
	v_fmac_f32_e32 v14, 0, v17
	v_cndmask_b32_e64 v19, v18, v19, s[4:5]
	v_fma_f32 v18, -v25, v18, v6
	v_cmp_lt_f32_e64 s[4:5], 0, v18
	v_fmaak_f32 v13, v17, v13, 0x3f886c1a
	v_fmaak_f32 v14, v17, v14, 0x419eaeae
	v_cndmask_b32_e64 v18, v19, v25, s[4:5]
	v_mul_f32_e32 v19, 0x37800000, v18
	v_cndmask_b32_e32 v18, v18, v19, vcc
	v_mov_b32_e32 v19, 0x260
	v_fmaak_f32 v13, v17, v13, 0x3f706d65
	v_fmaak_f32 v14, v17, v14, 0x417908dc
	v_cmp_class_f32_e32 vcc, v6, v19
	v_fmaak_f32 v13, v17, v13, 0x3eb3f34e
	v_fmaak_f32 v14, v17, v14, 0x40af4271
	v_cndmask_b32_e32 v6, v18, v6, vcc
	v_fmaak_f32 v13, v17, v13, 0x3d81d209
	v_fmaak_f32 v14, v17, v14, 0x3f744c96
	v_div_scale_f32 v18, s[4:5], v6, v6, s7
	v_fmaak_f32 v13, v17, v13, 0x3bbff4d0
	v_fmaak_f32 v14, v17, v14, 0x3db110ef
	v_rcp_f32_e32 v19, v18
	v_fmaak_f32 v13, v17, v13, 0x39944bb3
	v_fmaak_f32 v14, v17, v14, 0x3b873823
	;; [unrolled: 1-line block ×8, first 2 shown]
	v_fma_f32 v17, -v18, v19, 1.0
	v_fmac_f32_e32 v19, v17, v19
	v_div_scale_f32 v17, vcc, s7, v6, s7
	v_mul_f32_e32 v25, v17, v19
	v_fma_f32 v28, -v18, v25, v17
	v_fmac_f32_e32 v25, v28, v19
	v_fma_f32 v17, -v18, v25, v17
	v_div_fmas_f32 v17, v17, v19, v25
	v_div_fixup_f32 v6, v17, v6, s7
	v_mul_f32_e32 v17, v16, v16
	v_mov_b32_e32 v24, 0xbe2aaa9d
	v_fmac_f32_e32 v22, 0xb94c1982, v17
	v_mov_b32_e32 v26, 0x3d2aabf7
	v_fmac_f32_e32 v24, v17, v22
	v_fmac_f32_e32 v23, 0x37d75334, v17
	v_mov_b32_e32 v27, 0xbf000004
	v_mul_f32_e32 v18, v17, v24
	v_fmac_f32_e32 v26, v17, v23
	v_fmac_f32_e32 v16, v16, v18
	;; [unrolled: 1-line block ×3, first 2 shown]
	v_and_b32_e32 v18, 1, v15
	v_mul_f32_e32 v12, v12, v13
	v_fma_f32 v17, v17, v27, 1.0
	v_cmp_eq_u32_e32 vcc, 0, v18
	v_div_scale_f32 v13, s[4:5], v14, v14, v12
	s_nop 0
	v_cndmask_b32_e64 v16, -v16, v17, vcc
	v_rcp_f32_e32 v17, v13
	s_brev_b32 s6, 1
	v_lshlrev_b32_e32 v15, 30, v15
	v_bitop3_b32 v15, v15, v16, s6 bitop3:0x6c
	v_fma_f32 v16, -v13, v17, 1.0
	v_fmac_f32_e32 v17, v16, v17
	v_div_scale_f32 v16, vcc, v12, v14, v12
	v_mul_f32_e32 v18, v16, v17
	v_fma_f32 v19, -v13, v18, v16
	v_fmac_f32_e32 v18, v19, v17
	v_fma_f32 v13, -v13, v18, v16
	v_div_fmas_f32 v13, v13, v17, v18
	v_cndmask_b32_e64 v15, v21, v15, s[2:3]
	v_div_fixup_f32 v12, v13, v14, v12
	v_add_f32_e32 v10, 1.0, v10
	v_mul_f32_e32 v12, v12, v15
	v_fma_f32 v9, v10, v9, -v12
	v_mul_f32_e32 v6, v6, v9
.LBB12_77:
	s_or_b64 exec, exec, s[14:15]
.LBB12_78:
	s_or_b64 exec, exec, s[12:13]
.LBB12_79:
	s_or_b64 exec, exec, s[10:11]
.LBB12_80:
	s_or_b64 exec, exec, s[8:9]
	v_add_u32_e32 v9, 0x300, v20
	v_cmp_lt_i32_e32 vcc, v9, v4
	s_and_saveexec_b64 s[8:9], vcc
	s_cbranch_execz .LBB12_94
; %bb.81:
	s_mov_b32 s2, 0x7f800000
	v_cmp_neq_f32_e64 s[2:3], |v11|, s2
	v_mov_b32_e32 v3, 0x7fc00000
	s_and_saveexec_b64 s[10:11], s[2:3]
	s_cbranch_execz .LBB12_108
; %bb.82:
	s_mov_b32 s2, 0x42cfc8b4
	v_cmp_nlt_f32_e32 vcc, s2, v11
	v_mov_b32_e32 v3, 0
	s_and_saveexec_b64 s[12:13], vcc
	s_cbranch_execz .LBB12_107
; %bb.83:
	s_mov_b32 s2, 0xc005c28f
	v_cmp_ngt_f32_e32 vcc, s2, v11
	s_and_saveexec_b64 s[2:3], vcc
	s_xor_b64 s[4:5], exec, s[2:3]
                                        ; implicit-def: $vgpr3
	s_cbranch_execz .LBB12_91
; %bb.84:
	s_mov_b32 s2, 0x4005c28f
	v_cmp_nle_f32_e64 s[6:7], s2, v11
	v_cmp_le_f32_e32 vcc, s2, v11
	v_mov_b32_e32 v3, 0
	s_mov_b64 s[2:3], s[6:7]
	s_and_saveexec_b64 s[14:15], vcc
	s_cbranch_execz .LBB12_86
; %bb.85:
	s_mov_b32 s16, 0xf800000
	v_mul_f32_e32 v3, 0x4f800000, v11
	v_cmp_gt_f32_e32 vcc, s16, v11
	v_mov_b32_e32 v14, 0x260
	v_add_f32_e32 v10, v11, v11
	v_cndmask_b32_e32 v3, v11, v3, vcc
	v_sqrt_f32_e32 v9, v3
	s_mov_b32 s17, 0x40400000
	v_add_u32_e32 v12, -1, v9
	v_fma_f32 v13, -v12, v9, v3
	v_cmp_ge_f32_e64 s[2:3], 0, v13
	v_add_u32_e32 v13, 1, v9
	s_nop 0
	v_cndmask_b32_e64 v12, v9, v12, s[2:3]
	v_fma_f32 v9, -v13, v9, v3
	v_cmp_lt_f32_e64 s[2:3], 0, v9
	s_nop 1
	v_cndmask_b32_e64 v9, v12, v13, s[2:3]
	v_mul_f32_e32 v12, 0x37800000, v9
	v_cndmask_b32_e32 v9, v9, v12, vcc
	v_cmp_class_f32_e32 vcc, v3, v14
	s_nop 1
	v_cndmask_b32_e32 v3, v9, v3, vcc
	v_mul_f32_e32 v9, v10, v3
	v_div_scale_f32 v10, s[2:3], s17, s17, v9
	v_rcp_f32_e32 v12, v10
	s_nop 0
	v_fma_f32 v13, -v10, v12, 1.0
	v_fmac_f32_e32 v12, v13, v12
	v_div_scale_f32 v13, vcc, v9, s17, v9
	v_mul_f32_e32 v15, v13, v12
	v_fma_f32 v16, -v10, v15, v13
	v_fmac_f32_e32 v15, v16, v12
	v_fma_f32 v10, -v10, v15, v13
	v_div_fmas_f32 v10, v10, v12, v15
	v_div_fixup_f32 v9, v10, s17, v9
	v_div_scale_f32 v10, s[2:3], v9, v9, 1.0
	v_rcp_f32_e32 v12, v10
	s_mov_b32 s2, 0x3eb16d71
	s_mov_b32 s3, 0x3f114de0
	v_fma_f32 v13, -v10, v12, 1.0
	v_fmac_f32_e32 v12, v13, v12
	v_div_scale_f32 v13, vcc, 1.0, v9, 1.0
	v_mul_f32_e32 v15, v13, v12
	v_fma_f32 v16, -v10, v15, v13
	v_fmac_f32_e32 v15, v16, v12
	v_fma_f32 v10, -v10, v15, v13
	v_div_fmas_f32 v10, v10, v12, v15
	v_div_fixup_f32 v10, v10, v9, 1.0
	v_mul_f32_e32 v12, 0, v10
	v_pk_add_f32 v[12:13], v[12:13], s[2:3] op_sel_hi:[0,1]
	s_mov_b32 s2, 0x41401f1c
	s_mov_b32 s3, 0x416c19a0
	v_pk_fma_f32 v[12:13], v[10:11], v[12:13], s[2:3] op_sel_hi:[0,1,1]
	s_mov_b32 s2, 0x42988f28
	s_mov_b32 s3, 0x42a9071e
	v_pk_fma_f32 v[12:13], v[10:11], v[12:13], s[2:3] op_sel_hi:[0,1,1]
	;; [unrolled: 3-line block ×6, first 2 shown]
	v_pk_fma_f32 v[12:13], v[10:11], v[12:13], 1.0 op_sel_hi:[0,1,0]
	v_div_scale_f32 v10, s[2:3], v13, v13, v12
	v_rcp_f32_e32 v15, v10
	v_cmp_gt_f32_e64 s[2:3], s16, v3
	v_fma_f32 v16, -v10, v15, 1.0
	v_fmac_f32_e32 v15, v16, v15
	v_div_scale_f32 v16, vcc, v12, v13, v12
	v_mul_f32_e32 v17, v16, v15
	v_fma_f32 v18, -v10, v17, v16
	v_fmac_f32_e32 v17, v18, v15
	v_fma_f32 v10, -v10, v17, v16
	v_mul_f32_e32 v16, 0x4f800000, v3
	v_cndmask_b32_e64 v3, v3, v16, s[2:3]
	v_sqrt_f32_e32 v16, v3
	v_div_fmas_f32 v10, v10, v15, v17
	v_div_fixup_f32 v12, v10, v13, v12
	v_add_u32_e32 v10, -1, v16
	v_fma_f32 v13, -v10, v16, v3
	v_cmp_ge_f32_e32 vcc, 0, v13
	v_add_u32_e32 v13, 1, v16
	v_fma_f32 v15, -v13, v16, v3
	v_cndmask_b32_e32 v10, v16, v10, vcc
	v_cmp_lt_f32_e32 vcc, 0, v15
	s_nop 1
	v_cndmask_b32_e32 v10, v10, v13, vcc
	v_mul_f32_e32 v13, 0x37800000, v10
	v_cndmask_b32_e64 v10, v10, v13, s[2:3]
	v_cmp_class_f32_e32 vcc, v3, v14
	s_mov_b32 s2, 0x3fb8aa3b
	s_nop 0
	v_cndmask_b32_e32 v13, v10, v3, vcc
	v_mul_f32_e32 v3, 0x3fb8aa3b, v9
	v_fma_f32 v10, v9, s2, -v3
	v_rndne_f32_e32 v14, v3
	v_fmamk_f32 v10, v9, 0x32a5705f, v10
	v_sub_f32_e32 v3, v3, v14
	v_add_f32_e32 v3, v3, v10
	v_exp_f32_e32 v3, v3
	v_cvt_i32_f32_e32 v10, v14
	s_mov_b32 s2, 0x3f106ebb
	s_mov_b32 s3, 2.0
	v_pk_mul_f32 v[12:13], v[12:13], s[2:3]
	s_mov_b32 s2, 0xc2ce8ed0
	v_ldexp_f32 v3, v3, v10
	v_cmp_ngt_f32_e32 vcc, s2, v9
	s_mov_b32 s2, 0x42b17218
	v_mov_b32_e32 v10, 0x7f800000
	v_cndmask_b32_e32 v3, 0, v3, vcc
	v_cmp_nlt_f32_e32 vcc, s2, v9
	s_nop 1
	v_cndmask_b32_e32 v3, v10, v3, vcc
	v_mul_f32_e32 v3, v13, v3
	v_div_scale_f32 v9, s[2:3], v3, v3, v12
	v_rcp_f32_e32 v10, v9
	s_mov_b32 s2, 0x41052018
	v_fma_f32 v13, -v9, v10, 1.0
	v_fmac_f32_e32 v10, v13, v10
	v_div_scale_f32 v13, vcc, v12, v3, v12
	v_mul_f32_e32 v14, v13, v10
	v_fma_f32 v15, -v9, v14, v13
	v_fmac_f32_e32 v14, v15, v10
	v_fma_f32 v9, -v9, v14, v13
	v_div_fmas_f32 v9, v9, v10, v14
	v_cmp_nlt_f32_e32 vcc, s2, v11
	s_andn2_b64 s[2:3], s[6:7], exec
	s_and_b64 s[16:17], vcc, exec
	v_div_fixup_f32 v3, v9, v3, v12
	s_or_b64 s[2:3], s[2:3], s[16:17]
.LBB12_86:
	s_or_b64 exec, exec, s[14:15]
	s_and_saveexec_b64 s[14:15], s[2:3]
	s_cbranch_execz .LBB12_90
; %bb.87:
	v_mul_f32_e32 v9, v11, v11
	v_mul_f32_e32 v12, v11, v9
	v_mov_b32_e32 v13, v12
	s_mov_b64 s[16:17], 0
	v_mov_b32_e32 v9, 1.0
	v_mov_b32_e32 v10, 1.0
	;; [unrolled: 1-line block ×3, first 2 shown]
	s_brev_b32 s18, 44
	v_mov_b32_e32 v15, v11
.LBB12_88:                              ; =>This Inner Loop Header: Depth=1
	v_pk_mul_f32 v[14:15], v[12:13], v[14:15]
	v_add_f32_e32 v16, 1.0, v9
	v_add_f32_e32 v17, 1.0, v16
	v_div_scale_f32 v18, s[2:3], v16, v16, v14
	v_rcp_f32_e32 v21, v18
	v_div_scale_f32 v22, s[2:3], v17, v17, v15
	v_rcp_f32_e32 v24, v22
	v_fma_f32 v25, -v18, v21, 1.0
	v_div_scale_f32 v19, vcc, v14, v16, v14
	v_fmac_f32_e32 v21, v25, v21
	v_fma_f32 v25, -v22, v24, 1.0
	v_div_scale_f32 v23, s[2:3], v15, v17, v15
	v_mul_f32_e32 v26, v19, v21
	v_fmac_f32_e32 v24, v25, v24
	v_fma_f32 v25, -v18, v26, v19
	v_mul_f32_e32 v27, v23, v24
	v_fmac_f32_e32 v26, v25, v21
	v_fma_f32 v25, -v22, v27, v23
	v_fma_f32 v18, -v18, v26, v19
	v_fmac_f32_e32 v27, v25, v24
	v_div_fmas_f32 v18, v18, v21, v26
	v_fma_f32 v19, -v22, v27, v23
	s_mov_b64 vcc, s[2:3]
	v_div_fixup_f32 v14, v18, v16, v14
	v_div_fmas_f32 v16, v19, v24, v27
	v_add_f32_e32 v9, 1.0, v17
	v_div_fixup_f32 v15, v16, v17, v15
	v_div_scale_f32 v16, s[2:3], v17, v17, v14
	v_div_scale_f32 v19, s[22:23], v9, v9, v15
	v_rcp_f32_e32 v22, v16
	v_rcp_f32_e32 v23, v19
	v_div_scale_f32 v18, s[2:3], v14, v17, v14
	v_fma_f32 v24, -v16, v22, 1.0
	v_fma_f32 v25, -v19, v23, 1.0
	v_div_scale_f32 v21, vcc, v15, v9, v15
	v_fmac_f32_e32 v22, v24, v22
	v_fmac_f32_e32 v23, v25, v23
	v_mul_f32_e32 v24, v18, v22
	v_mul_f32_e32 v25, v21, v23
	v_fma_f32 v26, -v16, v24, v18
	v_fma_f32 v27, -v19, v25, v21
	v_fmac_f32_e32 v24, v26, v22
	v_fmac_f32_e32 v25, v27, v23
	v_fma_f32 v16, -v16, v24, v18
	v_fma_f32 v18, -v19, v25, v21
	v_div_fmas_f32 v18, v18, v23, v25
	s_mov_b64 vcc, s[2:3]
	v_div_fmas_f32 v16, v16, v22, v24
	v_div_fixup_f32 v15, v18, v9, v15
	v_div_fixup_f32 v14, v16, v17, v14
	v_pk_add_f32 v[10:11], v[10:11], v[14:15]
	s_nop 0
	v_div_scale_f32 v16, s[2:3], v10, v10, v14
	v_rcp_f32_e32 v17, v16
	v_div_scale_f32 v18, vcc, v14, v10, v14
	v_fma_f32 v19, -v16, v17, 1.0
	v_fmac_f32_e32 v17, v19, v17
	v_mul_f32_e32 v19, v18, v17
	v_fma_f32 v21, -v16, v19, v18
	v_fmac_f32_e32 v19, v21, v17
	v_fma_f32 v16, -v16, v19, v18
	v_div_fmas_f32 v16, v16, v17, v19
	v_div_fixup_f32 v16, v16, v10, v14
	v_cmp_ngt_f32_e64 s[2:3], |v16|, s18
	s_or_b64 s[16:17], s[2:3], s[16:17]
	s_andn2_b64 exec, exec, s[16:17]
	s_cbranch_execnz .LBB12_88
; %bb.89:
	s_or_b64 exec, exec, s[16:17]
	s_mov_b32 s2, 0x3eb5c63d
	s_mov_b32 s3, 0x3e8483fa
	v_pk_mul_f32 v[10:11], v[10:11], s[2:3]
	s_nop 0
	v_sub_f32_e32 v9, v10, v11
	v_cndmask_b32_e64 v3, v3, v9, s[6:7]
.LBB12_90:
	s_or_b64 exec, exec, s[14:15]
                                        ; implicit-def: $vgpr11
.LBB12_91:
	s_andn2_saveexec_b64 s[14:15], s[4:5]
	s_cbranch_execz .LBB12_106
; %bb.92:
	s_mov_b32 s2, 0x8f800000
	v_mul_f32_e32 v3, 0xcf800000, v11
	v_cmp_lt_f32_e32 vcc, s2, v11
	v_mul_f32_e32 v10, -2.0, v11
	s_mov_b32 s4, 0x40400000
	v_cndmask_b32_e64 v3, -v11, v3, vcc
	v_sqrt_f32_e32 v9, v3
	s_nop 0
	v_add_u32_e32 v11, -1, v9
	v_fma_f32 v12, -v11, v9, v3
	v_cmp_ge_f32_e64 s[2:3], 0, v12
	v_add_u32_e32 v12, 1, v9
	s_nop 0
	v_cndmask_b32_e64 v11, v9, v11, s[2:3]
	v_fma_f32 v9, -v12, v9, v3
	v_cmp_lt_f32_e64 s[2:3], 0, v9
	s_nop 1
	v_cndmask_b32_e64 v9, v11, v12, s[2:3]
	v_mul_f32_e32 v11, 0x37800000, v9
	v_cndmask_b32_e32 v9, v9, v11, vcc
	v_mov_b32_e32 v11, 0x260
	v_cmp_class_f32_e32 vcc, v3, v11
	s_nop 1
	v_cndmask_b32_e32 v3, v9, v3, vcc
	v_mul_f32_e32 v9, v10, v3
	v_div_scale_f32 v10, s[2:3], s4, s4, v9
	v_rcp_f32_e32 v11, v10
	s_brev_b32 s2, 18
	v_fma_f32 v12, -v10, v11, 1.0
	v_fmac_f32_e32 v11, v12, v11
	v_div_scale_f32 v12, vcc, v9, s4, v9
	v_mul_f32_e32 v13, v12, v11
	v_fma_f32 v14, -v10, v13, v12
	v_fmac_f32_e32 v13, v14, v11
	v_fma_f32 v10, -v10, v13, v12
	v_div_fmas_f32 v10, v10, v11, v13
	v_div_fixup_f32 v11, v10, s4, v9
	v_add_f32_e32 v9, 0x3f490fdb, v11
	v_and_b32_e32 v10, 0x7fffffff, v9
	v_cmp_nlt_f32_e64 s[16:17], |v9|, s2
	v_lshrrev_b32_e32 v16, 23, v10
                                        ; implicit-def: $vgpr12
                                        ; implicit-def: $vgpr13
	s_and_saveexec_b64 s[2:3], s[16:17]
	s_xor_b64 s[18:19], exec, s[2:3]
	s_cbranch_execz .LBB12_99
; %bb.93:
	v_add_u32_e32 v12, 0xffffff88, v16
	v_not_b32_e32 v13, 63
	v_cmp_lt_u32_e32 vcc, 63, v12
	s_mov_b32 s6, 0xfe5163ab
	v_mov_b32_e32 v15, 0
	v_cndmask_b32_e32 v13, 0, v13, vcc
	v_add_u32_e32 v12, v13, v12
	v_not_b32_e32 v13, 31
	v_cmp_lt_u32_e64 s[2:3], 31, v12
	s_nop 1
	v_cndmask_b32_e64 v14, 0, v13, s[2:3]
	v_add_u32_e32 v12, v14, v12
	v_cmp_lt_u32_e64 s[4:5], 31, v12
	s_nop 1
	v_cndmask_b32_e64 v13, 0, v13, s[4:5]
	v_add_u32_e32 v17, v13, v12
	v_and_b32_e32 v12, 0x7fffff, v10
	v_or_b32_e32 v21, 0x800000, v12
	v_mad_u64_u32 v[12:13], s[6:7], v21, s6, 0
	v_mov_b32_e32 v14, v13
	s_mov_b32 s6, 0x3c439041
	v_mad_u64_u32 v[18:19], s[6:7], v21, s6, v[14:15]
	v_mov_b32_e32 v14, v19
	s_mov_b32 s6, 0xdb629599
	v_mad_u64_u32 v[22:23], s[6:7], v21, s6, v[14:15]
	v_mov_b32_e32 v14, v23
	s_mov_b32 s6, 0xf534ddc0
	v_mad_u64_u32 v[24:25], s[6:7], v21, s6, v[14:15]
	v_mov_b32_e32 v14, v25
	s_mov_b32 s6, 0xfc2757d1
	v_mad_u64_u32 v[26:27], s[6:7], v21, s6, v[14:15]
	v_mov_b32_e32 v14, v27
	s_mov_b32 s6, 0x4e441529
	v_mad_u64_u32 v[28:29], s[6:7], v21, s6, v[14:15]
	v_mov_b32_e32 v14, v29
	s_mov_b32 s6, 0xa2f9836e
	v_mad_u64_u32 v[14:15], s[6:7], v21, s6, v[14:15]
	v_cndmask_b32_e32 v13, v28, v24, vcc
	v_cndmask_b32_e32 v14, v14, v26, vcc
	;; [unrolled: 1-line block ×3, first 2 shown]
	v_cndmask_b32_e64 v19, v14, v13, s[2:3]
	v_cndmask_b32_e64 v14, v15, v14, s[2:3]
	v_cndmask_b32_e32 v15, v26, v22, vcc
	v_cndmask_b32_e64 v13, v13, v15, s[2:3]
	v_sub_u32_e32 v21, 32, v17
	v_cmp_eq_u32_e64 s[6:7], 0, v17
	v_cndmask_b32_e32 v17, v24, v18, vcc
	v_cndmask_b32_e64 v14, v14, v19, s[4:5]
	v_cndmask_b32_e64 v19, v19, v13, s[4:5]
	;; [unrolled: 1-line block ×3, first 2 shown]
	v_alignbit_b32 v23, v14, v19, v21
	v_cndmask_b32_e64 v13, v13, v15, s[4:5]
	v_cndmask_b32_e64 v14, v23, v14, s[6:7]
	v_alignbit_b32 v18, v19, v13, v21
	v_cndmask_b32_e32 v12, v22, v12, vcc
	v_cndmask_b32_e64 v18, v18, v19, s[6:7]
	v_bfe_u32 v24, v14, 29, 1
	v_cndmask_b32_e64 v12, v17, v12, s[2:3]
	v_alignbit_b32 v19, v14, v18, 30
	v_sub_u32_e32 v25, 0, v24
	v_cndmask_b32_e64 v12, v15, v12, s[4:5]
	v_xor_b32_e32 v19, v19, v25
	v_alignbit_b32 v15, v13, v12, v21
	v_cndmask_b32_e64 v13, v15, v13, s[6:7]
	v_ffbh_u32_e32 v17, v19
	v_alignbit_b32 v15, v18, v13, 30
	v_min_u32_e32 v17, 32, v17
	v_alignbit_b32 v12, v13, v12, 30
	v_xor_b32_e32 v15, v15, v25
	v_sub_u32_e32 v18, 31, v17
	v_xor_b32_e32 v12, v12, v25
	v_alignbit_b32 v19, v19, v15, v18
	v_alignbit_b32 v12, v15, v12, v18
	;; [unrolled: 1-line block ×3, first 2 shown]
	v_ffbh_u32_e32 v15, v13
	v_min_u32_e32 v15, 32, v15
	v_lshrrev_b32_e32 v23, 29, v14
	v_not_b32_e32 v18, v15
	v_alignbit_b32 v12, v13, v12, v18
	v_lshlrev_b32_e32 v13, 31, v23
	v_or_b32_e32 v18, 0x33000000, v13
	v_add_lshl_u32 v15, v15, v17, 23
	v_lshrrev_b32_e32 v12, 9, v12
	v_sub_u32_e32 v15, v18, v15
	v_or_b32_e32 v13, 0.5, v13
	v_lshlrev_b32_e32 v17, 23, v17
	v_or_b32_e32 v12, v15, v12
	v_lshrrev_b32_e32 v15, 9, v19
	v_sub_u32_e32 v13, v13, v17
	v_or_b32_e32 v13, v15, v13
	s_mov_b32 s2, 0x3fc90fda
	v_mul_f32_e32 v15, 0x3fc90fda, v13
	v_fma_f32 v17, v13, s2, -v15
	v_fmamk_f32 v13, v13, 0x33a22168, v17
	v_fmac_f32_e32 v13, 0x3fc90fda, v12
	v_lshrrev_b32_e32 v12, 30, v14
	v_add_f32_e32 v13, v15, v13
	v_add_u32_e32 v12, v24, v12
	s_andn2_saveexec_b64 s[2:3], s[18:19]
	s_cbranch_execz .LBB12_101
	s_branch .LBB12_100
.LBB12_94:
	s_or_b64 exec, exec, s[8:9]
	s_and_saveexec_b64 s[2:3], s[0:1]
	s_xor_b64 s[0:1], exec, s[2:3]
	s_cbranch_execz .LBB12_109
.LBB12_95:
	v_mov_b32_e32 v9, 0
	v_lshl_add_u64 v[8:9], v[8:9], 2, v[0:1]
	v_mov_b32_e32 v20, v7
	flat_store_dword v[8:9], v2
	s_or_b64 exec, exec, s[0:1]
	v_cmp_lt_i32_e32 vcc, v20, v4
	s_and_saveexec_b64 s[0:1], vcc
	s_cbranch_execnz .LBB12_110
.LBB12_96:
	s_or_b64 exec, exec, s[0:1]
	v_cmp_lt_i32_e32 vcc, v20, v4
	s_and_saveexec_b64 s[0:1], vcc
	s_cbranch_execz .LBB12_111
.LBB12_97:
	v_add_u32_e32 v8, s20, v20
	v_mov_b32_e32 v9, 0
	v_lshl_add_u64 v[8:9], v[8:9], 2, v[0:1]
	v_add_u32_e32 v20, 0x100, v20
	flat_store_dword v[8:9], v6
	s_or_b64 exec, exec, s[0:1]
	v_cmp_lt_i32_e32 vcc, v20, v4
	s_and_saveexec_b64 s[0:1], vcc
	s_cbranch_execnz .LBB12_112
.LBB12_98:
	s_or_b64 exec, exec, s[0:1]
	s_waitcnt vmcnt(0) lgkmcnt(0)
	s_setpc_b64 s[30:31]
.LBB12_99:
	s_andn2_saveexec_b64 s[2:3], s[18:19]
	s_cbranch_execz .LBB12_101
.LBB12_100:
	s_mov_b32 s4, 0x3f22f983
	v_mul_f32_e64 v12, |v9|, s4
	v_rndne_f32_e32 v13, v12
	s_mov_b32 s4, 0xbfc90fda
	v_cvt_i32_f32_e32 v12, v13
	v_fma_f32 v14, v13, s4, |v9|
	v_fmamk_f32 v14, v13, 0xb3a22168, v14
	v_fmamk_f32 v13, v13, 0xa7c234c4, v14
.LBB12_101:
	s_or_b64 exec, exec, s[2:3]
                                        ; implicit-def: $vgpr14
                                        ; implicit-def: $vgpr15
	s_and_saveexec_b64 s[2:3], s[16:17]
	s_xor_b64 s[16:17], exec, s[2:3]
	s_cbranch_execz .LBB12_103
; %bb.102:
	v_add_u32_e32 v14, 0xffffff88, v16
	v_not_b32_e32 v15, 63
	v_cmp_lt_u32_e32 vcc, 63, v14
	s_mov_b32 s6, 0xfe5163ab
	v_mov_b32_e32 v17, 0
	v_cndmask_b32_e32 v15, 0, v15, vcc
	v_add_u32_e32 v14, v15, v14
	v_not_b32_e32 v15, 31
	v_cmp_lt_u32_e64 s[2:3], 31, v14
	s_nop 1
	v_cndmask_b32_e64 v16, 0, v15, s[2:3]
	v_add_u32_e32 v14, v16, v14
	v_cmp_lt_u32_e64 s[4:5], 31, v14
	s_nop 1
	v_cndmask_b32_e64 v15, 0, v15, s[4:5]
	v_add_u32_e32 v21, v15, v14
	v_and_b32_e32 v14, 0x7fffff, v10
	v_or_b32_e32 v30, 0x800000, v14
	v_mad_u64_u32 v[14:15], s[6:7], v30, s6, 0
	v_mov_b32_e32 v16, v15
	s_mov_b32 s6, 0x3c439041
	v_mad_u64_u32 v[18:19], s[6:7], v30, s6, v[16:17]
	v_mov_b32_e32 v16, v19
	s_mov_b32 s6, 0xdb629599
	;; [unrolled: 3-line block ×6, first 2 shown]
	v_mad_u64_u32 v[16:17], s[6:7], v30, s6, v[16:17]
	v_cndmask_b32_e32 v15, v28, v24, vcc
	v_cndmask_b32_e32 v16, v16, v26, vcc
	;; [unrolled: 1-line block ×3, first 2 shown]
	v_cndmask_b32_e64 v19, v16, v15, s[2:3]
	v_cndmask_b32_e64 v16, v17, v16, s[2:3]
	v_cndmask_b32_e32 v17, v26, v22, vcc
	v_cndmask_b32_e64 v15, v15, v17, s[2:3]
	v_cndmask_b32_e32 v18, v24, v18, vcc
	v_cndmask_b32_e64 v16, v16, v19, s[4:5]
	v_cndmask_b32_e64 v19, v19, v15, s[4:5]
	v_sub_u32_e32 v23, 32, v21
	v_cndmask_b32_e64 v17, v17, v18, s[2:3]
	v_alignbit_b32 v25, v16, v19, v23
	v_cmp_eq_u32_e64 s[6:7], 0, v21
	v_cndmask_b32_e64 v15, v15, v17, s[4:5]
	v_alignbit_b32 v21, v19, v15, v23
	v_cndmask_b32_e64 v16, v25, v16, s[6:7]
	v_cndmask_b32_e32 v14, v22, v14, vcc
	v_cndmask_b32_e64 v19, v21, v19, s[6:7]
	v_bfe_u32 v25, v16, 29, 1
	v_cndmask_b32_e64 v14, v18, v14, s[2:3]
	v_alignbit_b32 v21, v16, v19, 30
	v_sub_u32_e32 v26, 0, v25
	v_cndmask_b32_e64 v14, v17, v14, s[4:5]
	v_xor_b32_e32 v21, v21, v26
	v_alignbit_b32 v17, v15, v14, v23
	v_cndmask_b32_e64 v15, v17, v15, s[6:7]
	v_ffbh_u32_e32 v18, v21
	v_alignbit_b32 v17, v19, v15, 30
	v_min_u32_e32 v18, 32, v18
	v_alignbit_b32 v14, v15, v14, 30
	v_xor_b32_e32 v17, v17, v26
	v_sub_u32_e32 v19, 31, v18
	v_xor_b32_e32 v14, v14, v26
	v_alignbit_b32 v21, v21, v17, v19
	v_alignbit_b32 v14, v17, v14, v19
	;; [unrolled: 1-line block ×3, first 2 shown]
	v_ffbh_u32_e32 v17, v15
	v_min_u32_e32 v17, 32, v17
	v_lshrrev_b32_e32 v24, 29, v16
	v_not_b32_e32 v19, v17
	v_alignbit_b32 v14, v15, v14, v19
	v_lshlrev_b32_e32 v15, 31, v24
	v_or_b32_e32 v19, 0x33000000, v15
	v_add_lshl_u32 v17, v17, v18, 23
	v_lshrrev_b32_e32 v14, 9, v14
	v_sub_u32_e32 v17, v19, v17
	v_or_b32_e32 v15, 0.5, v15
	v_lshlrev_b32_e32 v18, 23, v18
	v_or_b32_e32 v14, v17, v14
	v_lshrrev_b32_e32 v17, 9, v21
	v_sub_u32_e32 v15, v15, v18
	v_or_b32_e32 v15, v17, v15
	s_mov_b32 s2, 0x3fc90fda
	v_mul_f32_e32 v17, 0x3fc90fda, v15
	v_fma_f32 v18, v15, s2, -v17
	v_fmamk_f32 v15, v15, 0x33a22168, v18
	v_fmac_f32_e32 v15, 0x3fc90fda, v14
	v_lshrrev_b32_e32 v14, 30, v16
	v_add_f32_e32 v15, v17, v15
	v_add_u32_e32 v14, v25, v14
	s_andn2_saveexec_b64 s[2:3], s[16:17]
	s_cbranch_execnz .LBB12_104
	s_branch .LBB12_105
.LBB12_103:
	s_andn2_saveexec_b64 s[2:3], s[16:17]
	s_cbranch_execz .LBB12_105
.LBB12_104:
	s_mov_b32 s4, 0x3f22f983
	v_mul_f32_e64 v14, |v9|, s4
	v_rndne_f32_e32 v15, v14
	s_mov_b32 s4, 0xbfc90fda
	v_cvt_i32_f32_e32 v14, v15
	v_fma_f32 v16, v15, s4, |v9|
	v_fmamk_f32 v16, v15, 0xb3a22168, v16
	v_fmamk_f32 v15, v15, 0xa7c234c4, v16
.LBB12_105:
	s_or_b64 exec, exec, s[2:3]
	v_div_scale_f32 v16, s[2:3], v11, v11, 1.0
	v_rcp_f32_e32 v17, v16
	v_div_scale_f32 v18, vcc, 1.0, v11, 1.0
	v_xor_b32_e32 v10, v10, v9
	v_fma_f32 v19, -v16, v17, 1.0
	v_fmac_f32_e32 v17, v19, v17
	v_mul_f32_e32 v19, v18, v17
	v_fma_f32 v21, -v16, v19, v18
	v_fmac_f32_e32 v19, v21, v17
	v_fma_f32 v16, -v16, v19, v18
	v_div_fmas_f32 v16, v16, v17, v19
	v_div_fixup_f32 v11, v16, v11, 1.0
	v_mul_f32_e32 v16, v11, v11
	v_mov_b32_e32 v17, 0xbe06db67
	v_mul_f32_e32 v19, v13, v13
	v_mov_b32_e32 v21, 0x3c0881c4
	v_fmac_f32_e32 v17, 0, v16
	v_mov_b32_e32 v18, 0x4155b259
	v_fmamk_f32 v22, v19, 0xb94c1982, v21
	v_fmaak_f32 v17, v16, v17, 0xbf205f75
	v_fmac_f32_e32 v18, 0, v16
	v_fmaak_f32 v22, v19, v22, 0xbe2aaa9d
	v_fmaak_f32 v17, v16, v17, 0xbf3172ce
	;; [unrolled: 1-line block ×3, first 2 shown]
	v_mul_f32_e32 v22, v19, v22
	v_fmaak_f32 v17, v16, v17, 0xbe8f3f52
	v_fmaak_f32 v18, v16, v18, 0x41d5e4c5
	v_fmac_f32_e32 v13, v13, v22
	v_mov_b32_e32 v22, 0xbab64f3b
	v_fmaak_f32 v17, v16, v17, 0xbd497b78
	v_fmaak_f32 v18, v16, v18, 0x4112fe41
	v_fmamk_f32 v24, v19, 0x37d75334, v22
	v_fmaak_f32 v17, v16, v17, 0xbb85200e
	v_fmaak_f32 v18, v16, v18, 0x3fbcd65a
	;; [unrolled: 1-line block ×8, first 2 shown]
	v_fma_f32 v19, v19, v24, 1.0
	v_and_b32_e32 v24, 1, v12
	v_lshlrev_b32_e32 v12, 30, v12
	v_fmaak_f32 v18, v16, v18, 0x389e46bd
	v_fmaak_f32 v17, v16, v17, 0xb29020e8
	v_cmp_eq_u32_e32 vcc, 0, v24
	v_and_b32_e32 v12, 0x80000000, v12
	v_fmaak_f32 v18, v16, v18, 0x34f295ce
	v_cndmask_b32_e32 v13, v19, v13, vcc
	v_xor_b32_e32 v10, v10, v12
	v_mul_f32_e32 v12, v16, v17
	v_xor_b32_e32 v10, v10, v13
	v_div_scale_f32 v13, s[2:3], v18, v18, v12
	v_rcp_f32_e32 v17, v13
	s_movk_i32 s4, 0x1f8
	v_mov_b32_e32 v19, 0x7fc00000
	v_cmp_class_f32_e64 s[2:3], v9, s4
	s_mov_b32 s4, 0xf800000
	s_mov_b32 s7, 0x3f106ebb
	v_cndmask_b32_e64 v9, v19, v10, s[2:3]
	v_fma_f32 v10, -v13, v17, 1.0
	v_fmac_f32_e32 v17, v10, v17
	v_div_scale_f32 v10, vcc, v12, v18, v12
	v_mul_f32_e32 v24, v10, v17
	v_fma_f32 v27, -v13, v24, v10
	v_fmac_f32_e32 v24, v27, v17
	v_fma_f32 v10, -v13, v24, v10
	v_div_fmas_f32 v10, v10, v17, v24
	v_mul_f32_e32 v17, 0x4f800000, v3
	v_cmp_gt_f32_e32 vcc, s4, v3
	v_div_fixup_f32 v10, v10, v18, v12
	v_mov_b32_e32 v12, 0x3ca1a92f
	v_cndmask_b32_e32 v3, v3, v17, vcc
	v_sqrt_f32_e32 v17, v3
	v_fmac_f32_e32 v12, 0, v16
	v_mov_b32_e32 v13, 0x4114f160
	v_fmaak_f32 v12, v16, v12, 0x3ec83ea8
	v_add_u32_e32 v18, -1, v17
	v_fma_f32 v24, -v18, v17, v3
	v_cmp_ge_f32_e64 s[4:5], 0, v24
	v_add_u32_e32 v24, 1, v17
	v_fmac_f32_e32 v13, 0, v16
	v_cndmask_b32_e64 v18, v17, v18, s[4:5]
	v_fma_f32 v17, -v24, v17, v3
	v_cmp_lt_f32_e64 s[4:5], 0, v17
	v_fmaak_f32 v12, v16, v12, 0x3f886c1a
	v_fmaak_f32 v13, v16, v13, 0x419eaeae
	v_cndmask_b32_e64 v17, v18, v24, s[4:5]
	v_mul_f32_e32 v18, 0x37800000, v17
	v_cndmask_b32_e32 v17, v17, v18, vcc
	v_mov_b32_e32 v18, 0x260
	v_fmaak_f32 v12, v16, v12, 0x3f706d65
	v_fmaak_f32 v13, v16, v13, 0x417908dc
	v_cmp_class_f32_e32 vcc, v3, v18
	v_fmaak_f32 v12, v16, v12, 0x3eb3f34e
	v_fmaak_f32 v13, v16, v13, 0x40af4271
	v_cndmask_b32_e32 v3, v17, v3, vcc
	v_fmaak_f32 v12, v16, v12, 0x3d81d209
	v_fmaak_f32 v13, v16, v13, 0x3f744c96
	v_div_scale_f32 v17, s[4:5], v3, v3, s7
	v_fmaak_f32 v12, v16, v12, 0x3bbff4d0
	v_fmaak_f32 v13, v16, v13, 0x3db110ef
	v_rcp_f32_e32 v18, v17
	v_fmaak_f32 v12, v16, v12, 0x39944bb3
	v_fmaak_f32 v13, v16, v13, 0x3b873823
	;; [unrolled: 1-line block ×8, first 2 shown]
	v_fma_f32 v16, -v17, v18, 1.0
	v_fmac_f32_e32 v18, v16, v18
	v_div_scale_f32 v16, vcc, s7, v3, s7
	v_mul_f32_e32 v24, v16, v18
	v_fma_f32 v27, -v17, v24, v16
	v_fmac_f32_e32 v24, v27, v18
	v_fma_f32 v16, -v17, v24, v16
	v_div_fmas_f32 v16, v16, v18, v24
	v_div_fixup_f32 v3, v16, v3, s7
	v_mul_f32_e32 v16, v15, v15
	v_mov_b32_e32 v23, 0xbe2aaa9d
	v_fmac_f32_e32 v21, 0xb94c1982, v16
	v_mov_b32_e32 v25, 0x3d2aabf7
	v_fmac_f32_e32 v23, v16, v21
	v_fmac_f32_e32 v22, 0x37d75334, v16
	v_mov_b32_e32 v26, 0xbf000004
	v_mul_f32_e32 v17, v16, v23
	v_fmac_f32_e32 v25, v16, v22
	v_fmac_f32_e32 v15, v15, v17
	;; [unrolled: 1-line block ×3, first 2 shown]
	v_and_b32_e32 v17, 1, v14
	v_mul_f32_e32 v11, v11, v12
	v_fma_f32 v16, v16, v26, 1.0
	v_cmp_eq_u32_e32 vcc, 0, v17
	v_div_scale_f32 v12, s[4:5], v13, v13, v11
	s_nop 0
	v_cndmask_b32_e64 v15, -v15, v16, vcc
	v_rcp_f32_e32 v16, v12
	s_brev_b32 s6, 1
	v_lshlrev_b32_e32 v14, 30, v14
	v_bitop3_b32 v14, v14, v15, s6 bitop3:0x6c
	v_fma_f32 v15, -v12, v16, 1.0
	v_fmac_f32_e32 v16, v15, v16
	v_div_scale_f32 v15, vcc, v11, v13, v11
	v_mul_f32_e32 v17, v15, v16
	v_fma_f32 v18, -v12, v17, v15
	v_fmac_f32_e32 v17, v18, v16
	v_fma_f32 v12, -v12, v17, v15
	v_div_fmas_f32 v12, v12, v16, v17
	v_cndmask_b32_e64 v14, v19, v14, s[2:3]
	v_div_fixup_f32 v11, v12, v13, v11
	v_add_f32_e32 v10, 1.0, v10
	v_mul_f32_e32 v11, v11, v14
	v_fma_f32 v9, v10, v9, -v11
	v_mul_f32_e32 v3, v3, v9
.LBB12_106:
	s_or_b64 exec, exec, s[14:15]
.LBB12_107:
	s_or_b64 exec, exec, s[12:13]
.LBB12_108:
	s_or_b64 exec, exec, s[10:11]
	s_or_b64 exec, exec, s[8:9]
	s_and_saveexec_b64 s[2:3], s[0:1]
	s_xor_b64 s[0:1], exec, s[2:3]
	s_cbranch_execnz .LBB12_95
.LBB12_109:
	s_or_b64 exec, exec, s[0:1]
	v_cmp_lt_i32_e32 vcc, v20, v4
	s_and_saveexec_b64 s[0:1], vcc
	s_cbranch_execz .LBB12_96
.LBB12_110:
	v_add_u32_e32 v8, s20, v20
	v_mov_b32_e32 v9, 0
	v_lshl_add_u64 v[8:9], v[8:9], 2, v[0:1]
	v_add_u32_e32 v20, 0x100, v20
	flat_store_dword v[8:9], v5
	s_or_b64 exec, exec, s[0:1]
	v_cmp_lt_i32_e32 vcc, v20, v4
	s_and_saveexec_b64 s[0:1], vcc
	s_cbranch_execnz .LBB12_97
.LBB12_111:
	s_or_b64 exec, exec, s[0:1]
	v_cmp_lt_i32_e32 vcc, v20, v4
	s_and_saveexec_b64 s[0:1], vcc
	s_cbranch_execz .LBB12_98
.LBB12_112:
	v_add_u32_e32 v4, s20, v20
	v_mov_b32_e32 v5, 0
	v_lshl_add_u64 v[0:1], v[4:5], 2, v[0:1]
	flat_store_dword v[0:1], v3
	s_or_b64 exec, exec, s[0:1]
	s_waitcnt vmcnt(0) lgkmcnt(0)
	s_setpc_b64 s[30:31]
.Lfunc_end12:
	.size	_ZN2at6native25elementwise_kernel_helperILb0EZZZNS0_12_GLOBAL__N_119airy_ai_kernel_cudaERNS_18TensorIteratorBaseEENKUlvE_clEvENKUlvE0_clEvEUlfE_NS0_6memory8policies11unroll_baseILi256ESt5arrayIPcLm2EE23TrivialOffsetCalculatorILi1EjESF_NS8_15LoadWithoutCastENS8_16StoreWithoutCastELi4ELi1EEEEEvT0_T1_, .Lfunc_end12-_ZN2at6native25elementwise_kernel_helperILb0EZZZNS0_12_GLOBAL__N_119airy_ai_kernel_cudaERNS_18TensorIteratorBaseEENKUlvE_clEvENKUlvE0_clEvEUlfE_NS0_6memory8policies11unroll_baseILi256ESt5arrayIPcLm2EE23TrivialOffsetCalculatorILi1EjESF_NS8_15LoadWithoutCastENS8_16StoreWithoutCastELi4ELi1EEEEEvT0_T1_
                                        ; -- End function
	.set .L_ZN2at6native25elementwise_kernel_helperILb0EZZZNS0_12_GLOBAL__N_119airy_ai_kernel_cudaERNS_18TensorIteratorBaseEENKUlvE_clEvENKUlvE0_clEvEUlfE_NS0_6memory8policies11unroll_baseILi256ESt5arrayIPcLm2EE23TrivialOffsetCalculatorILi1EjESF_NS8_15LoadWithoutCastENS8_16StoreWithoutCastELi4ELi1EEEEEvT0_T1_.num_vgpr, 33
	.set .L_ZN2at6native25elementwise_kernel_helperILb0EZZZNS0_12_GLOBAL__N_119airy_ai_kernel_cudaERNS_18TensorIteratorBaseEENKUlvE_clEvENKUlvE0_clEvEUlfE_NS0_6memory8policies11unroll_baseILi256ESt5arrayIPcLm2EE23TrivialOffsetCalculatorILi1EjESF_NS8_15LoadWithoutCastENS8_16StoreWithoutCastELi4ELi1EEEEEvT0_T1_.num_agpr, 0
	.set .L_ZN2at6native25elementwise_kernel_helperILb0EZZZNS0_12_GLOBAL__N_119airy_ai_kernel_cudaERNS_18TensorIteratorBaseEENKUlvE_clEvENKUlvE0_clEvEUlfE_NS0_6memory8policies11unroll_baseILi256ESt5arrayIPcLm2EE23TrivialOffsetCalculatorILi1EjESF_NS8_15LoadWithoutCastENS8_16StoreWithoutCastELi4ELi1EEEEEvT0_T1_.numbered_sgpr, 32
	.set .L_ZN2at6native25elementwise_kernel_helperILb0EZZZNS0_12_GLOBAL__N_119airy_ai_kernel_cudaERNS_18TensorIteratorBaseEENKUlvE_clEvENKUlvE0_clEvEUlfE_NS0_6memory8policies11unroll_baseILi256ESt5arrayIPcLm2EE23TrivialOffsetCalculatorILi1EjESF_NS8_15LoadWithoutCastENS8_16StoreWithoutCastELi4ELi1EEEEEvT0_T1_.num_named_barrier, 0
	.set .L_ZN2at6native25elementwise_kernel_helperILb0EZZZNS0_12_GLOBAL__N_119airy_ai_kernel_cudaERNS_18TensorIteratorBaseEENKUlvE_clEvENKUlvE0_clEvEUlfE_NS0_6memory8policies11unroll_baseILi256ESt5arrayIPcLm2EE23TrivialOffsetCalculatorILi1EjESF_NS8_15LoadWithoutCastENS8_16StoreWithoutCastELi4ELi1EEEEEvT0_T1_.private_seg_size, 0
	.set .L_ZN2at6native25elementwise_kernel_helperILb0EZZZNS0_12_GLOBAL__N_119airy_ai_kernel_cudaERNS_18TensorIteratorBaseEENKUlvE_clEvENKUlvE0_clEvEUlfE_NS0_6memory8policies11unroll_baseILi256ESt5arrayIPcLm2EE23TrivialOffsetCalculatorILi1EjESF_NS8_15LoadWithoutCastENS8_16StoreWithoutCastELi4ELi1EEEEEvT0_T1_.uses_vcc, 1
	.set .L_ZN2at6native25elementwise_kernel_helperILb0EZZZNS0_12_GLOBAL__N_119airy_ai_kernel_cudaERNS_18TensorIteratorBaseEENKUlvE_clEvENKUlvE0_clEvEUlfE_NS0_6memory8policies11unroll_baseILi256ESt5arrayIPcLm2EE23TrivialOffsetCalculatorILi1EjESF_NS8_15LoadWithoutCastENS8_16StoreWithoutCastELi4ELi1EEEEEvT0_T1_.uses_flat_scratch, 0
	.set .L_ZN2at6native25elementwise_kernel_helperILb0EZZZNS0_12_GLOBAL__N_119airy_ai_kernel_cudaERNS_18TensorIteratorBaseEENKUlvE_clEvENKUlvE0_clEvEUlfE_NS0_6memory8policies11unroll_baseILi256ESt5arrayIPcLm2EE23TrivialOffsetCalculatorILi1EjESF_NS8_15LoadWithoutCastENS8_16StoreWithoutCastELi4ELi1EEEEEvT0_T1_.has_dyn_sized_stack, 0
	.set .L_ZN2at6native25elementwise_kernel_helperILb0EZZZNS0_12_GLOBAL__N_119airy_ai_kernel_cudaERNS_18TensorIteratorBaseEENKUlvE_clEvENKUlvE0_clEvEUlfE_NS0_6memory8policies11unroll_baseILi256ESt5arrayIPcLm2EE23TrivialOffsetCalculatorILi1EjESF_NS8_15LoadWithoutCastENS8_16StoreWithoutCastELi4ELi1EEEEEvT0_T1_.has_recursion, 0
	.set .L_ZN2at6native25elementwise_kernel_helperILb0EZZZNS0_12_GLOBAL__N_119airy_ai_kernel_cudaERNS_18TensorIteratorBaseEENKUlvE_clEvENKUlvE0_clEvEUlfE_NS0_6memory8policies11unroll_baseILi256ESt5arrayIPcLm2EE23TrivialOffsetCalculatorILi1EjESF_NS8_15LoadWithoutCastENS8_16StoreWithoutCastELi4ELi1EEEEEvT0_T1_.has_indirect_call, 0
	.section	.AMDGPU.csdata,"",@progbits
; Function info:
; codeLenInByte = 17332
; TotalNumSgprs: 38
; NumVgprs: 33
; NumAgprs: 0
; TotalNumVgprs: 33
; ScratchSize: 0
; MemoryBound: 0
	.text
	.p2align	2                               ; -- Begin function _ZN2at6native25elementwise_kernel_helperILb0EZZZNS0_12_GLOBAL__N_119airy_ai_kernel_cudaERNS_18TensorIteratorBaseEENKUlvE_clEvENKUlvE0_clEvEUlfE_NS0_6memory8policies10vectorizedILi4ESt5arrayIPcLm2EELi4EEEEEvT0_T1_
	.type	_ZN2at6native25elementwise_kernel_helperILb0EZZZNS0_12_GLOBAL__N_119airy_ai_kernel_cudaERNS_18TensorIteratorBaseEENKUlvE_clEvENKUlvE0_clEvEUlfE_NS0_6memory8policies10vectorizedILi4ESt5arrayIPcLm2EELi4EEEEEvT0_T1_,@function
_ZN2at6native25elementwise_kernel_helperILb0EZZZNS0_12_GLOBAL__N_119airy_ai_kernel_cudaERNS_18TensorIteratorBaseEENKUlvE_clEvENKUlvE0_clEvEUlfE_NS0_6memory8policies10vectorizedILi4ESt5arrayIPcLm2EELi4EEEEEvT0_T1_: ; @_ZN2at6native25elementwise_kernel_helperILb0EZZZNS0_12_GLOBAL__N_119airy_ai_kernel_cudaERNS_18TensorIteratorBaseEENKUlvE_clEvENKUlvE0_clEvEUlfE_NS0_6memory8policies10vectorizedILi4ESt5arrayIPcLm2EELi4EEEEEvT0_T1_
; %bb.0:
	s_waitcnt vmcnt(0) expcnt(0) lgkmcnt(0)
	s_lshl_b32 s6, s12, 10
	s_ashr_i32 s7, s6, 31
	v_and_b32_e32 v4, 0x3ff, v31
	v_lshl_add_u64 v[2:3], s[6:7], 2, v[2:3]
	v_mov_b32_e32 v11, 0
	v_lshlrev_b32_e32 v10, 4, v4
	v_lshl_add_u64 v[2:3], v[2:3], 0, v[10:11]
	flat_load_dwordx4 v[6:9], v[2:3]
	s_mov_b32 s18, 0x7f800000
	v_mov_b32_e32 v3, 0x7fc00000
	v_mov_b32_e32 v2, 0x7fc00000
	s_waitcnt vmcnt(0) lgkmcnt(0)
	v_cmp_neq_f32_e64 s[0:1], |v6|, s18
	s_and_saveexec_b64 s[8:9], s[0:1]
	s_cbranch_execz .LBB13_22
; %bb.1:
	s_mov_b32 s0, 0x42cfc8b4
	v_cmp_nlt_f32_e32 vcc, s0, v6
	s_and_saveexec_b64 s[10:11], vcc
	s_cbranch_execz .LBB13_21
; %bb.2:
	s_mov_b32 s0, 0xc005c28f
	v_cmp_ngt_f32_e32 vcc, s0, v6
	s_and_saveexec_b64 s[0:1], vcc
	s_xor_b64 s[2:3], exec, s[0:1]
	s_cbranch_execz .LBB13_10
; %bb.3:
	s_mov_b32 s0, 0x4005c28f
	v_cmp_nle_f32_e64 s[4:5], s0, v6
	v_cmp_le_f32_e32 vcc, s0, v6
	v_mov_b32_e32 v11, 0
	s_mov_b64 s[0:1], s[4:5]
	s_and_saveexec_b64 s[12:13], vcc
	s_cbranch_execz .LBB13_5
; %bb.4:
	s_mov_b32 s14, 0xf800000
	v_mul_f32_e32 v2, 0x4f800000, v6
	v_cmp_gt_f32_e32 vcc, s14, v6
	v_add_f32_e32 v5, v6, v6
	s_mov_b32 s15, 0x40400000
	v_cndmask_b32_e32 v2, v6, v2, vcc
	v_sqrt_f32_e32 v4, v2
	s_nop 0
	v_add_u32_e32 v11, -1, v4
	v_fma_f32 v12, -v11, v4, v2
	v_cmp_ge_f32_e64 s[0:1], 0, v12
	v_add_u32_e32 v12, 1, v4
	s_nop 0
	v_cndmask_b32_e64 v11, v4, v11, s[0:1]
	v_fma_f32 v4, -v12, v4, v2
	v_cmp_lt_f32_e64 s[0:1], 0, v4
	s_nop 1
	v_cndmask_b32_e64 v4, v11, v12, s[0:1]
	v_mul_f32_e32 v11, 0x37800000, v4
	v_cndmask_b32_e32 v4, v4, v11, vcc
	v_mov_b32_e32 v11, 0x260
	v_cmp_class_f32_e32 vcc, v2, v11
	s_nop 1
	v_cndmask_b32_e32 v12, v4, v2, vcc
	v_mul_f32_e32 v2, v5, v12
	v_div_scale_f32 v4, s[0:1], s15, s15, v2
	v_rcp_f32_e32 v5, v4
	s_nop 0
	v_fma_f32 v13, -v4, v5, 1.0
	v_fmac_f32_e32 v5, v13, v5
	v_div_scale_f32 v13, vcc, v2, s15, v2
	v_mul_f32_e32 v14, v13, v5
	v_fma_f32 v15, -v4, v14, v13
	v_fmac_f32_e32 v14, v15, v5
	v_fma_f32 v4, -v4, v14, v13
	v_div_fmas_f32 v4, v4, v5, v14
	v_div_fixup_f32 v13, v4, s15, v2
	v_div_scale_f32 v2, s[0:1], v13, v13, 1.0
	v_rcp_f32_e32 v4, v2
	s_mov_b32 s0, 0x3eb16d71
	s_mov_b32 s1, 0x3f114de0
	v_fma_f32 v5, -v2, v4, 1.0
	v_fmac_f32_e32 v4, v5, v4
	v_div_scale_f32 v5, vcc, 1.0, v13, 1.0
	v_mul_f32_e32 v14, v5, v4
	v_fma_f32 v15, -v2, v14, v5
	v_fmac_f32_e32 v14, v15, v4
	v_fma_f32 v2, -v2, v14, v5
	v_div_fmas_f32 v2, v2, v4, v14
	v_div_fixup_f32 v2, v2, v13, 1.0
	v_mul_f32_e32 v4, 0, v2
	v_pk_add_f32 v[4:5], v[4:5], s[0:1] op_sel_hi:[0,1]
	s_mov_b32 s0, 0x41401f1c
	s_mov_b32 s1, 0x416c19a0
	v_pk_fma_f32 v[4:5], v[2:3], v[4:5], s[0:1] op_sel_hi:[0,1,1]
	s_mov_b32 s0, 0x42988f28
	s_mov_b32 s1, 0x42a9071e
	v_pk_fma_f32 v[4:5], v[2:3], v[4:5], s[0:1] op_sel_hi:[0,1,1]
	;; [unrolled: 3-line block ×6, first 2 shown]
	v_pk_fma_f32 v[4:5], v[2:3], v[4:5], 1.0 op_sel_hi:[0,1,0]
	v_div_scale_f32 v2, s[0:1], v5, v5, v4
	v_rcp_f32_e32 v14, v2
	v_cmp_gt_f32_e64 s[0:1], s14, v12
	v_fma_f32 v15, -v2, v14, 1.0
	v_fmac_f32_e32 v14, v15, v14
	v_div_scale_f32 v15, vcc, v4, v5, v4
	v_mul_f32_e32 v16, v15, v14
	v_fma_f32 v17, -v2, v16, v15
	v_fmac_f32_e32 v16, v17, v14
	v_fma_f32 v2, -v2, v16, v15
	v_mul_f32_e32 v15, 0x4f800000, v12
	v_cndmask_b32_e64 v12, v12, v15, s[0:1]
	v_sqrt_f32_e32 v15, v12
	v_div_fmas_f32 v2, v2, v14, v16
	v_div_fixup_f32 v4, v2, v5, v4
	v_add_u32_e32 v2, -1, v15
	v_fma_f32 v5, -v2, v15, v12
	v_cmp_ge_f32_e32 vcc, 0, v5
	v_add_u32_e32 v5, 1, v15
	v_fma_f32 v14, -v5, v15, v12
	v_cndmask_b32_e32 v2, v15, v2, vcc
	v_cmp_lt_f32_e32 vcc, 0, v14
	s_nop 1
	v_cndmask_b32_e32 v2, v2, v5, vcc
	v_mul_f32_e32 v5, 0x37800000, v2
	v_cndmask_b32_e64 v2, v2, v5, s[0:1]
	v_cmp_class_f32_e32 vcc, v12, v11
	s_mov_b32 s0, 0x3fb8aa3b
	s_nop 0
	v_cndmask_b32_e32 v5, v2, v12, vcc
	v_mul_f32_e32 v2, 0x3fb8aa3b, v13
	v_fma_f32 v11, v13, s0, -v2
	v_rndne_f32_e32 v12, v2
	v_fmamk_f32 v11, v13, 0x32a5705f, v11
	v_sub_f32_e32 v2, v2, v12
	v_add_f32_e32 v2, v2, v11
	v_exp_f32_e32 v2, v2
	v_cvt_i32_f32_e32 v11, v12
	s_mov_b32 s0, 0x3f106ebb
	s_mov_b32 s1, 2.0
	v_pk_mul_f32 v[4:5], v[4:5], s[0:1]
	s_mov_b32 s0, 0xc2ce8ed0
	v_ldexp_f32 v2, v2, v11
	v_cmp_ngt_f32_e32 vcc, s0, v13
	s_mov_b32 s0, 0x42b17218
	v_mov_b32_e32 v11, 0x7f800000
	v_cndmask_b32_e32 v2, 0, v2, vcc
	v_cmp_nlt_f32_e32 vcc, s0, v13
	s_nop 1
	v_cndmask_b32_e32 v2, v11, v2, vcc
	v_mul_f32_e32 v2, v5, v2
	v_div_scale_f32 v5, s[0:1], v2, v2, v4
	v_rcp_f32_e32 v11, v5
	s_mov_b32 s0, 0x41052018
	v_fma_f32 v12, -v5, v11, 1.0
	v_fmac_f32_e32 v11, v12, v11
	v_div_scale_f32 v12, vcc, v4, v2, v4
	v_mul_f32_e32 v13, v12, v11
	v_fma_f32 v14, -v5, v13, v12
	v_fmac_f32_e32 v13, v14, v11
	v_fma_f32 v5, -v5, v13, v12
	v_div_fmas_f32 v5, v5, v11, v13
	v_cmp_nlt_f32_e32 vcc, s0, v6
	s_andn2_b64 s[0:1], s[4:5], exec
	s_and_b64 s[14:15], vcc, exec
	v_div_fixup_f32 v11, v5, v2, v4
	s_or_b64 s[0:1], s[0:1], s[14:15]
.LBB13_5:
	s_or_b64 exec, exec, s[12:13]
	s_and_saveexec_b64 s[12:13], s[0:1]
	s_cbranch_execz .LBB13_9
; %bb.6:
	v_mul_f32_e32 v2, v6, v6
	v_mul_f32_e32 v12, v6, v2
	v_mov_b32_e32 v13, v12
	s_mov_b64 s[14:15], 0
	v_mov_b32_e32 v2, 1.0
	v_mov_b32_e32 v4, 1.0
	;; [unrolled: 1-line block ×3, first 2 shown]
	s_brev_b32 s16, 44
	v_mov_b32_e32 v5, v6
	v_mov_b32_e32 v15, v6
.LBB13_7:                               ; =>This Inner Loop Header: Depth=1
	v_pk_mul_f32 v[14:15], v[12:13], v[14:15]
	v_add_f32_e32 v16, 1.0, v2
	v_add_f32_e32 v17, 1.0, v16
	v_div_scale_f32 v18, s[0:1], v16, v16, v14
	v_rcp_f32_e32 v20, v18
	v_div_scale_f32 v21, s[0:1], v17, v17, v15
	v_rcp_f32_e32 v23, v21
	v_fma_f32 v24, -v18, v20, 1.0
	v_div_scale_f32 v19, vcc, v14, v16, v14
	v_fmac_f32_e32 v20, v24, v20
	v_fma_f32 v24, -v21, v23, 1.0
	v_div_scale_f32 v22, s[0:1], v15, v17, v15
	v_mul_f32_e32 v25, v19, v20
	v_fmac_f32_e32 v23, v24, v23
	v_fma_f32 v24, -v18, v25, v19
	v_mul_f32_e32 v26, v22, v23
	v_fmac_f32_e32 v25, v24, v20
	v_fma_f32 v24, -v21, v26, v22
	v_fma_f32 v18, -v18, v25, v19
	v_fmac_f32_e32 v26, v24, v23
	v_div_fmas_f32 v18, v18, v20, v25
	v_fma_f32 v19, -v21, v26, v22
	s_mov_b64 vcc, s[0:1]
	v_div_fixup_f32 v14, v18, v16, v14
	v_div_fmas_f32 v16, v19, v23, v26
	v_add_f32_e32 v2, 1.0, v17
	v_div_fixup_f32 v15, v16, v17, v15
	v_div_scale_f32 v16, s[0:1], v17, v17, v14
	v_div_scale_f32 v19, s[20:21], v2, v2, v15
	v_rcp_f32_e32 v21, v16
	v_rcp_f32_e32 v22, v19
	v_div_scale_f32 v18, s[0:1], v14, v17, v14
	v_fma_f32 v23, -v16, v21, 1.0
	v_fma_f32 v24, -v19, v22, 1.0
	v_div_scale_f32 v20, vcc, v15, v2, v15
	v_fmac_f32_e32 v21, v23, v21
	v_fmac_f32_e32 v22, v24, v22
	v_mul_f32_e32 v23, v18, v21
	v_mul_f32_e32 v24, v20, v22
	v_fma_f32 v25, -v16, v23, v18
	v_fma_f32 v26, -v19, v24, v20
	v_fmac_f32_e32 v23, v25, v21
	v_fmac_f32_e32 v24, v26, v22
	v_fma_f32 v16, -v16, v23, v18
	v_fma_f32 v18, -v19, v24, v20
	v_div_fmas_f32 v18, v18, v22, v24
	s_mov_b64 vcc, s[0:1]
	v_div_fmas_f32 v16, v16, v21, v23
	v_div_fixup_f32 v15, v18, v2, v15
	v_div_fixup_f32 v14, v16, v17, v14
	v_pk_add_f32 v[4:5], v[4:5], v[14:15]
	s_nop 0
	v_div_scale_f32 v16, s[0:1], v4, v4, v14
	v_rcp_f32_e32 v17, v16
	v_div_scale_f32 v18, vcc, v14, v4, v14
	v_fma_f32 v19, -v16, v17, 1.0
	v_fmac_f32_e32 v17, v19, v17
	v_mul_f32_e32 v19, v18, v17
	v_fma_f32 v20, -v16, v19, v18
	v_fmac_f32_e32 v19, v20, v17
	v_fma_f32 v16, -v16, v19, v18
	v_div_fmas_f32 v16, v16, v17, v19
	v_div_fixup_f32 v16, v16, v4, v14
	v_cmp_ngt_f32_e64 s[0:1], |v16|, s16
	s_or_b64 s[14:15], s[0:1], s[14:15]
	s_andn2_b64 exec, exec, s[14:15]
	s_cbranch_execnz .LBB13_7
; %bb.8:
	s_or_b64 exec, exec, s[14:15]
	s_mov_b32 s0, 0x3eb5c63d
	s_mov_b32 s1, 0x3e8483fa
	v_pk_mul_f32 v[4:5], v[4:5], s[0:1]
	s_nop 0
	v_sub_f32_e32 v2, v4, v5
	v_cndmask_b32_e64 v11, v11, v2, s[4:5]
.LBB13_9:
	s_or_b64 exec, exec, s[12:13]
.LBB13_10:
	s_andn2_saveexec_b64 s[12:13], s[2:3]
	s_cbranch_execz .LBB13_20
; %bb.11:
	s_mov_b32 s0, 0x8f800000
	v_mul_f32_e32 v2, 0xcf800000, v6
	v_cmp_lt_f32_e32 vcc, s0, v6
	v_mul_f32_e32 v5, -2.0, v6
	s_mov_b32 s2, 0x40400000
	v_cndmask_b32_e64 v2, -v6, v2, vcc
	v_sqrt_f32_e32 v4, v2
	s_nop 0
	v_add_u32_e32 v6, -1, v4
	v_fma_f32 v11, -v6, v4, v2
	v_cmp_ge_f32_e64 s[0:1], 0, v11
	v_add_u32_e32 v11, 1, v4
	s_nop 0
	v_cndmask_b32_e64 v6, v4, v6, s[0:1]
	v_fma_f32 v4, -v11, v4, v2
	v_cmp_lt_f32_e64 s[0:1], 0, v4
	s_nop 1
	v_cndmask_b32_e64 v4, v6, v11, s[0:1]
	v_mul_f32_e32 v6, 0x37800000, v4
	v_cndmask_b32_e32 v4, v4, v6, vcc
	v_mov_b32_e32 v6, 0x260
	v_cmp_class_f32_e32 vcc, v2, v6
	s_nop 1
	v_cndmask_b32_e32 v2, v4, v2, vcc
	v_mul_f32_e32 v4, v5, v2
	v_div_scale_f32 v5, s[0:1], s2, s2, v4
	v_rcp_f32_e32 v6, v5
	s_brev_b32 s0, 18
	v_fma_f32 v11, -v5, v6, 1.0
	v_fmac_f32_e32 v6, v11, v6
	v_div_scale_f32 v11, vcc, v4, s2, v4
	v_mul_f32_e32 v12, v11, v6
	v_fma_f32 v13, -v5, v12, v11
	v_fmac_f32_e32 v12, v13, v6
	v_fma_f32 v5, -v5, v12, v11
	v_div_fmas_f32 v5, v5, v6, v12
	v_div_fixup_f32 v6, v5, s2, v4
	v_add_f32_e32 v4, 0x3f490fdb, v6
	v_and_b32_e32 v5, 0x7fffffff, v4
	v_cmp_nlt_f32_e64 s[14:15], |v4|, s0
	v_lshrrev_b32_e32 v15, 23, v5
                                        ; implicit-def: $vgpr11
                                        ; implicit-def: $vgpr12
	s_and_saveexec_b64 s[0:1], s[14:15]
	s_xor_b64 s[16:17], exec, s[0:1]
	s_cbranch_execz .LBB13_13
; %bb.12:
	v_add_u32_e32 v11, 0xffffff88, v15
	v_not_b32_e32 v12, 63
	v_cmp_lt_u32_e32 vcc, 63, v11
	s_mov_b32 s4, 0xfe5163ab
	v_mov_b32_e32 v17, 0
	v_cndmask_b32_e32 v12, 0, v12, vcc
	v_add_u32_e32 v11, v12, v11
	v_not_b32_e32 v12, 31
	v_cmp_lt_u32_e64 s[0:1], 31, v11
	s_nop 1
	v_cndmask_b32_e64 v13, 0, v12, s[0:1]
	v_add_u32_e32 v11, v13, v11
	v_cmp_lt_u32_e64 s[2:3], 31, v11
	s_nop 1
	v_cndmask_b32_e64 v12, 0, v12, s[2:3]
	v_add_u32_e32 v11, v12, v11
	v_and_b32_e32 v12, 0x7fffff, v5
	v_or_b32_e32 v14, 0x800000, v12
	v_mad_u64_u32 v[12:13], s[4:5], v14, s4, 0
	v_mov_b32_e32 v16, v13
	s_mov_b32 s4, 0x3c439041
	v_mad_u64_u32 v[18:19], s[4:5], v14, s4, v[16:17]
	v_mov_b32_e32 v16, v19
	s_mov_b32 s4, 0xdb629599
	v_mad_u64_u32 v[20:21], s[4:5], v14, s4, v[16:17]
	v_mov_b32_e32 v16, v21
	s_mov_b32 s4, 0xf534ddc0
	v_mad_u64_u32 v[22:23], s[4:5], v14, s4, v[16:17]
	v_mov_b32_e32 v16, v23
	s_mov_b32 s4, 0xfc2757d1
	v_mad_u64_u32 v[24:25], s[4:5], v14, s4, v[16:17]
	v_mov_b32_e32 v16, v25
	s_mov_b32 s4, 0x4e441529
	v_mad_u64_u32 v[26:27], s[4:5], v14, s4, v[16:17]
	v_mov_b32_e32 v16, v27
	s_mov_b32 s4, 0xa2f9836e
	v_mad_u64_u32 v[16:17], s[4:5], v14, s4, v[16:17]
	v_cndmask_b32_e32 v13, v26, v22, vcc
	v_cndmask_b32_e32 v14, v16, v24, vcc
	;; [unrolled: 1-line block ×3, first 2 shown]
	v_cndmask_b32_e64 v16, v14, v13, s[0:1]
	v_cndmask_b32_e64 v14, v17, v14, s[0:1]
	v_cndmask_b32_e32 v17, v24, v20, vcc
	v_cndmask_b32_e64 v13, v13, v17, s[0:1]
	v_cndmask_b32_e64 v14, v14, v16, s[2:3]
	;; [unrolled: 1-line block ×3, first 2 shown]
	v_sub_u32_e32 v19, 32, v11
	v_alignbit_b32 v21, v14, v16, v19
	v_cmp_eq_u32_e64 s[4:5], 0, v11
	v_cndmask_b32_e32 v12, v20, v12, vcc
	s_nop 0
	v_cndmask_b32_e64 v11, v21, v14, s[4:5]
	v_cndmask_b32_e32 v14, v22, v18, vcc
	v_cndmask_b32_e64 v17, v17, v14, s[0:1]
	v_cndmask_b32_e64 v13, v13, v17, s[2:3]
	v_alignbit_b32 v18, v16, v13, v19
	v_cndmask_b32_e64 v12, v14, v12, s[0:1]
	v_cndmask_b32_e64 v16, v18, v16, s[4:5]
	v_bfe_u32 v22, v11, 29, 1
	v_cndmask_b32_e64 v12, v17, v12, s[2:3]
	v_alignbit_b32 v18, v11, v16, 30
	v_sub_u32_e32 v23, 0, v22
	v_alignbit_b32 v14, v13, v12, v19
	v_xor_b32_e32 v18, v18, v23
	v_cndmask_b32_e64 v13, v14, v13, s[4:5]
	v_alignbit_b32 v14, v16, v13, 30
	v_ffbh_u32_e32 v16, v18
	v_min_u32_e32 v16, 32, v16
	v_alignbit_b32 v12, v13, v12, 30
	v_xor_b32_e32 v14, v14, v23
	v_sub_u32_e32 v17, 31, v16
	v_xor_b32_e32 v12, v12, v23
	v_alignbit_b32 v18, v18, v14, v17
	v_alignbit_b32 v12, v14, v12, v17
	;; [unrolled: 1-line block ×3, first 2 shown]
	v_ffbh_u32_e32 v14, v13
	v_min_u32_e32 v14, 32, v14
	v_lshrrev_b32_e32 v21, 29, v11
	v_not_b32_e32 v17, v14
	v_alignbit_b32 v12, v13, v12, v17
	v_lshlrev_b32_e32 v13, 31, v21
	v_or_b32_e32 v17, 0x33000000, v13
	v_add_lshl_u32 v14, v14, v16, 23
	v_lshrrev_b32_e32 v12, 9, v12
	v_sub_u32_e32 v14, v17, v14
	v_or_b32_e32 v13, 0.5, v13
	v_lshlrev_b32_e32 v16, 23, v16
	v_or_b32_e32 v12, v14, v12
	v_lshrrev_b32_e32 v14, 9, v18
	v_sub_u32_e32 v13, v13, v16
	v_or_b32_e32 v13, v14, v13
	s_mov_b32 s0, 0x3fc90fda
	v_mul_f32_e32 v14, 0x3fc90fda, v13
	v_fma_f32 v16, v13, s0, -v14
	v_fmamk_f32 v13, v13, 0x33a22168, v16
	v_fmac_f32_e32 v13, 0x3fc90fda, v12
	v_lshrrev_b32_e32 v11, 30, v11
	v_add_f32_e32 v12, v14, v13
	v_add_u32_e32 v11, v22, v11
	s_andn2_saveexec_b64 s[0:1], s[16:17]
	s_cbranch_execz .LBB13_15
	s_branch .LBB13_14
.LBB13_13:
	s_andn2_saveexec_b64 s[0:1], s[16:17]
	s_cbranch_execz .LBB13_15
.LBB13_14:
	s_mov_b32 s2, 0x3f22f983
	v_mul_f32_e64 v11, |v4|, s2
	v_rndne_f32_e32 v12, v11
	s_mov_b32 s2, 0xbfc90fda
	v_cvt_i32_f32_e32 v11, v12
	v_fma_f32 v13, v12, s2, |v4|
	v_fmamk_f32 v13, v12, 0xb3a22168, v13
	v_fmamk_f32 v12, v12, 0xa7c234c4, v13
.LBB13_15:
	s_or_b64 exec, exec, s[0:1]
                                        ; implicit-def: $vgpr13
                                        ; implicit-def: $vgpr14
	s_and_saveexec_b64 s[0:1], s[14:15]
	s_xor_b64 s[14:15], exec, s[0:1]
	s_cbranch_execz .LBB13_17
; %bb.16:
	v_add_u32_e32 v13, 0xffffff88, v15
	v_not_b32_e32 v14, 63
	v_cmp_lt_u32_e32 vcc, 63, v13
	s_mov_b32 s4, 0xfe5163ab
	v_mov_b32_e32 v17, 0
	v_cndmask_b32_e32 v14, 0, v14, vcc
	v_add_u32_e32 v13, v14, v13
	v_not_b32_e32 v14, 31
	v_cmp_lt_u32_e64 s[0:1], 31, v13
	s_nop 1
	v_cndmask_b32_e64 v15, 0, v14, s[0:1]
	v_add_u32_e32 v13, v15, v13
	v_cmp_lt_u32_e64 s[2:3], 31, v13
	s_nop 1
	v_cndmask_b32_e64 v14, 0, v14, s[2:3]
	v_add_u32_e32 v13, v14, v13
	v_and_b32_e32 v14, 0x7fffff, v5
	v_or_b32_e32 v28, 0x800000, v14
	v_mad_u64_u32 v[14:15], s[4:5], v28, s4, 0
	v_mov_b32_e32 v16, v15
	s_mov_b32 s4, 0x3c439041
	v_mad_u64_u32 v[18:19], s[4:5], v28, s4, v[16:17]
	v_mov_b32_e32 v16, v19
	s_mov_b32 s4, 0xdb629599
	;; [unrolled: 3-line block ×6, first 2 shown]
	v_mad_u64_u32 v[16:17], s[4:5], v28, s4, v[16:17]
	v_cndmask_b32_e32 v15, v26, v22, vcc
	v_cndmask_b32_e32 v16, v16, v24, vcc
	;; [unrolled: 1-line block ×3, first 2 shown]
	v_cndmask_b32_e64 v19, v16, v15, s[0:1]
	v_cndmask_b32_e64 v16, v17, v16, s[0:1]
	v_cndmask_b32_e32 v17, v24, v20, vcc
	v_cndmask_b32_e64 v15, v15, v17, s[0:1]
	v_cndmask_b32_e64 v16, v16, v19, s[2:3]
	v_cndmask_b32_e64 v19, v19, v15, s[2:3]
	v_sub_u32_e32 v21, 32, v13
	v_alignbit_b32 v23, v16, v19, v21
	v_cmp_eq_u32_e64 s[4:5], 0, v13
	v_cndmask_b32_e32 v14, v20, v14, vcc
	s_nop 0
	v_cndmask_b32_e64 v13, v23, v16, s[4:5]
	v_cndmask_b32_e32 v16, v22, v18, vcc
	v_cndmask_b32_e64 v17, v17, v16, s[0:1]
	v_cndmask_b32_e64 v15, v15, v17, s[2:3]
	v_alignbit_b32 v18, v19, v15, v21
	v_cndmask_b32_e64 v18, v18, v19, s[4:5]
	v_bfe_u32 v23, v13, 29, 1
	v_cndmask_b32_e64 v14, v16, v14, s[0:1]
	v_alignbit_b32 v19, v13, v18, 30
	v_sub_u32_e32 v24, 0, v23
	v_cndmask_b32_e64 v14, v17, v14, s[2:3]
	v_xor_b32_e32 v19, v19, v24
	v_alignbit_b32 v16, v15, v14, v21
	v_cndmask_b32_e64 v15, v16, v15, s[4:5]
	v_ffbh_u32_e32 v17, v19
	v_alignbit_b32 v16, v18, v15, 30
	v_min_u32_e32 v17, 32, v17
	v_alignbit_b32 v14, v15, v14, 30
	v_xor_b32_e32 v16, v16, v24
	v_sub_u32_e32 v18, 31, v17
	v_xor_b32_e32 v14, v14, v24
	v_alignbit_b32 v19, v19, v16, v18
	v_alignbit_b32 v14, v16, v14, v18
	;; [unrolled: 1-line block ×3, first 2 shown]
	v_ffbh_u32_e32 v16, v15
	v_min_u32_e32 v16, 32, v16
	v_lshrrev_b32_e32 v22, 29, v13
	v_not_b32_e32 v18, v16
	v_alignbit_b32 v14, v15, v14, v18
	v_lshlrev_b32_e32 v15, 31, v22
	v_or_b32_e32 v18, 0x33000000, v15
	v_add_lshl_u32 v16, v16, v17, 23
	v_lshrrev_b32_e32 v14, 9, v14
	v_sub_u32_e32 v16, v18, v16
	v_or_b32_e32 v15, 0.5, v15
	v_lshlrev_b32_e32 v17, 23, v17
	v_or_b32_e32 v14, v16, v14
	v_lshrrev_b32_e32 v16, 9, v19
	v_sub_u32_e32 v15, v15, v17
	v_or_b32_e32 v15, v16, v15
	s_mov_b32 s0, 0x3fc90fda
	v_mul_f32_e32 v16, 0x3fc90fda, v15
	v_fma_f32 v17, v15, s0, -v16
	v_fmamk_f32 v15, v15, 0x33a22168, v17
	v_fmac_f32_e32 v15, 0x3fc90fda, v14
	v_lshrrev_b32_e32 v13, 30, v13
	v_add_f32_e32 v14, v16, v15
	v_add_u32_e32 v13, v23, v13
	s_andn2_saveexec_b64 s[0:1], s[14:15]
	s_cbranch_execnz .LBB13_18
	s_branch .LBB13_19
.LBB13_17:
	s_andn2_saveexec_b64 s[0:1], s[14:15]
	s_cbranch_execz .LBB13_19
.LBB13_18:
	s_mov_b32 s2, 0x3f22f983
	v_mul_f32_e64 v13, |v4|, s2
	v_rndne_f32_e32 v14, v13
	s_mov_b32 s2, 0xbfc90fda
	v_cvt_i32_f32_e32 v13, v14
	v_fma_f32 v15, v14, s2, |v4|
	v_fmamk_f32 v15, v14, 0xb3a22168, v15
	v_fmamk_f32 v14, v14, 0xa7c234c4, v15
.LBB13_19:
	s_or_b64 exec, exec, s[0:1]
	v_div_scale_f32 v15, s[0:1], v6, v6, 1.0
	v_rcp_f32_e32 v16, v15
	v_div_scale_f32 v17, vcc, 1.0, v6, 1.0
	v_xor_b32_e32 v5, v5, v4
	v_fma_f32 v18, -v15, v16, 1.0
	v_fmac_f32_e32 v16, v18, v16
	v_mul_f32_e32 v18, v17, v16
	v_fma_f32 v19, -v15, v18, v17
	v_fmac_f32_e32 v18, v19, v16
	v_fma_f32 v15, -v15, v18, v17
	v_div_fmas_f32 v15, v15, v16, v18
	v_div_fixup_f32 v6, v15, v6, 1.0
	v_mul_f32_e32 v15, v6, v6
	v_mov_b32_e32 v16, 0xbe06db67
	v_mul_f32_e32 v18, v12, v12
	v_mov_b32_e32 v19, 0x3c0881c4
	v_fmac_f32_e32 v16, 0, v15
	v_mov_b32_e32 v17, 0x4155b259
	v_fmamk_f32 v20, v18, 0xb94c1982, v19
	v_fmaak_f32 v16, v15, v16, 0xbf205f75
	v_fmac_f32_e32 v17, 0, v15
	v_fmaak_f32 v20, v18, v20, 0xbe2aaa9d
	v_fmaak_f32 v16, v15, v16, 0xbf3172ce
	;; [unrolled: 1-line block ×3, first 2 shown]
	v_mul_f32_e32 v20, v18, v20
	v_fmaak_f32 v16, v15, v16, 0xbe8f3f52
	v_fmaak_f32 v17, v15, v17, 0x41d5e4c5
	v_fmac_f32_e32 v12, v12, v20
	v_mov_b32_e32 v20, 0xbab64f3b
	v_fmaak_f32 v16, v15, v16, 0xbd497b78
	v_fmaak_f32 v17, v15, v17, 0x4112fe41
	v_fmamk_f32 v22, v18, 0x37d75334, v20
	v_fmaak_f32 v16, v15, v16, 0xbb85200e
	v_fmaak_f32 v17, v15, v17, 0x3fbcd65a
	v_fmaak_f32 v22, v18, v22, 0x3d2aabf7
	v_fmaak_f32 v16, v15, v16, 0xb9270375
	v_fmaak_f32 v17, v15, v17, 0x3deced66
	v_fmaak_f32 v22, v18, v22, 0xbf000004
	v_fmaak_f32 v16, v15, v16, 0xb63a53c1
	v_fmaak_f32 v17, v15, v17, 0x3b904657
	v_fma_f32 v18, v18, v22, 1.0
	v_and_b32_e32 v22, 1, v11
	v_lshlrev_b32_e32 v11, 30, v11
	v_fmaak_f32 v17, v15, v17, 0x389e46bd
	v_fmaak_f32 v16, v15, v16, 0xb29020e8
	v_cmp_eq_u32_e32 vcc, 0, v22
	v_and_b32_e32 v11, 0x80000000, v11
	v_fmaak_f32 v17, v15, v17, 0x34f295ce
	v_cndmask_b32_e32 v12, v18, v12, vcc
	v_xor_b32_e32 v5, v5, v11
	v_mul_f32_e32 v11, v15, v16
	v_xor_b32_e32 v5, v5, v12
	v_div_scale_f32 v12, s[0:1], v17, v17, v11
	v_rcp_f32_e32 v16, v12
	s_movk_i32 s2, 0x1f8
	v_mov_b32_e32 v18, 0x7fc00000
	v_cmp_class_f32_e64 s[0:1], v4, s2
	s_mov_b32 s2, 0xf800000
	s_mov_b32 s5, 0x3f106ebb
	v_cndmask_b32_e64 v4, v18, v5, s[0:1]
	v_fma_f32 v5, -v12, v16, 1.0
	v_fmac_f32_e32 v16, v5, v16
	v_div_scale_f32 v5, vcc, v11, v17, v11
	v_mul_f32_e32 v22, v5, v16
	v_fma_f32 v25, -v12, v22, v5
	v_fmac_f32_e32 v22, v25, v16
	v_fma_f32 v5, -v12, v22, v5
	v_div_fmas_f32 v5, v5, v16, v22
	v_mul_f32_e32 v16, 0x4f800000, v2
	v_cmp_gt_f32_e32 vcc, s2, v2
	v_div_fixup_f32 v5, v5, v17, v11
	v_mov_b32_e32 v11, 0x3ca1a92f
	v_cndmask_b32_e32 v2, v2, v16, vcc
	v_sqrt_f32_e32 v16, v2
	v_fmac_f32_e32 v11, 0, v15
	v_mov_b32_e32 v12, 0x4114f160
	v_fmaak_f32 v11, v15, v11, 0x3ec83ea8
	v_add_u32_e32 v17, -1, v16
	v_fma_f32 v22, -v17, v16, v2
	v_cmp_ge_f32_e64 s[2:3], 0, v22
	v_add_u32_e32 v22, 1, v16
	v_fmac_f32_e32 v12, 0, v15
	v_cndmask_b32_e64 v17, v16, v17, s[2:3]
	v_fma_f32 v16, -v22, v16, v2
	v_cmp_lt_f32_e64 s[2:3], 0, v16
	v_fmaak_f32 v11, v15, v11, 0x3f886c1a
	v_fmaak_f32 v12, v15, v12, 0x419eaeae
	v_cndmask_b32_e64 v16, v17, v22, s[2:3]
	v_mul_f32_e32 v17, 0x37800000, v16
	v_cndmask_b32_e32 v16, v16, v17, vcc
	v_mov_b32_e32 v17, 0x260
	v_fmaak_f32 v11, v15, v11, 0x3f706d65
	v_fmaak_f32 v12, v15, v12, 0x417908dc
	v_cmp_class_f32_e32 vcc, v2, v17
	v_fmaak_f32 v11, v15, v11, 0x3eb3f34e
	v_fmaak_f32 v12, v15, v12, 0x40af4271
	v_cndmask_b32_e32 v2, v16, v2, vcc
	v_fmaak_f32 v11, v15, v11, 0x3d81d209
	v_fmaak_f32 v12, v15, v12, 0x3f744c96
	v_div_scale_f32 v16, s[2:3], v2, v2, s5
	v_fmaak_f32 v11, v15, v11, 0x3bbff4d0
	v_fmaak_f32 v12, v15, v12, 0x3db110ef
	v_rcp_f32_e32 v17, v16
	v_fmaak_f32 v11, v15, v11, 0x39944bb3
	v_fmaak_f32 v12, v15, v12, 0x3b873823
	;; [unrolled: 1-line block ×8, first 2 shown]
	v_fma_f32 v15, -v16, v17, 1.0
	v_fmac_f32_e32 v17, v15, v17
	v_div_scale_f32 v15, vcc, s5, v2, s5
	v_mul_f32_e32 v22, v15, v17
	v_fma_f32 v25, -v16, v22, v15
	v_fmac_f32_e32 v22, v25, v17
	v_fma_f32 v15, -v16, v22, v15
	v_div_fmas_f32 v15, v15, v17, v22
	v_div_fixup_f32 v2, v15, v2, s5
	v_mul_f32_e32 v15, v14, v14
	v_mov_b32_e32 v21, 0xbe2aaa9d
	v_fmac_f32_e32 v19, 0xb94c1982, v15
	v_mov_b32_e32 v23, 0x3d2aabf7
	v_fmac_f32_e32 v21, v15, v19
	v_fmac_f32_e32 v20, 0x37d75334, v15
	v_mov_b32_e32 v24, 0xbf000004
	v_mul_f32_e32 v16, v15, v21
	v_fmac_f32_e32 v23, v15, v20
	v_fmac_f32_e32 v14, v14, v16
	;; [unrolled: 1-line block ×3, first 2 shown]
	v_and_b32_e32 v16, 1, v13
	v_mul_f32_e32 v6, v6, v11
	v_fma_f32 v15, v15, v24, 1.0
	v_cmp_eq_u32_e32 vcc, 0, v16
	v_div_scale_f32 v11, s[2:3], v12, v12, v6
	s_nop 0
	v_cndmask_b32_e64 v14, -v14, v15, vcc
	v_rcp_f32_e32 v15, v11
	s_brev_b32 s4, 1
	v_lshlrev_b32_e32 v13, 30, v13
	v_bitop3_b32 v13, v13, v14, s4 bitop3:0x6c
	v_fma_f32 v14, -v11, v15, 1.0
	v_fmac_f32_e32 v15, v14, v15
	v_div_scale_f32 v14, vcc, v6, v12, v6
	v_mul_f32_e32 v16, v14, v15
	v_fma_f32 v17, -v11, v16, v14
	v_fmac_f32_e32 v16, v17, v15
	v_fma_f32 v11, -v11, v16, v14
	v_div_fmas_f32 v11, v11, v15, v16
	v_cndmask_b32_e64 v13, v18, v13, s[0:1]
	v_div_fixup_f32 v6, v11, v12, v6
	v_add_f32_e32 v5, 1.0, v5
	v_mul_f32_e32 v6, v6, v13
	v_fma_f32 v4, v5, v4, -v6
	v_mul_f32_e32 v11, v2, v4
.LBB13_20:
	s_or_b64 exec, exec, s[12:13]
.LBB13_21:
	s_or_b64 exec, exec, s[10:11]
	v_mov_b32_e32 v2, v11
.LBB13_22:
	s_or_b64 exec, exec, s[8:9]
	v_cmp_neq_f32_e64 s[0:1], |v7|, s18
	s_and_saveexec_b64 s[8:9], s[0:1]
	s_cbranch_execz .LBB13_44
; %bb.23:
	s_mov_b32 s0, 0x42cfc8b4
	v_cmp_nlt_f32_e32 vcc, s0, v7
	v_mov_b32_e32 v3, 0
	s_and_saveexec_b64 s[10:11], vcc
	s_cbranch_execz .LBB13_43
; %bb.24:
	s_mov_b32 s0, 0xc005c28f
	v_cmp_ngt_f32_e32 vcc, s0, v7
	s_and_saveexec_b64 s[0:1], vcc
	s_xor_b64 s[2:3], exec, s[0:1]
	s_cbranch_execz .LBB13_32
; %bb.25:
	s_mov_b32 s0, 0x4005c28f
	v_cmp_nle_f32_e64 s[4:5], s0, v7
	v_cmp_le_f32_e32 vcc, s0, v7
	v_mov_b32_e32 v3, 0
	s_mov_b64 s[0:1], s[4:5]
	s_and_saveexec_b64 s[12:13], vcc
	s_cbranch_execz .LBB13_27
; %bb.26:
	s_mov_b32 s14, 0xf800000
	v_mul_f32_e32 v3, 0x4f800000, v7
	v_cmp_gt_f32_e32 vcc, s14, v7
	v_add_f32_e32 v5, v7, v7
	s_mov_b32 s15, 0x40400000
	v_cndmask_b32_e32 v3, v7, v3, vcc
	v_sqrt_f32_e32 v4, v3
	s_nop 0
	v_add_u32_e32 v6, -1, v4
	v_fma_f32 v11, -v6, v4, v3
	v_cmp_ge_f32_e64 s[0:1], 0, v11
	v_add_u32_e32 v11, 1, v4
	s_nop 0
	v_cndmask_b32_e64 v6, v4, v6, s[0:1]
	v_fma_f32 v4, -v11, v4, v3
	v_cmp_lt_f32_e64 s[0:1], 0, v4
	s_nop 1
	v_cndmask_b32_e64 v4, v6, v11, s[0:1]
	v_mul_f32_e32 v6, 0x37800000, v4
	v_mov_b32_e32 v11, 0x260
	v_cndmask_b32_e32 v4, v4, v6, vcc
	v_cmp_class_f32_e32 vcc, v3, v11
	s_nop 1
	v_cndmask_b32_e32 v3, v4, v3, vcc
	v_mul_f32_e32 v4, v5, v3
	v_div_scale_f32 v5, s[0:1], s15, s15, v4
	v_rcp_f32_e32 v6, v5
	s_nop 0
	v_fma_f32 v12, -v5, v6, 1.0
	v_fmac_f32_e32 v6, v12, v6
	v_div_scale_f32 v12, vcc, v4, s15, v4
	v_mul_f32_e32 v13, v12, v6
	v_fma_f32 v14, -v5, v13, v12
	v_fmac_f32_e32 v13, v14, v6
	v_fma_f32 v5, -v5, v13, v12
	v_div_fmas_f32 v5, v5, v6, v13
	v_div_fixup_f32 v14, v5, s15, v4
	v_div_scale_f32 v4, s[0:1], v14, v14, 1.0
	v_rcp_f32_e32 v5, v4
	s_mov_b32 s0, 0x3eb16d71
	s_mov_b32 s1, 0x3f114de0
	v_fma_f32 v6, -v4, v5, 1.0
	v_fmac_f32_e32 v5, v6, v5
	v_div_scale_f32 v6, vcc, 1.0, v14, 1.0
	v_mul_f32_e32 v12, v6, v5
	v_fma_f32 v13, -v4, v12, v6
	v_fmac_f32_e32 v12, v13, v5
	v_fma_f32 v4, -v4, v12, v6
	v_div_fmas_f32 v4, v4, v5, v12
	v_div_fixup_f32 v4, v4, v14, 1.0
	v_mul_f32_e32 v6, 0, v4
	v_pk_add_f32 v[12:13], v[6:7], s[0:1] op_sel_hi:[0,1]
	s_mov_b32 s0, 0x41401f1c
	s_mov_b32 s1, 0x416c19a0
	v_pk_fma_f32 v[12:13], v[4:5], v[12:13], s[0:1] op_sel_hi:[0,1,1]
	s_mov_b32 s0, 0x42988f28
	s_mov_b32 s1, 0x42a9071e
	v_pk_fma_f32 v[12:13], v[4:5], v[12:13], s[0:1] op_sel_hi:[0,1,1]
	;; [unrolled: 3-line block ×6, first 2 shown]
	v_pk_fma_f32 v[4:5], v[4:5], v[12:13], 1.0 op_sel_hi:[0,1,0]
	v_div_scale_f32 v6, s[0:1], v5, v5, v4
	v_rcp_f32_e32 v12, v6
	v_cmp_gt_f32_e64 s[0:1], s14, v3
	v_fma_f32 v13, -v6, v12, 1.0
	v_fmac_f32_e32 v12, v13, v12
	v_div_scale_f32 v13, vcc, v4, v5, v4
	v_mul_f32_e32 v15, v13, v12
	v_fma_f32 v16, -v6, v15, v13
	v_fmac_f32_e32 v15, v16, v12
	v_fma_f32 v6, -v6, v15, v13
	v_mul_f32_e32 v13, 0x4f800000, v3
	v_cndmask_b32_e64 v3, v3, v13, s[0:1]
	v_sqrt_f32_e32 v13, v3
	v_div_fmas_f32 v6, v6, v12, v15
	v_div_fixup_f32 v4, v6, v5, v4
	v_add_u32_e32 v5, -1, v13
	v_fma_f32 v6, -v5, v13, v3
	v_cmp_ge_f32_e32 vcc, 0, v6
	v_add_u32_e32 v6, 1, v13
	v_fma_f32 v12, -v6, v13, v3
	v_cndmask_b32_e32 v5, v13, v5, vcc
	v_cmp_lt_f32_e32 vcc, 0, v12
	s_nop 1
	v_cndmask_b32_e32 v5, v5, v6, vcc
	v_mul_f32_e32 v6, 0x37800000, v5
	v_cndmask_b32_e64 v5, v5, v6, s[0:1]
	v_cmp_class_f32_e32 vcc, v3, v11
	s_mov_b32 s0, 0x3fb8aa3b
	s_nop 0
	v_cndmask_b32_e32 v5, v5, v3, vcc
	v_mul_f32_e32 v3, 0x3fb8aa3b, v14
	v_fma_f32 v6, v14, s0, -v3
	v_rndne_f32_e32 v11, v3
	v_fmamk_f32 v6, v14, 0x32a5705f, v6
	v_sub_f32_e32 v3, v3, v11
	v_add_f32_e32 v3, v3, v6
	v_exp_f32_e32 v3, v3
	v_cvt_i32_f32_e32 v6, v11
	s_mov_b32 s0, 0x3f106ebb
	s_mov_b32 s1, 2.0
	v_pk_mul_f32 v[4:5], v[4:5], s[0:1]
	s_mov_b32 s0, 0xc2ce8ed0
	v_ldexp_f32 v3, v3, v6
	v_cmp_ngt_f32_e32 vcc, s0, v14
	s_mov_b32 s0, 0x42b17218
	v_mov_b32_e32 v6, 0x7f800000
	v_cndmask_b32_e32 v3, 0, v3, vcc
	v_cmp_nlt_f32_e32 vcc, s0, v14
	s_nop 1
	v_cndmask_b32_e32 v3, v6, v3, vcc
	v_mul_f32_e32 v3, v5, v3
	v_div_scale_f32 v5, s[0:1], v3, v3, v4
	v_rcp_f32_e32 v6, v5
	s_mov_b32 s0, 0x41052018
	v_fma_f32 v11, -v5, v6, 1.0
	v_fmac_f32_e32 v6, v11, v6
	v_div_scale_f32 v11, vcc, v4, v3, v4
	v_mul_f32_e32 v12, v11, v6
	v_fma_f32 v13, -v5, v12, v11
	v_fmac_f32_e32 v12, v13, v6
	v_fma_f32 v5, -v5, v12, v11
	v_div_fmas_f32 v5, v5, v6, v12
	v_cmp_nlt_f32_e32 vcc, s0, v7
	s_andn2_b64 s[0:1], s[4:5], exec
	s_and_b64 s[14:15], vcc, exec
	v_div_fixup_f32 v3, v5, v3, v4
	s_or_b64 s[0:1], s[0:1], s[14:15]
.LBB13_27:
	s_or_b64 exec, exec, s[12:13]
	s_and_saveexec_b64 s[12:13], s[0:1]
	s_cbranch_execz .LBB13_31
; %bb.28:
	v_mul_f32_e32 v4, v7, v7
	v_mul_f32_e32 v12, v7, v4
	v_mov_b32_e32 v13, v12
	s_mov_b64 s[14:15], 0
	v_mov_b32_e32 v6, 1.0
	v_mov_b32_e32 v4, 1.0
	;; [unrolled: 1-line block ×3, first 2 shown]
	s_brev_b32 s16, 44
	v_mov_b32_e32 v5, v7
	v_mov_b32_e32 v15, v7
.LBB13_29:                              ; =>This Inner Loop Header: Depth=1
	v_pk_mul_f32 v[14:15], v[12:13], v[14:15]
	v_add_f32_e32 v11, 1.0, v6
	v_add_f32_e32 v16, 1.0, v11
	v_div_scale_f32 v17, s[0:1], v11, v11, v14
	v_rcp_f32_e32 v19, v17
	v_div_scale_f32 v20, s[0:1], v16, v16, v15
	v_rcp_f32_e32 v22, v20
	v_fma_f32 v23, -v17, v19, 1.0
	v_div_scale_f32 v18, vcc, v14, v11, v14
	v_fmac_f32_e32 v19, v23, v19
	v_fma_f32 v23, -v20, v22, 1.0
	v_div_scale_f32 v21, s[0:1], v15, v16, v15
	v_mul_f32_e32 v24, v18, v19
	v_fmac_f32_e32 v22, v23, v22
	v_fma_f32 v23, -v17, v24, v18
	v_mul_f32_e32 v25, v21, v22
	v_fmac_f32_e32 v24, v23, v19
	v_fma_f32 v23, -v20, v25, v21
	v_fma_f32 v17, -v17, v24, v18
	v_fmac_f32_e32 v25, v23, v22
	v_div_fmas_f32 v17, v17, v19, v24
	v_fma_f32 v18, -v20, v25, v21
	s_mov_b64 vcc, s[0:1]
	v_div_fixup_f32 v11, v17, v11, v14
	v_div_fmas_f32 v14, v18, v22, v25
	v_add_f32_e32 v6, 1.0, v16
	v_div_fixup_f32 v14, v14, v16, v15
	v_div_scale_f32 v15, s[0:1], v16, v16, v11
	v_div_scale_f32 v18, s[18:19], v6, v6, v14
	v_rcp_f32_e32 v20, v15
	v_rcp_f32_e32 v21, v18
	v_div_scale_f32 v17, s[0:1], v11, v16, v11
	v_fma_f32 v22, -v15, v20, 1.0
	v_fma_f32 v23, -v18, v21, 1.0
	v_div_scale_f32 v19, vcc, v14, v6, v14
	v_fmac_f32_e32 v20, v22, v20
	v_fmac_f32_e32 v21, v23, v21
	v_mul_f32_e32 v22, v17, v20
	v_mul_f32_e32 v23, v19, v21
	v_fma_f32 v24, -v15, v22, v17
	v_fma_f32 v25, -v18, v23, v19
	v_fmac_f32_e32 v22, v24, v20
	v_fmac_f32_e32 v23, v25, v21
	v_fma_f32 v17, -v15, v22, v17
	v_fma_f32 v15, -v18, v23, v19
	v_div_fmas_f32 v15, v15, v21, v23
	s_mov_b64 vcc, s[0:1]
	v_div_fixup_f32 v15, v15, v6, v14
	v_div_fmas_f32 v14, v17, v20, v22
	v_div_fixup_f32 v14, v14, v16, v11
	v_pk_add_f32 v[4:5], v[4:5], v[14:15]
	s_nop 0
	v_div_scale_f32 v11, s[0:1], v4, v4, v14
	v_rcp_f32_e32 v16, v11
	v_div_scale_f32 v17, vcc, v14, v4, v14
	v_fma_f32 v18, -v11, v16, 1.0
	v_fmac_f32_e32 v16, v18, v16
	v_mul_f32_e32 v18, v17, v16
	v_fma_f32 v19, -v11, v18, v17
	v_fmac_f32_e32 v18, v19, v16
	v_fma_f32 v11, -v11, v18, v17
	v_div_fmas_f32 v11, v11, v16, v18
	v_div_fixup_f32 v11, v11, v4, v14
	v_cmp_ngt_f32_e64 s[0:1], |v11|, s16
	s_or_b64 s[14:15], s[0:1], s[14:15]
	s_andn2_b64 exec, exec, s[14:15]
	s_cbranch_execnz .LBB13_29
; %bb.30:
	s_or_b64 exec, exec, s[14:15]
	s_mov_b32 s0, 0x3eb5c63d
	s_mov_b32 s1, 0x3e8483fa
	v_pk_mul_f32 v[4:5], v[4:5], s[0:1]
	s_nop 0
	v_sub_f32_e32 v4, v4, v5
	v_cndmask_b32_e64 v3, v3, v4, s[4:5]
.LBB13_31:
	s_or_b64 exec, exec, s[12:13]
.LBB13_32:
	s_andn2_saveexec_b64 s[12:13], s[2:3]
	s_cbranch_execz .LBB13_42
; %bb.33:
	s_mov_b32 s0, 0x8f800000
	v_mul_f32_e32 v3, 0xcf800000, v7
	v_cmp_lt_f32_e32 vcc, s0, v7
	v_mul_f32_e32 v5, -2.0, v7
	s_mov_b32 s2, 0x40400000
	v_cndmask_b32_e64 v3, -v7, v3, vcc
	v_sqrt_f32_e32 v4, v3
	s_nop 0
	v_add_u32_e32 v6, -1, v4
	v_fma_f32 v7, -v6, v4, v3
	v_cmp_ge_f32_e64 s[0:1], 0, v7
	v_add_u32_e32 v7, 1, v4
	s_nop 0
	v_cndmask_b32_e64 v6, v4, v6, s[0:1]
	v_fma_f32 v4, -v7, v4, v3
	v_cmp_lt_f32_e64 s[0:1], 0, v4
	s_nop 1
	v_cndmask_b32_e64 v4, v6, v7, s[0:1]
	v_mul_f32_e32 v6, 0x37800000, v4
	v_cndmask_b32_e32 v4, v4, v6, vcc
	v_mov_b32_e32 v6, 0x260
	v_cmp_class_f32_e32 vcc, v3, v6
	s_nop 1
	v_cndmask_b32_e32 v3, v4, v3, vcc
	v_mul_f32_e32 v4, v5, v3
	v_div_scale_f32 v5, s[0:1], s2, s2, v4
	v_rcp_f32_e32 v6, v5
	s_brev_b32 s0, 18
	v_fma_f32 v7, -v5, v6, 1.0
	v_fmac_f32_e32 v6, v7, v6
	v_div_scale_f32 v7, vcc, v4, s2, v4
	v_mul_f32_e32 v11, v7, v6
	v_fma_f32 v12, -v5, v11, v7
	v_fmac_f32_e32 v11, v12, v6
	v_fma_f32 v5, -v5, v11, v7
	v_div_fmas_f32 v5, v5, v6, v11
	v_div_fixup_f32 v6, v5, s2, v4
	v_add_f32_e32 v4, 0x3f490fdb, v6
	v_and_b32_e32 v5, 0x7fffffff, v4
	v_cmp_nlt_f32_e64 s[14:15], |v4|, s0
	v_lshrrev_b32_e32 v14, 23, v5
                                        ; implicit-def: $vgpr7
                                        ; implicit-def: $vgpr11
	s_and_saveexec_b64 s[0:1], s[14:15]
	s_xor_b64 s[16:17], exec, s[0:1]
	s_cbranch_execz .LBB13_35
; %bb.34:
	v_add_u32_e32 v7, 0xffffff88, v14
	v_not_b32_e32 v11, 63
	v_cmp_lt_u32_e32 vcc, 63, v7
	s_mov_b32 s4, 0xfe5163ab
	v_mov_b32_e32 v17, 0
	v_cndmask_b32_e32 v11, 0, v11, vcc
	v_add_u32_e32 v7, v11, v7
	v_not_b32_e32 v11, 31
	v_cmp_lt_u32_e64 s[0:1], 31, v7
	s_nop 1
	v_cndmask_b32_e64 v12, 0, v11, s[0:1]
	v_add_u32_e32 v7, v12, v7
	v_cmp_lt_u32_e64 s[2:3], 31, v7
	s_nop 1
	v_cndmask_b32_e64 v11, 0, v11, s[2:3]
	v_add_u32_e32 v7, v11, v7
	v_and_b32_e32 v11, 0x7fffff, v5
	v_or_b32_e32 v11, 0x800000, v11
	v_mad_u64_u32 v[12:13], s[4:5], v11, s4, 0
	v_mov_b32_e32 v16, v13
	s_mov_b32 s4, 0x3c439041
	v_mad_u64_u32 v[18:19], s[4:5], v11, s4, v[16:17]
	v_mov_b32_e32 v16, v19
	s_mov_b32 s4, 0xdb629599
	;; [unrolled: 3-line block ×6, first 2 shown]
	v_mad_u64_u32 v[16:17], s[4:5], v11, s4, v[16:17]
	v_cndmask_b32_e32 v13, v26, v22, vcc
	v_cndmask_b32_e32 v11, v16, v24, vcc
	;; [unrolled: 1-line block ×3, first 2 shown]
	v_cndmask_b32_e64 v15, v11, v13, s[0:1]
	v_cndmask_b32_e64 v11, v16, v11, s[0:1]
	v_cndmask_b32_e32 v16, v24, v20, vcc
	v_cndmask_b32_e64 v13, v13, v16, s[0:1]
	v_cndmask_b32_e64 v11, v11, v15, s[2:3]
	v_cndmask_b32_e64 v15, v15, v13, s[2:3]
	v_sub_u32_e32 v17, 32, v7
	v_alignbit_b32 v19, v11, v15, v17
	v_cmp_eq_u32_e64 s[4:5], 0, v7
	v_cndmask_b32_e32 v12, v20, v12, vcc
	s_nop 0
	v_cndmask_b32_e64 v7, v19, v11, s[4:5]
	v_cndmask_b32_e32 v11, v22, v18, vcc
	v_cndmask_b32_e64 v16, v16, v11, s[0:1]
	v_cndmask_b32_e64 v13, v13, v16, s[2:3]
	v_alignbit_b32 v18, v15, v13, v17
	v_cndmask_b32_e64 v11, v11, v12, s[0:1]
	v_cndmask_b32_e64 v15, v18, v15, s[4:5]
	v_bfe_u32 v21, v7, 29, 1
	v_cndmask_b32_e64 v11, v16, v11, s[2:3]
	v_alignbit_b32 v18, v7, v15, 30
	v_sub_u32_e32 v22, 0, v21
	v_alignbit_b32 v12, v13, v11, v17
	v_xor_b32_e32 v18, v18, v22
	v_cndmask_b32_e64 v12, v12, v13, s[4:5]
	v_alignbit_b32 v13, v15, v12, 30
	v_ffbh_u32_e32 v15, v18
	v_min_u32_e32 v15, 32, v15
	v_alignbit_b32 v11, v12, v11, 30
	v_xor_b32_e32 v13, v13, v22
	v_sub_u32_e32 v16, 31, v15
	v_xor_b32_e32 v11, v11, v22
	v_alignbit_b32 v17, v18, v13, v16
	v_alignbit_b32 v11, v13, v11, v16
	;; [unrolled: 1-line block ×3, first 2 shown]
	v_ffbh_u32_e32 v13, v12
	v_min_u32_e32 v13, 32, v13
	v_lshrrev_b32_e32 v19, 29, v7
	v_not_b32_e32 v16, v13
	v_alignbit_b32 v11, v12, v11, v16
	v_lshlrev_b32_e32 v12, 31, v19
	v_or_b32_e32 v16, 0x33000000, v12
	v_add_lshl_u32 v13, v13, v15, 23
	v_lshrrev_b32_e32 v11, 9, v11
	v_sub_u32_e32 v13, v16, v13
	v_or_b32_e32 v12, 0.5, v12
	v_lshlrev_b32_e32 v15, 23, v15
	v_or_b32_e32 v11, v13, v11
	v_lshrrev_b32_e32 v13, 9, v17
	v_sub_u32_e32 v12, v12, v15
	v_or_b32_e32 v12, v13, v12
	s_mov_b32 s0, 0x3fc90fda
	v_mul_f32_e32 v13, 0x3fc90fda, v12
	v_fma_f32 v15, v12, s0, -v13
	v_fmamk_f32 v12, v12, 0x33a22168, v15
	v_fmac_f32_e32 v12, 0x3fc90fda, v11
	v_lshrrev_b32_e32 v7, 30, v7
	v_add_f32_e32 v11, v13, v12
	v_add_u32_e32 v7, v21, v7
	s_andn2_saveexec_b64 s[0:1], s[16:17]
	s_cbranch_execz .LBB13_37
	s_branch .LBB13_36
.LBB13_35:
	s_andn2_saveexec_b64 s[0:1], s[16:17]
	s_cbranch_execz .LBB13_37
.LBB13_36:
	s_mov_b32 s2, 0x3f22f983
	v_mul_f32_e64 v7, |v4|, s2
	v_rndne_f32_e32 v11, v7
	s_mov_b32 s2, 0xbfc90fda
	v_cvt_i32_f32_e32 v7, v11
	v_fma_f32 v12, v11, s2, |v4|
	v_fmamk_f32 v12, v11, 0xb3a22168, v12
	v_fmamk_f32 v11, v11, 0xa7c234c4, v12
.LBB13_37:
	s_or_b64 exec, exec, s[0:1]
                                        ; implicit-def: $vgpr12
                                        ; implicit-def: $vgpr13
	s_and_saveexec_b64 s[0:1], s[14:15]
	s_xor_b64 s[14:15], exec, s[0:1]
	s_cbranch_execz .LBB13_39
; %bb.38:
	v_add_u32_e32 v12, 0xffffff88, v14
	v_not_b32_e32 v13, 63
	v_cmp_lt_u32_e32 vcc, 63, v12
	s_mov_b32 s4, 0xfe5163ab
	v_mov_b32_e32 v15, 0
	v_cndmask_b32_e32 v13, 0, v13, vcc
	v_add_u32_e32 v12, v13, v12
	v_not_b32_e32 v13, 31
	v_cmp_lt_u32_e64 s[0:1], 31, v12
	s_nop 1
	v_cndmask_b32_e64 v14, 0, v13, s[0:1]
	v_add_u32_e32 v12, v14, v12
	v_cmp_lt_u32_e64 s[2:3], 31, v12
	s_nop 1
	v_cndmask_b32_e64 v13, 0, v13, s[2:3]
	v_add_u32_e32 v26, v13, v12
	v_and_b32_e32 v12, 0x7fffff, v5
	v_or_b32_e32 v27, 0x800000, v12
	v_mad_u64_u32 v[12:13], s[4:5], v27, s4, 0
	v_mov_b32_e32 v14, v13
	s_mov_b32 s4, 0x3c439041
	v_mad_u64_u32 v[16:17], s[4:5], v27, s4, v[14:15]
	v_mov_b32_e32 v14, v17
	s_mov_b32 s4, 0xdb629599
	;; [unrolled: 3-line block ×6, first 2 shown]
	v_mad_u64_u32 v[14:15], s[4:5], v27, s4, v[14:15]
	v_cndmask_b32_e32 v13, v24, v20, vcc
	v_cndmask_b32_e32 v14, v14, v22, vcc
	;; [unrolled: 1-line block ×3, first 2 shown]
	v_cndmask_b32_e64 v17, v14, v13, s[0:1]
	v_cndmask_b32_e64 v14, v15, v14, s[0:1]
	v_cndmask_b32_e32 v15, v22, v18, vcc
	v_cndmask_b32_e64 v13, v13, v15, s[0:1]
	v_cndmask_b32_e32 v16, v20, v16, vcc
	v_cndmask_b32_e64 v14, v14, v17, s[2:3]
	v_cndmask_b32_e64 v17, v17, v13, s[2:3]
	v_sub_u32_e32 v19, 32, v26
	v_cndmask_b32_e64 v15, v15, v16, s[0:1]
	v_alignbit_b32 v21, v14, v17, v19
	v_cmp_eq_u32_e64 s[4:5], 0, v26
	v_cndmask_b32_e64 v13, v13, v15, s[2:3]
	v_alignbit_b32 v20, v17, v13, v19
	v_cndmask_b32_e64 v14, v21, v14, s[4:5]
	v_cndmask_b32_e32 v12, v18, v12, vcc
	v_cndmask_b32_e64 v17, v20, v17, s[4:5]
	v_bfe_u32 v22, v14, 29, 1
	v_cndmask_b32_e64 v12, v16, v12, s[0:1]
	v_alignbit_b32 v20, v14, v17, 30
	v_sub_u32_e32 v23, 0, v22
	v_cndmask_b32_e64 v12, v15, v12, s[2:3]
	v_xor_b32_e32 v20, v20, v23
	v_alignbit_b32 v15, v13, v12, v19
	v_cndmask_b32_e64 v13, v15, v13, s[4:5]
	v_ffbh_u32_e32 v16, v20
	v_alignbit_b32 v15, v17, v13, 30
	v_min_u32_e32 v16, 32, v16
	v_alignbit_b32 v12, v13, v12, 30
	v_xor_b32_e32 v15, v15, v23
	v_sub_u32_e32 v17, 31, v16
	v_xor_b32_e32 v12, v12, v23
	v_alignbit_b32 v18, v20, v15, v17
	v_alignbit_b32 v12, v15, v12, v17
	;; [unrolled: 1-line block ×3, first 2 shown]
	v_ffbh_u32_e32 v15, v13
	v_min_u32_e32 v15, 32, v15
	v_lshrrev_b32_e32 v21, 29, v14
	v_not_b32_e32 v17, v15
	v_alignbit_b32 v12, v13, v12, v17
	v_lshlrev_b32_e32 v13, 31, v21
	v_or_b32_e32 v17, 0x33000000, v13
	v_add_lshl_u32 v15, v15, v16, 23
	v_lshrrev_b32_e32 v12, 9, v12
	v_sub_u32_e32 v15, v17, v15
	v_or_b32_e32 v13, 0.5, v13
	v_lshlrev_b32_e32 v16, 23, v16
	v_or_b32_e32 v12, v15, v12
	v_lshrrev_b32_e32 v15, 9, v18
	v_sub_u32_e32 v13, v13, v16
	v_or_b32_e32 v13, v15, v13
	s_mov_b32 s0, 0x3fc90fda
	v_mul_f32_e32 v15, 0x3fc90fda, v13
	v_fma_f32 v16, v13, s0, -v15
	v_fmamk_f32 v13, v13, 0x33a22168, v16
	v_fmac_f32_e32 v13, 0x3fc90fda, v12
	v_lshrrev_b32_e32 v12, 30, v14
	v_add_f32_e32 v13, v15, v13
	v_add_u32_e32 v12, v22, v12
	s_andn2_saveexec_b64 s[0:1], s[14:15]
	s_cbranch_execnz .LBB13_40
	s_branch .LBB13_41
.LBB13_39:
	s_andn2_saveexec_b64 s[0:1], s[14:15]
	s_cbranch_execz .LBB13_41
.LBB13_40:
	s_mov_b32 s2, 0x3f22f983
	v_mul_f32_e64 v12, |v4|, s2
	v_rndne_f32_e32 v13, v12
	s_mov_b32 s2, 0xbfc90fda
	v_cvt_i32_f32_e32 v12, v13
	v_fma_f32 v14, v13, s2, |v4|
	v_fmamk_f32 v14, v13, 0xb3a22168, v14
	v_fmamk_f32 v13, v13, 0xa7c234c4, v14
.LBB13_41:
	s_or_b64 exec, exec, s[0:1]
	v_div_scale_f32 v14, s[0:1], v6, v6, 1.0
	v_rcp_f32_e32 v15, v14
	v_div_scale_f32 v16, vcc, 1.0, v6, 1.0
	v_xor_b32_e32 v5, v5, v4
	v_fma_f32 v17, -v14, v15, 1.0
	v_fmac_f32_e32 v15, v17, v15
	v_mul_f32_e32 v17, v16, v15
	v_fma_f32 v18, -v14, v17, v16
	v_fmac_f32_e32 v17, v18, v15
	v_fma_f32 v14, -v14, v17, v16
	v_div_fmas_f32 v14, v14, v15, v17
	v_div_fixup_f32 v6, v14, v6, 1.0
	v_mul_f32_e32 v14, v6, v6
	v_mov_b32_e32 v15, 0xbe06db67
	v_mul_f32_e32 v17, v11, v11
	v_mov_b32_e32 v18, 0x3c0881c4
	v_fmac_f32_e32 v15, 0, v14
	v_mov_b32_e32 v16, 0x4155b259
	v_fmamk_f32 v19, v17, 0xb94c1982, v18
	v_fmaak_f32 v15, v14, v15, 0xbf205f75
	v_fmac_f32_e32 v16, 0, v14
	v_fmaak_f32 v19, v17, v19, 0xbe2aaa9d
	v_fmaak_f32 v15, v14, v15, 0xbf3172ce
	;; [unrolled: 1-line block ×3, first 2 shown]
	v_mul_f32_e32 v19, v17, v19
	v_fmaak_f32 v15, v14, v15, 0xbe8f3f52
	v_fmaak_f32 v16, v14, v16, 0x41d5e4c5
	v_fmac_f32_e32 v11, v11, v19
	v_mov_b32_e32 v19, 0xbab64f3b
	v_fmaak_f32 v15, v14, v15, 0xbd497b78
	v_fmaak_f32 v16, v14, v16, 0x4112fe41
	v_fmamk_f32 v21, v17, 0x37d75334, v19
	v_fmaak_f32 v15, v14, v15, 0xbb85200e
	v_fmaak_f32 v16, v14, v16, 0x3fbcd65a
	;; [unrolled: 1-line block ×8, first 2 shown]
	v_fma_f32 v17, v17, v21, 1.0
	v_and_b32_e32 v21, 1, v7
	v_lshlrev_b32_e32 v7, 30, v7
	v_fmaak_f32 v16, v14, v16, 0x389e46bd
	v_fmaak_f32 v15, v14, v15, 0xb29020e8
	v_cmp_eq_u32_e32 vcc, 0, v21
	v_and_b32_e32 v7, 0x80000000, v7
	v_fmaak_f32 v16, v14, v16, 0x34f295ce
	v_cndmask_b32_e32 v11, v17, v11, vcc
	v_xor_b32_e32 v5, v5, v7
	v_mul_f32_e32 v7, v14, v15
	v_xor_b32_e32 v5, v5, v11
	v_div_scale_f32 v11, s[0:1], v16, v16, v7
	v_rcp_f32_e32 v15, v11
	s_movk_i32 s2, 0x1f8
	v_mov_b32_e32 v17, 0x7fc00000
	v_cmp_class_f32_e64 s[0:1], v4, s2
	s_mov_b32 s2, 0xf800000
	s_mov_b32 s5, 0x3f106ebb
	v_cndmask_b32_e64 v4, v17, v5, s[0:1]
	v_fma_f32 v5, -v11, v15, 1.0
	v_fmac_f32_e32 v15, v5, v15
	v_div_scale_f32 v5, vcc, v7, v16, v7
	v_mul_f32_e32 v21, v5, v15
	v_fma_f32 v24, -v11, v21, v5
	v_fmac_f32_e32 v21, v24, v15
	v_fma_f32 v5, -v11, v21, v5
	v_div_fmas_f32 v5, v5, v15, v21
	v_mul_f32_e32 v15, 0x4f800000, v3
	v_cmp_gt_f32_e32 vcc, s2, v3
	v_div_fixup_f32 v5, v5, v16, v7
	v_mov_b32_e32 v7, 0x3ca1a92f
	v_cndmask_b32_e32 v3, v3, v15, vcc
	v_sqrt_f32_e32 v15, v3
	v_fmac_f32_e32 v7, 0, v14
	v_mov_b32_e32 v11, 0x4114f160
	v_fmaak_f32 v7, v14, v7, 0x3ec83ea8
	v_add_u32_e32 v16, -1, v15
	v_fma_f32 v21, -v16, v15, v3
	v_cmp_ge_f32_e64 s[2:3], 0, v21
	v_add_u32_e32 v21, 1, v15
	v_fmac_f32_e32 v11, 0, v14
	v_cndmask_b32_e64 v16, v15, v16, s[2:3]
	v_fma_f32 v15, -v21, v15, v3
	v_cmp_lt_f32_e64 s[2:3], 0, v15
	v_fmaak_f32 v7, v14, v7, 0x3f886c1a
	v_fmaak_f32 v11, v14, v11, 0x419eaeae
	v_cndmask_b32_e64 v15, v16, v21, s[2:3]
	v_mul_f32_e32 v16, 0x37800000, v15
	v_cndmask_b32_e32 v15, v15, v16, vcc
	v_mov_b32_e32 v16, 0x260
	v_fmaak_f32 v7, v14, v7, 0x3f706d65
	v_fmaak_f32 v11, v14, v11, 0x417908dc
	v_cmp_class_f32_e32 vcc, v3, v16
	v_fmaak_f32 v7, v14, v7, 0x3eb3f34e
	v_fmaak_f32 v11, v14, v11, 0x40af4271
	v_cndmask_b32_e32 v3, v15, v3, vcc
	v_fmaak_f32 v7, v14, v7, 0x3d81d209
	v_fmaak_f32 v11, v14, v11, 0x3f744c96
	v_div_scale_f32 v15, s[2:3], v3, v3, s5
	v_fmaak_f32 v7, v14, v7, 0x3bbff4d0
	v_fmaak_f32 v11, v14, v11, 0x3db110ef
	v_rcp_f32_e32 v16, v15
	v_fmaak_f32 v7, v14, v7, 0x39944bb3
	v_fmaak_f32 v11, v14, v11, 0x3b873823
	;; [unrolled: 1-line block ×8, first 2 shown]
	v_fma_f32 v14, -v15, v16, 1.0
	v_fmac_f32_e32 v16, v14, v16
	v_div_scale_f32 v14, vcc, s5, v3, s5
	v_mul_f32_e32 v21, v14, v16
	v_fma_f32 v24, -v15, v21, v14
	v_fmac_f32_e32 v21, v24, v16
	v_fma_f32 v14, -v15, v21, v14
	v_div_fmas_f32 v14, v14, v16, v21
	v_div_fixup_f32 v3, v14, v3, s5
	v_mul_f32_e32 v14, v13, v13
	v_mov_b32_e32 v20, 0xbe2aaa9d
	v_fmac_f32_e32 v18, 0xb94c1982, v14
	v_mov_b32_e32 v22, 0x3d2aabf7
	v_fmac_f32_e32 v20, v14, v18
	v_fmac_f32_e32 v19, 0x37d75334, v14
	v_mov_b32_e32 v23, 0xbf000004
	v_mul_f32_e32 v15, v14, v20
	v_fmac_f32_e32 v22, v14, v19
	v_fmac_f32_e32 v13, v13, v15
	;; [unrolled: 1-line block ×3, first 2 shown]
	v_and_b32_e32 v15, 1, v12
	v_mul_f32_e32 v6, v6, v7
	v_fma_f32 v14, v14, v23, 1.0
	v_cmp_eq_u32_e32 vcc, 0, v15
	v_div_scale_f32 v7, s[2:3], v11, v11, v6
	s_nop 0
	v_cndmask_b32_e64 v13, -v13, v14, vcc
	v_rcp_f32_e32 v14, v7
	s_brev_b32 s4, 1
	v_lshlrev_b32_e32 v12, 30, v12
	v_bitop3_b32 v12, v12, v13, s4 bitop3:0x6c
	v_fma_f32 v13, -v7, v14, 1.0
	v_fmac_f32_e32 v14, v13, v14
	v_div_scale_f32 v13, vcc, v6, v11, v6
	v_mul_f32_e32 v15, v13, v14
	v_fma_f32 v16, -v7, v15, v13
	v_fmac_f32_e32 v15, v16, v14
	v_fma_f32 v7, -v7, v15, v13
	v_div_fmas_f32 v7, v7, v14, v15
	v_cndmask_b32_e64 v12, v17, v12, s[0:1]
	v_div_fixup_f32 v6, v7, v11, v6
	v_add_f32_e32 v5, 1.0, v5
	v_mul_f32_e32 v6, v6, v12
	v_fma_f32 v4, v5, v4, -v6
	v_mul_f32_e32 v3, v3, v4
.LBB13_42:
	s_or_b64 exec, exec, s[12:13]
.LBB13_43:
	s_or_b64 exec, exec, s[10:11]
.LBB13_44:
	s_or_b64 exec, exec, s[8:9]
	s_mov_b32 s18, 0x7f800000
	v_cmp_neq_f32_e64 s[0:1], |v8|, s18
	v_mov_b32_e32 v5, 0x7fc00000
	v_mov_b32_e32 v4, 0x7fc00000
	s_and_saveexec_b64 s[8:9], s[0:1]
	s_cbranch_execz .LBB13_66
; %bb.45:
	s_mov_b32 s0, 0x42cfc8b4
	v_cmp_nlt_f32_e32 vcc, s0, v8
	v_mov_b32_e32 v4, 0
	s_and_saveexec_b64 s[10:11], vcc
	s_cbranch_execz .LBB13_65
; %bb.46:
	s_mov_b32 s0, 0xc005c28f
	v_cmp_ngt_f32_e32 vcc, s0, v8
	s_and_saveexec_b64 s[0:1], vcc
	s_xor_b64 s[2:3], exec, s[0:1]
	s_cbranch_execz .LBB13_54
; %bb.47:
	s_mov_b32 s0, 0x4005c28f
	v_cmp_nle_f32_e64 s[4:5], s0, v8
	v_cmp_le_f32_e32 vcc, s0, v8
	v_mov_b32_e32 v4, 0
	s_mov_b64 s[0:1], s[4:5]
	s_and_saveexec_b64 s[12:13], vcc
	s_cbranch_execz .LBB13_49
; %bb.48:
	s_mov_b32 s14, 0xf800000
	v_mul_f32_e32 v4, 0x4f800000, v8
	v_cmp_gt_f32_e32 vcc, s14, v8
	v_add_f32_e32 v7, v8, v8
	s_mov_b32 s15, 0x40400000
	v_cndmask_b32_e32 v4, v8, v4, vcc
	v_sqrt_f32_e32 v6, v4
	s_nop 0
	v_add_u32_e32 v11, -1, v6
	v_fma_f32 v12, -v11, v6, v4
	v_cmp_ge_f32_e64 s[0:1], 0, v12
	v_add_u32_e32 v12, 1, v6
	s_nop 0
	v_cndmask_b32_e64 v11, v6, v11, s[0:1]
	v_fma_f32 v6, -v12, v6, v4
	v_cmp_lt_f32_e64 s[0:1], 0, v6
	s_nop 1
	v_cndmask_b32_e64 v6, v11, v12, s[0:1]
	v_mul_f32_e32 v11, 0x37800000, v6
	v_cndmask_b32_e32 v6, v6, v11, vcc
	v_mov_b32_e32 v11, 0x260
	v_cmp_class_f32_e32 vcc, v4, v11
	s_nop 1
	v_cndmask_b32_e32 v12, v6, v4, vcc
	v_mul_f32_e32 v4, v7, v12
	v_div_scale_f32 v6, s[0:1], s15, s15, v4
	v_rcp_f32_e32 v7, v6
	s_nop 0
	v_fma_f32 v13, -v6, v7, 1.0
	v_fmac_f32_e32 v7, v13, v7
	v_div_scale_f32 v13, vcc, v4, s15, v4
	v_mul_f32_e32 v14, v13, v7
	v_fma_f32 v15, -v6, v14, v13
	v_fmac_f32_e32 v14, v15, v7
	v_fma_f32 v6, -v6, v14, v13
	v_div_fmas_f32 v6, v6, v7, v14
	v_div_fixup_f32 v13, v6, s15, v4
	v_div_scale_f32 v4, s[0:1], v13, v13, 1.0
	v_rcp_f32_e32 v6, v4
	s_mov_b32 s0, 0x3eb16d71
	s_mov_b32 s1, 0x3f114de0
	v_fma_f32 v7, -v4, v6, 1.0
	v_fmac_f32_e32 v6, v7, v6
	v_div_scale_f32 v7, vcc, 1.0, v13, 1.0
	v_mul_f32_e32 v14, v7, v6
	v_fma_f32 v15, -v4, v14, v7
	v_fmac_f32_e32 v14, v15, v6
	v_fma_f32 v4, -v4, v14, v7
	v_div_fmas_f32 v4, v4, v6, v14
	v_div_fixup_f32 v4, v4, v13, 1.0
	v_mul_f32_e32 v6, 0, v4
	v_pk_add_f32 v[6:7], v[6:7], s[0:1] op_sel_hi:[0,1]
	s_mov_b32 s0, 0x41401f1c
	s_mov_b32 s1, 0x416c19a0
	v_pk_fma_f32 v[6:7], v[4:5], v[6:7], s[0:1] op_sel_hi:[0,1,1]
	s_mov_b32 s0, 0x42988f28
	s_mov_b32 s1, 0x42a9071e
	v_pk_fma_f32 v[6:7], v[4:5], v[6:7], s[0:1] op_sel_hi:[0,1,1]
	;; [unrolled: 3-line block ×6, first 2 shown]
	v_pk_fma_f32 v[6:7], v[4:5], v[6:7], 1.0 op_sel_hi:[0,1,0]
	v_div_scale_f32 v4, s[0:1], v7, v7, v6
	v_rcp_f32_e32 v14, v4
	v_cmp_gt_f32_e64 s[0:1], s14, v12
	v_fma_f32 v15, -v4, v14, 1.0
	v_fmac_f32_e32 v14, v15, v14
	v_div_scale_f32 v15, vcc, v6, v7, v6
	v_mul_f32_e32 v16, v15, v14
	v_fma_f32 v17, -v4, v16, v15
	v_fmac_f32_e32 v16, v17, v14
	v_fma_f32 v4, -v4, v16, v15
	v_mul_f32_e32 v15, 0x4f800000, v12
	v_cndmask_b32_e64 v12, v12, v15, s[0:1]
	v_sqrt_f32_e32 v15, v12
	v_div_fmas_f32 v4, v4, v14, v16
	v_div_fixup_f32 v6, v4, v7, v6
	v_add_u32_e32 v4, -1, v15
	v_fma_f32 v7, -v4, v15, v12
	v_cmp_ge_f32_e32 vcc, 0, v7
	v_add_u32_e32 v7, 1, v15
	v_fma_f32 v14, -v7, v15, v12
	v_cndmask_b32_e32 v4, v15, v4, vcc
	v_cmp_lt_f32_e32 vcc, 0, v14
	s_nop 1
	v_cndmask_b32_e32 v4, v4, v7, vcc
	v_mul_f32_e32 v7, 0x37800000, v4
	v_cndmask_b32_e64 v4, v4, v7, s[0:1]
	v_cmp_class_f32_e32 vcc, v12, v11
	s_mov_b32 s0, 0x3fb8aa3b
	s_nop 0
	v_cndmask_b32_e32 v7, v4, v12, vcc
	v_mul_f32_e32 v4, 0x3fb8aa3b, v13
	v_fma_f32 v11, v13, s0, -v4
	v_rndne_f32_e32 v12, v4
	v_fmamk_f32 v11, v13, 0x32a5705f, v11
	v_sub_f32_e32 v4, v4, v12
	v_add_f32_e32 v4, v4, v11
	v_exp_f32_e32 v4, v4
	v_cvt_i32_f32_e32 v11, v12
	s_mov_b32 s0, 0x3f106ebb
	s_mov_b32 s1, 2.0
	v_pk_mul_f32 v[6:7], v[6:7], s[0:1]
	s_mov_b32 s0, 0xc2ce8ed0
	v_ldexp_f32 v4, v4, v11
	v_cmp_ngt_f32_e32 vcc, s0, v13
	s_mov_b32 s0, 0x42b17218
	v_mov_b32_e32 v11, 0x7f800000
	v_cndmask_b32_e32 v4, 0, v4, vcc
	v_cmp_nlt_f32_e32 vcc, s0, v13
	s_nop 1
	v_cndmask_b32_e32 v4, v11, v4, vcc
	v_mul_f32_e32 v4, v7, v4
	v_div_scale_f32 v7, s[0:1], v4, v4, v6
	v_rcp_f32_e32 v11, v7
	s_mov_b32 s0, 0x41052018
	v_fma_f32 v12, -v7, v11, 1.0
	v_fmac_f32_e32 v11, v12, v11
	v_div_scale_f32 v12, vcc, v6, v4, v6
	v_mul_f32_e32 v13, v12, v11
	v_fma_f32 v14, -v7, v13, v12
	v_fmac_f32_e32 v13, v14, v11
	v_fma_f32 v7, -v7, v13, v12
	v_div_fmas_f32 v7, v7, v11, v13
	v_cmp_nlt_f32_e32 vcc, s0, v8
	s_andn2_b64 s[0:1], s[4:5], exec
	s_and_b64 s[14:15], vcc, exec
	v_div_fixup_f32 v4, v7, v4, v6
	s_or_b64 s[0:1], s[0:1], s[14:15]
.LBB13_49:
	s_or_b64 exec, exec, s[12:13]
	s_and_saveexec_b64 s[12:13], s[0:1]
	s_cbranch_execz .LBB13_53
; %bb.50:
	v_mul_f32_e32 v6, v8, v8
	v_mul_f32_e32 v12, v8, v6
	v_mov_b32_e32 v13, v12
	s_mov_b64 s[14:15], 0
	v_mov_b32_e32 v11, 1.0
	v_mov_b32_e32 v6, 1.0
	;; [unrolled: 1-line block ×3, first 2 shown]
	s_brev_b32 s16, 44
	v_mov_b32_e32 v7, v8
	v_mov_b32_e32 v15, v8
.LBB13_51:                              ; =>This Inner Loop Header: Depth=1
	v_pk_mul_f32 v[14:15], v[12:13], v[14:15]
	v_add_f32_e32 v16, 1.0, v11
	v_add_f32_e32 v17, 1.0, v16
	v_div_scale_f32 v18, s[0:1], v16, v16, v14
	v_rcp_f32_e32 v20, v18
	v_div_scale_f32 v21, s[0:1], v17, v17, v15
	v_rcp_f32_e32 v23, v21
	v_fma_f32 v24, -v18, v20, 1.0
	v_div_scale_f32 v19, vcc, v14, v16, v14
	v_fmac_f32_e32 v20, v24, v20
	v_fma_f32 v24, -v21, v23, 1.0
	v_div_scale_f32 v22, s[0:1], v15, v17, v15
	v_mul_f32_e32 v25, v19, v20
	v_fmac_f32_e32 v23, v24, v23
	v_fma_f32 v24, -v18, v25, v19
	v_mul_f32_e32 v26, v22, v23
	v_fmac_f32_e32 v25, v24, v20
	v_fma_f32 v24, -v21, v26, v22
	v_fma_f32 v18, -v18, v25, v19
	v_fmac_f32_e32 v26, v24, v23
	v_div_fmas_f32 v18, v18, v20, v25
	v_fma_f32 v19, -v21, v26, v22
	s_mov_b64 vcc, s[0:1]
	v_div_fixup_f32 v14, v18, v16, v14
	v_div_fmas_f32 v16, v19, v23, v26
	v_add_f32_e32 v11, 1.0, v17
	v_div_fixup_f32 v15, v16, v17, v15
	v_div_scale_f32 v16, s[0:1], v17, v17, v14
	v_div_scale_f32 v19, s[20:21], v11, v11, v15
	v_rcp_f32_e32 v21, v16
	v_rcp_f32_e32 v22, v19
	v_div_scale_f32 v18, s[0:1], v14, v17, v14
	v_fma_f32 v23, -v16, v21, 1.0
	v_fma_f32 v24, -v19, v22, 1.0
	v_div_scale_f32 v20, vcc, v15, v11, v15
	v_fmac_f32_e32 v21, v23, v21
	v_fmac_f32_e32 v22, v24, v22
	v_mul_f32_e32 v23, v18, v21
	v_mul_f32_e32 v24, v20, v22
	v_fma_f32 v25, -v16, v23, v18
	v_fma_f32 v26, -v19, v24, v20
	v_fmac_f32_e32 v23, v25, v21
	v_fmac_f32_e32 v24, v26, v22
	v_fma_f32 v16, -v16, v23, v18
	v_fma_f32 v18, -v19, v24, v20
	v_div_fmas_f32 v18, v18, v22, v24
	s_mov_b64 vcc, s[0:1]
	v_div_fmas_f32 v16, v16, v21, v23
	v_div_fixup_f32 v15, v18, v11, v15
	v_div_fixup_f32 v14, v16, v17, v14
	v_pk_add_f32 v[6:7], v[6:7], v[14:15]
	s_nop 0
	v_div_scale_f32 v16, s[0:1], v6, v6, v14
	v_rcp_f32_e32 v17, v16
	v_div_scale_f32 v18, vcc, v14, v6, v14
	v_fma_f32 v19, -v16, v17, 1.0
	v_fmac_f32_e32 v17, v19, v17
	v_mul_f32_e32 v19, v18, v17
	v_fma_f32 v20, -v16, v19, v18
	v_fmac_f32_e32 v19, v20, v17
	v_fma_f32 v16, -v16, v19, v18
	v_div_fmas_f32 v16, v16, v17, v19
	v_div_fixup_f32 v16, v16, v6, v14
	v_cmp_ngt_f32_e64 s[0:1], |v16|, s16
	s_or_b64 s[14:15], s[0:1], s[14:15]
	s_andn2_b64 exec, exec, s[14:15]
	s_cbranch_execnz .LBB13_51
; %bb.52:
	s_or_b64 exec, exec, s[14:15]
	s_mov_b32 s0, 0x3eb5c63d
	s_mov_b32 s1, 0x3e8483fa
	v_pk_mul_f32 v[6:7], v[6:7], s[0:1]
	s_nop 0
	v_sub_f32_e32 v6, v6, v7
	v_cndmask_b32_e64 v4, v4, v6, s[4:5]
.LBB13_53:
	s_or_b64 exec, exec, s[12:13]
.LBB13_54:
	s_andn2_saveexec_b64 s[12:13], s[2:3]
	s_cbranch_execz .LBB13_64
; %bb.55:
	s_mov_b32 s0, 0x8f800000
	v_mul_f32_e32 v4, 0xcf800000, v8
	v_cmp_lt_f32_e32 vcc, s0, v8
	v_mul_f32_e32 v7, -2.0, v8
	s_mov_b32 s2, 0x40400000
	v_cndmask_b32_e64 v4, -v8, v4, vcc
	v_sqrt_f32_e32 v6, v4
	s_nop 0
	v_add_u32_e32 v8, -1, v6
	v_fma_f32 v11, -v8, v6, v4
	v_cmp_ge_f32_e64 s[0:1], 0, v11
	v_add_u32_e32 v11, 1, v6
	s_nop 0
	v_cndmask_b32_e64 v8, v6, v8, s[0:1]
	v_fma_f32 v6, -v11, v6, v4
	v_cmp_lt_f32_e64 s[0:1], 0, v6
	s_nop 1
	v_cndmask_b32_e64 v6, v8, v11, s[0:1]
	v_mul_f32_e32 v8, 0x37800000, v6
	v_cndmask_b32_e32 v6, v6, v8, vcc
	v_mov_b32_e32 v8, 0x260
	v_cmp_class_f32_e32 vcc, v4, v8
	s_nop 1
	v_cndmask_b32_e32 v4, v6, v4, vcc
	v_mul_f32_e32 v6, v7, v4
	v_div_scale_f32 v7, s[0:1], s2, s2, v6
	v_rcp_f32_e32 v8, v7
	s_brev_b32 s0, 18
	v_fma_f32 v11, -v7, v8, 1.0
	v_fmac_f32_e32 v8, v11, v8
	v_div_scale_f32 v11, vcc, v6, s2, v6
	v_mul_f32_e32 v12, v11, v8
	v_fma_f32 v13, -v7, v12, v11
	v_fmac_f32_e32 v12, v13, v8
	v_fma_f32 v7, -v7, v12, v11
	v_div_fmas_f32 v7, v7, v8, v12
	v_div_fixup_f32 v8, v7, s2, v6
	v_add_f32_e32 v6, 0x3f490fdb, v8
	v_and_b32_e32 v7, 0x7fffffff, v6
	v_cmp_nlt_f32_e64 s[14:15], |v6|, s0
	v_lshrrev_b32_e32 v15, 23, v7
                                        ; implicit-def: $vgpr11
                                        ; implicit-def: $vgpr12
	s_and_saveexec_b64 s[0:1], s[14:15]
	s_xor_b64 s[16:17], exec, s[0:1]
	s_cbranch_execz .LBB13_57
; %bb.56:
	v_add_u32_e32 v11, 0xffffff88, v15
	v_not_b32_e32 v12, 63
	v_cmp_lt_u32_e32 vcc, 63, v11
	s_mov_b32 s4, 0xfe5163ab
	v_mov_b32_e32 v17, 0
	v_cndmask_b32_e32 v12, 0, v12, vcc
	v_add_u32_e32 v11, v12, v11
	v_not_b32_e32 v12, 31
	v_cmp_lt_u32_e64 s[0:1], 31, v11
	s_nop 1
	v_cndmask_b32_e64 v13, 0, v12, s[0:1]
	v_add_u32_e32 v11, v13, v11
	v_cmp_lt_u32_e64 s[2:3], 31, v11
	s_nop 1
	v_cndmask_b32_e64 v12, 0, v12, s[2:3]
	v_add_u32_e32 v11, v12, v11
	v_and_b32_e32 v12, 0x7fffff, v7
	v_or_b32_e32 v14, 0x800000, v12
	v_mad_u64_u32 v[12:13], s[4:5], v14, s4, 0
	v_mov_b32_e32 v16, v13
	s_mov_b32 s4, 0x3c439041
	v_mad_u64_u32 v[18:19], s[4:5], v14, s4, v[16:17]
	v_mov_b32_e32 v16, v19
	s_mov_b32 s4, 0xdb629599
	;; [unrolled: 3-line block ×6, first 2 shown]
	v_mad_u64_u32 v[16:17], s[4:5], v14, s4, v[16:17]
	v_cndmask_b32_e32 v13, v26, v22, vcc
	v_cndmask_b32_e32 v14, v16, v24, vcc
	;; [unrolled: 1-line block ×3, first 2 shown]
	v_cndmask_b32_e64 v16, v14, v13, s[0:1]
	v_cndmask_b32_e64 v14, v17, v14, s[0:1]
	v_cndmask_b32_e32 v17, v24, v20, vcc
	v_cndmask_b32_e64 v13, v13, v17, s[0:1]
	v_cndmask_b32_e64 v14, v14, v16, s[2:3]
	;; [unrolled: 1-line block ×3, first 2 shown]
	v_sub_u32_e32 v19, 32, v11
	v_alignbit_b32 v21, v14, v16, v19
	v_cmp_eq_u32_e64 s[4:5], 0, v11
	v_cndmask_b32_e32 v12, v20, v12, vcc
	s_nop 0
	v_cndmask_b32_e64 v11, v21, v14, s[4:5]
	v_cndmask_b32_e32 v14, v22, v18, vcc
	v_cndmask_b32_e64 v17, v17, v14, s[0:1]
	v_cndmask_b32_e64 v13, v13, v17, s[2:3]
	v_alignbit_b32 v18, v16, v13, v19
	v_cndmask_b32_e64 v12, v14, v12, s[0:1]
	v_cndmask_b32_e64 v16, v18, v16, s[4:5]
	v_bfe_u32 v22, v11, 29, 1
	v_cndmask_b32_e64 v12, v17, v12, s[2:3]
	v_alignbit_b32 v18, v11, v16, 30
	v_sub_u32_e32 v23, 0, v22
	v_alignbit_b32 v14, v13, v12, v19
	v_xor_b32_e32 v18, v18, v23
	v_cndmask_b32_e64 v13, v14, v13, s[4:5]
	v_alignbit_b32 v14, v16, v13, 30
	v_ffbh_u32_e32 v16, v18
	v_min_u32_e32 v16, 32, v16
	v_alignbit_b32 v12, v13, v12, 30
	v_xor_b32_e32 v14, v14, v23
	v_sub_u32_e32 v17, 31, v16
	v_xor_b32_e32 v12, v12, v23
	v_alignbit_b32 v18, v18, v14, v17
	v_alignbit_b32 v12, v14, v12, v17
	;; [unrolled: 1-line block ×3, first 2 shown]
	v_ffbh_u32_e32 v14, v13
	v_min_u32_e32 v14, 32, v14
	v_lshrrev_b32_e32 v21, 29, v11
	v_not_b32_e32 v17, v14
	v_alignbit_b32 v12, v13, v12, v17
	v_lshlrev_b32_e32 v13, 31, v21
	v_or_b32_e32 v17, 0x33000000, v13
	v_add_lshl_u32 v14, v14, v16, 23
	v_lshrrev_b32_e32 v12, 9, v12
	v_sub_u32_e32 v14, v17, v14
	v_or_b32_e32 v13, 0.5, v13
	v_lshlrev_b32_e32 v16, 23, v16
	v_or_b32_e32 v12, v14, v12
	v_lshrrev_b32_e32 v14, 9, v18
	v_sub_u32_e32 v13, v13, v16
	v_or_b32_e32 v13, v14, v13
	s_mov_b32 s0, 0x3fc90fda
	v_mul_f32_e32 v14, 0x3fc90fda, v13
	v_fma_f32 v16, v13, s0, -v14
	v_fmamk_f32 v13, v13, 0x33a22168, v16
	v_fmac_f32_e32 v13, 0x3fc90fda, v12
	v_lshrrev_b32_e32 v11, 30, v11
	v_add_f32_e32 v12, v14, v13
	v_add_u32_e32 v11, v22, v11
	s_andn2_saveexec_b64 s[0:1], s[16:17]
	s_cbranch_execz .LBB13_59
	s_branch .LBB13_58
.LBB13_57:
	s_andn2_saveexec_b64 s[0:1], s[16:17]
	s_cbranch_execz .LBB13_59
.LBB13_58:
	s_mov_b32 s2, 0x3f22f983
	v_mul_f32_e64 v11, |v6|, s2
	v_rndne_f32_e32 v12, v11
	s_mov_b32 s2, 0xbfc90fda
	v_cvt_i32_f32_e32 v11, v12
	v_fma_f32 v13, v12, s2, |v6|
	v_fmamk_f32 v13, v12, 0xb3a22168, v13
	v_fmamk_f32 v12, v12, 0xa7c234c4, v13
.LBB13_59:
	s_or_b64 exec, exec, s[0:1]
                                        ; implicit-def: $vgpr13
                                        ; implicit-def: $vgpr14
	s_and_saveexec_b64 s[0:1], s[14:15]
	s_xor_b64 s[14:15], exec, s[0:1]
	s_cbranch_execz .LBB13_61
; %bb.60:
	v_add_u32_e32 v13, 0xffffff88, v15
	v_not_b32_e32 v14, 63
	v_cmp_lt_u32_e32 vcc, 63, v13
	s_mov_b32 s4, 0xfe5163ab
	v_mov_b32_e32 v17, 0
	v_cndmask_b32_e32 v14, 0, v14, vcc
	v_add_u32_e32 v13, v14, v13
	v_not_b32_e32 v14, 31
	v_cmp_lt_u32_e64 s[0:1], 31, v13
	s_nop 1
	v_cndmask_b32_e64 v15, 0, v14, s[0:1]
	v_add_u32_e32 v13, v15, v13
	v_cmp_lt_u32_e64 s[2:3], 31, v13
	s_nop 1
	v_cndmask_b32_e64 v14, 0, v14, s[2:3]
	v_add_u32_e32 v13, v14, v13
	v_and_b32_e32 v14, 0x7fffff, v7
	v_or_b32_e32 v28, 0x800000, v14
	v_mad_u64_u32 v[14:15], s[4:5], v28, s4, 0
	v_mov_b32_e32 v16, v15
	s_mov_b32 s4, 0x3c439041
	v_mad_u64_u32 v[18:19], s[4:5], v28, s4, v[16:17]
	v_mov_b32_e32 v16, v19
	s_mov_b32 s4, 0xdb629599
	;; [unrolled: 3-line block ×6, first 2 shown]
	v_mad_u64_u32 v[16:17], s[4:5], v28, s4, v[16:17]
	v_cndmask_b32_e32 v15, v26, v22, vcc
	v_cndmask_b32_e32 v16, v16, v24, vcc
	;; [unrolled: 1-line block ×3, first 2 shown]
	v_cndmask_b32_e64 v19, v16, v15, s[0:1]
	v_cndmask_b32_e64 v16, v17, v16, s[0:1]
	v_cndmask_b32_e32 v17, v24, v20, vcc
	v_cndmask_b32_e64 v15, v15, v17, s[0:1]
	v_cndmask_b32_e64 v16, v16, v19, s[2:3]
	;; [unrolled: 1-line block ×3, first 2 shown]
	v_sub_u32_e32 v21, 32, v13
	v_alignbit_b32 v23, v16, v19, v21
	v_cmp_eq_u32_e64 s[4:5], 0, v13
	v_cndmask_b32_e32 v14, v20, v14, vcc
	s_nop 0
	v_cndmask_b32_e64 v13, v23, v16, s[4:5]
	v_cndmask_b32_e32 v16, v22, v18, vcc
	v_cndmask_b32_e64 v17, v17, v16, s[0:1]
	v_cndmask_b32_e64 v15, v15, v17, s[2:3]
	v_alignbit_b32 v18, v19, v15, v21
	v_cndmask_b32_e64 v18, v18, v19, s[4:5]
	v_bfe_u32 v23, v13, 29, 1
	v_cndmask_b32_e64 v14, v16, v14, s[0:1]
	v_alignbit_b32 v19, v13, v18, 30
	v_sub_u32_e32 v24, 0, v23
	v_cndmask_b32_e64 v14, v17, v14, s[2:3]
	v_xor_b32_e32 v19, v19, v24
	v_alignbit_b32 v16, v15, v14, v21
	v_cndmask_b32_e64 v15, v16, v15, s[4:5]
	v_ffbh_u32_e32 v17, v19
	v_alignbit_b32 v16, v18, v15, 30
	v_min_u32_e32 v17, 32, v17
	v_alignbit_b32 v14, v15, v14, 30
	v_xor_b32_e32 v16, v16, v24
	v_sub_u32_e32 v18, 31, v17
	v_xor_b32_e32 v14, v14, v24
	v_alignbit_b32 v19, v19, v16, v18
	v_alignbit_b32 v14, v16, v14, v18
	;; [unrolled: 1-line block ×3, first 2 shown]
	v_ffbh_u32_e32 v16, v15
	v_min_u32_e32 v16, 32, v16
	v_lshrrev_b32_e32 v22, 29, v13
	v_not_b32_e32 v18, v16
	v_alignbit_b32 v14, v15, v14, v18
	v_lshlrev_b32_e32 v15, 31, v22
	v_or_b32_e32 v18, 0x33000000, v15
	v_add_lshl_u32 v16, v16, v17, 23
	v_lshrrev_b32_e32 v14, 9, v14
	v_sub_u32_e32 v16, v18, v16
	v_or_b32_e32 v15, 0.5, v15
	v_lshlrev_b32_e32 v17, 23, v17
	v_or_b32_e32 v14, v16, v14
	v_lshrrev_b32_e32 v16, 9, v19
	v_sub_u32_e32 v15, v15, v17
	v_or_b32_e32 v15, v16, v15
	s_mov_b32 s0, 0x3fc90fda
	v_mul_f32_e32 v16, 0x3fc90fda, v15
	v_fma_f32 v17, v15, s0, -v16
	v_fmamk_f32 v15, v15, 0x33a22168, v17
	v_fmac_f32_e32 v15, 0x3fc90fda, v14
	v_lshrrev_b32_e32 v13, 30, v13
	v_add_f32_e32 v14, v16, v15
	v_add_u32_e32 v13, v23, v13
	s_andn2_saveexec_b64 s[0:1], s[14:15]
	s_cbranch_execnz .LBB13_62
	s_branch .LBB13_63
.LBB13_61:
	s_andn2_saveexec_b64 s[0:1], s[14:15]
	s_cbranch_execz .LBB13_63
.LBB13_62:
	s_mov_b32 s2, 0x3f22f983
	v_mul_f32_e64 v13, |v6|, s2
	v_rndne_f32_e32 v14, v13
	s_mov_b32 s2, 0xbfc90fda
	v_cvt_i32_f32_e32 v13, v14
	v_fma_f32 v15, v14, s2, |v6|
	v_fmamk_f32 v15, v14, 0xb3a22168, v15
	v_fmamk_f32 v14, v14, 0xa7c234c4, v15
.LBB13_63:
	s_or_b64 exec, exec, s[0:1]
	v_div_scale_f32 v15, s[0:1], v8, v8, 1.0
	v_rcp_f32_e32 v16, v15
	v_div_scale_f32 v17, vcc, 1.0, v8, 1.0
	v_xor_b32_e32 v7, v7, v6
	v_fma_f32 v18, -v15, v16, 1.0
	v_fmac_f32_e32 v16, v18, v16
	v_mul_f32_e32 v18, v17, v16
	v_fma_f32 v19, -v15, v18, v17
	v_fmac_f32_e32 v18, v19, v16
	v_fma_f32 v15, -v15, v18, v17
	v_div_fmas_f32 v15, v15, v16, v18
	v_div_fixup_f32 v8, v15, v8, 1.0
	v_mul_f32_e32 v15, v8, v8
	v_mov_b32_e32 v16, 0xbe06db67
	v_mul_f32_e32 v18, v12, v12
	v_mov_b32_e32 v19, 0x3c0881c4
	v_fmac_f32_e32 v16, 0, v15
	v_mov_b32_e32 v17, 0x4155b259
	v_fmamk_f32 v20, v18, 0xb94c1982, v19
	v_fmaak_f32 v16, v15, v16, 0xbf205f75
	v_fmac_f32_e32 v17, 0, v15
	v_fmaak_f32 v20, v18, v20, 0xbe2aaa9d
	v_fmaak_f32 v16, v15, v16, 0xbf3172ce
	;; [unrolled: 1-line block ×3, first 2 shown]
	v_mul_f32_e32 v20, v18, v20
	v_fmaak_f32 v16, v15, v16, 0xbe8f3f52
	v_fmaak_f32 v17, v15, v17, 0x41d5e4c5
	v_fmac_f32_e32 v12, v12, v20
	v_mov_b32_e32 v20, 0xbab64f3b
	v_fmaak_f32 v16, v15, v16, 0xbd497b78
	v_fmaak_f32 v17, v15, v17, 0x4112fe41
	v_fmamk_f32 v22, v18, 0x37d75334, v20
	v_fmaak_f32 v16, v15, v16, 0xbb85200e
	v_fmaak_f32 v17, v15, v17, 0x3fbcd65a
	;; [unrolled: 1-line block ×8, first 2 shown]
	v_fma_f32 v18, v18, v22, 1.0
	v_and_b32_e32 v22, 1, v11
	v_lshlrev_b32_e32 v11, 30, v11
	v_fmaak_f32 v17, v15, v17, 0x389e46bd
	v_fmaak_f32 v16, v15, v16, 0xb29020e8
	v_cmp_eq_u32_e32 vcc, 0, v22
	v_and_b32_e32 v11, 0x80000000, v11
	v_fmaak_f32 v17, v15, v17, 0x34f295ce
	v_cndmask_b32_e32 v12, v18, v12, vcc
	v_xor_b32_e32 v7, v7, v11
	v_mul_f32_e32 v11, v15, v16
	v_xor_b32_e32 v7, v7, v12
	v_div_scale_f32 v12, s[0:1], v17, v17, v11
	v_rcp_f32_e32 v16, v12
	s_movk_i32 s2, 0x1f8
	v_mov_b32_e32 v18, 0x7fc00000
	v_cmp_class_f32_e64 s[0:1], v6, s2
	s_mov_b32 s2, 0xf800000
	s_mov_b32 s5, 0x3f106ebb
	v_cndmask_b32_e64 v6, v18, v7, s[0:1]
	v_fma_f32 v7, -v12, v16, 1.0
	v_fmac_f32_e32 v16, v7, v16
	v_div_scale_f32 v7, vcc, v11, v17, v11
	v_mul_f32_e32 v22, v7, v16
	v_fma_f32 v25, -v12, v22, v7
	v_fmac_f32_e32 v22, v25, v16
	v_fma_f32 v7, -v12, v22, v7
	v_div_fmas_f32 v7, v7, v16, v22
	v_mul_f32_e32 v16, 0x4f800000, v4
	v_cmp_gt_f32_e32 vcc, s2, v4
	v_div_fixup_f32 v7, v7, v17, v11
	v_mov_b32_e32 v11, 0x3ca1a92f
	v_cndmask_b32_e32 v4, v4, v16, vcc
	v_sqrt_f32_e32 v16, v4
	v_fmac_f32_e32 v11, 0, v15
	v_mov_b32_e32 v12, 0x4114f160
	v_fmaak_f32 v11, v15, v11, 0x3ec83ea8
	v_add_u32_e32 v17, -1, v16
	v_fma_f32 v22, -v17, v16, v4
	v_cmp_ge_f32_e64 s[2:3], 0, v22
	v_add_u32_e32 v22, 1, v16
	v_fmac_f32_e32 v12, 0, v15
	v_cndmask_b32_e64 v17, v16, v17, s[2:3]
	v_fma_f32 v16, -v22, v16, v4
	v_cmp_lt_f32_e64 s[2:3], 0, v16
	v_fmaak_f32 v11, v15, v11, 0x3f886c1a
	v_fmaak_f32 v12, v15, v12, 0x419eaeae
	v_cndmask_b32_e64 v16, v17, v22, s[2:3]
	v_mul_f32_e32 v17, 0x37800000, v16
	v_cndmask_b32_e32 v16, v16, v17, vcc
	v_mov_b32_e32 v17, 0x260
	v_fmaak_f32 v11, v15, v11, 0x3f706d65
	v_fmaak_f32 v12, v15, v12, 0x417908dc
	v_cmp_class_f32_e32 vcc, v4, v17
	v_fmaak_f32 v11, v15, v11, 0x3eb3f34e
	v_fmaak_f32 v12, v15, v12, 0x40af4271
	v_cndmask_b32_e32 v4, v16, v4, vcc
	v_fmaak_f32 v11, v15, v11, 0x3d81d209
	v_fmaak_f32 v12, v15, v12, 0x3f744c96
	v_div_scale_f32 v16, s[2:3], v4, v4, s5
	v_fmaak_f32 v11, v15, v11, 0x3bbff4d0
	v_fmaak_f32 v12, v15, v12, 0x3db110ef
	v_rcp_f32_e32 v17, v16
	v_fmaak_f32 v11, v15, v11, 0x39944bb3
	v_fmaak_f32 v12, v15, v12, 0x3b873823
	;; [unrolled: 1-line block ×8, first 2 shown]
	v_fma_f32 v15, -v16, v17, 1.0
	v_fmac_f32_e32 v17, v15, v17
	v_div_scale_f32 v15, vcc, s5, v4, s5
	v_mul_f32_e32 v22, v15, v17
	v_fma_f32 v25, -v16, v22, v15
	v_fmac_f32_e32 v22, v25, v17
	v_fma_f32 v15, -v16, v22, v15
	v_div_fmas_f32 v15, v15, v17, v22
	v_div_fixup_f32 v4, v15, v4, s5
	v_mul_f32_e32 v15, v14, v14
	v_mov_b32_e32 v21, 0xbe2aaa9d
	v_fmac_f32_e32 v19, 0xb94c1982, v15
	v_mov_b32_e32 v23, 0x3d2aabf7
	v_fmac_f32_e32 v21, v15, v19
	v_fmac_f32_e32 v20, 0x37d75334, v15
	v_mov_b32_e32 v24, 0xbf000004
	v_mul_f32_e32 v16, v15, v21
	v_fmac_f32_e32 v23, v15, v20
	v_fmac_f32_e32 v14, v14, v16
	;; [unrolled: 1-line block ×3, first 2 shown]
	v_and_b32_e32 v16, 1, v13
	v_mul_f32_e32 v8, v8, v11
	v_fma_f32 v15, v15, v24, 1.0
	v_cmp_eq_u32_e32 vcc, 0, v16
	v_div_scale_f32 v11, s[2:3], v12, v12, v8
	s_nop 0
	v_cndmask_b32_e64 v14, -v14, v15, vcc
	v_rcp_f32_e32 v15, v11
	s_brev_b32 s4, 1
	v_lshlrev_b32_e32 v13, 30, v13
	v_bitop3_b32 v13, v13, v14, s4 bitop3:0x6c
	v_fma_f32 v14, -v11, v15, 1.0
	v_fmac_f32_e32 v15, v14, v15
	v_div_scale_f32 v14, vcc, v8, v12, v8
	v_mul_f32_e32 v16, v14, v15
	v_fma_f32 v17, -v11, v16, v14
	v_fmac_f32_e32 v16, v17, v15
	v_fma_f32 v11, -v11, v16, v14
	v_div_fmas_f32 v11, v11, v15, v16
	v_cndmask_b32_e64 v13, v18, v13, s[0:1]
	v_div_fixup_f32 v8, v11, v12, v8
	v_add_f32_e32 v7, 1.0, v7
	v_mul_f32_e32 v8, v8, v13
	v_fma_f32 v6, v7, v6, -v8
	v_mul_f32_e32 v4, v4, v6
.LBB13_64:
	s_or_b64 exec, exec, s[12:13]
.LBB13_65:
	s_or_b64 exec, exec, s[10:11]
.LBB13_66:
	s_or_b64 exec, exec, s[8:9]
	v_cmp_neq_f32_e64 s[0:1], |v9|, s18
	s_and_saveexec_b64 s[8:9], s[0:1]
	s_cbranch_execz .LBB13_88
; %bb.67:
	s_mov_b32 s0, 0x42cfc8b4
	v_cmp_nlt_f32_e32 vcc, s0, v9
	v_mov_b32_e32 v5, 0
	s_and_saveexec_b64 s[10:11], vcc
	s_cbranch_execz .LBB13_87
; %bb.68:
	s_mov_b32 s0, 0xc005c28f
	v_cmp_ngt_f32_e32 vcc, s0, v9
	s_and_saveexec_b64 s[0:1], vcc
	s_xor_b64 s[2:3], exec, s[0:1]
	s_cbranch_execz .LBB13_76
; %bb.69:
	s_mov_b32 s0, 0x4005c28f
	v_cmp_nle_f32_e64 s[4:5], s0, v9
	v_cmp_le_f32_e32 vcc, s0, v9
	v_mov_b32_e32 v5, 0
	s_mov_b64 s[0:1], s[4:5]
	s_and_saveexec_b64 s[12:13], vcc
	s_cbranch_execz .LBB13_71
; %bb.70:
	s_mov_b32 s14, 0xf800000
	v_mul_f32_e32 v5, 0x4f800000, v9
	v_cmp_gt_f32_e32 vcc, s14, v9
	v_add_f32_e32 v7, v9, v9
	s_mov_b32 s15, 0x40400000
	v_cndmask_b32_e32 v5, v9, v5, vcc
	v_sqrt_f32_e32 v6, v5
	s_nop 0
	v_add_u32_e32 v8, -1, v6
	v_fma_f32 v11, -v8, v6, v5
	v_cmp_ge_f32_e64 s[0:1], 0, v11
	v_add_u32_e32 v11, 1, v6
	s_nop 0
	v_cndmask_b32_e64 v8, v6, v8, s[0:1]
	v_fma_f32 v6, -v11, v6, v5
	v_cmp_lt_f32_e64 s[0:1], 0, v6
	s_nop 1
	v_cndmask_b32_e64 v6, v8, v11, s[0:1]
	v_mul_f32_e32 v8, 0x37800000, v6
	v_mov_b32_e32 v11, 0x260
	v_cndmask_b32_e32 v6, v6, v8, vcc
	v_cmp_class_f32_e32 vcc, v5, v11
	s_nop 1
	v_cndmask_b32_e32 v5, v6, v5, vcc
	v_mul_f32_e32 v6, v7, v5
	v_div_scale_f32 v7, s[0:1], s15, s15, v6
	v_rcp_f32_e32 v8, v7
	s_nop 0
	v_fma_f32 v12, -v7, v8, 1.0
	v_fmac_f32_e32 v8, v12, v8
	v_div_scale_f32 v12, vcc, v6, s15, v6
	v_mul_f32_e32 v13, v12, v8
	v_fma_f32 v14, -v7, v13, v12
	v_fmac_f32_e32 v13, v14, v8
	v_fma_f32 v7, -v7, v13, v12
	v_div_fmas_f32 v7, v7, v8, v13
	v_div_fixup_f32 v14, v7, s15, v6
	v_div_scale_f32 v6, s[0:1], v14, v14, 1.0
	v_rcp_f32_e32 v7, v6
	s_mov_b32 s0, 0x3eb16d71
	s_mov_b32 s1, 0x3f114de0
	v_fma_f32 v8, -v6, v7, 1.0
	v_fmac_f32_e32 v7, v8, v7
	v_div_scale_f32 v8, vcc, 1.0, v14, 1.0
	v_mul_f32_e32 v12, v8, v7
	v_fma_f32 v13, -v6, v12, v8
	v_fmac_f32_e32 v12, v13, v7
	v_fma_f32 v6, -v6, v12, v8
	v_div_fmas_f32 v6, v6, v7, v12
	v_div_fixup_f32 v6, v6, v14, 1.0
	v_mul_f32_e32 v8, 0, v6
	v_pk_add_f32 v[12:13], v[8:9], s[0:1] op_sel_hi:[0,1]
	s_mov_b32 s0, 0x41401f1c
	s_mov_b32 s1, 0x416c19a0
	v_pk_fma_f32 v[12:13], v[6:7], v[12:13], s[0:1] op_sel_hi:[0,1,1]
	s_mov_b32 s0, 0x42988f28
	s_mov_b32 s1, 0x42a9071e
	v_pk_fma_f32 v[12:13], v[6:7], v[12:13], s[0:1] op_sel_hi:[0,1,1]
	;; [unrolled: 3-line block ×6, first 2 shown]
	v_pk_fma_f32 v[6:7], v[6:7], v[12:13], 1.0 op_sel_hi:[0,1,0]
	v_div_scale_f32 v8, s[0:1], v7, v7, v6
	v_rcp_f32_e32 v12, v8
	v_cmp_gt_f32_e64 s[0:1], s14, v5
	v_fma_f32 v13, -v8, v12, 1.0
	v_fmac_f32_e32 v12, v13, v12
	v_div_scale_f32 v13, vcc, v6, v7, v6
	v_mul_f32_e32 v15, v13, v12
	v_fma_f32 v16, -v8, v15, v13
	v_fmac_f32_e32 v15, v16, v12
	v_fma_f32 v8, -v8, v15, v13
	v_mul_f32_e32 v13, 0x4f800000, v5
	v_cndmask_b32_e64 v5, v5, v13, s[0:1]
	v_sqrt_f32_e32 v13, v5
	v_div_fmas_f32 v8, v8, v12, v15
	v_div_fixup_f32 v6, v8, v7, v6
	v_add_u32_e32 v7, -1, v13
	v_fma_f32 v8, -v7, v13, v5
	v_cmp_ge_f32_e32 vcc, 0, v8
	v_add_u32_e32 v8, 1, v13
	v_fma_f32 v12, -v8, v13, v5
	v_cndmask_b32_e32 v7, v13, v7, vcc
	v_cmp_lt_f32_e32 vcc, 0, v12
	s_nop 1
	v_cndmask_b32_e32 v7, v7, v8, vcc
	v_mul_f32_e32 v8, 0x37800000, v7
	v_cndmask_b32_e64 v7, v7, v8, s[0:1]
	v_cmp_class_f32_e32 vcc, v5, v11
	s_mov_b32 s0, 0x3fb8aa3b
	s_nop 0
	v_cndmask_b32_e32 v7, v7, v5, vcc
	v_mul_f32_e32 v5, 0x3fb8aa3b, v14
	v_fma_f32 v8, v14, s0, -v5
	v_rndne_f32_e32 v11, v5
	v_fmamk_f32 v8, v14, 0x32a5705f, v8
	v_sub_f32_e32 v5, v5, v11
	v_add_f32_e32 v5, v5, v8
	v_exp_f32_e32 v5, v5
	v_cvt_i32_f32_e32 v8, v11
	s_mov_b32 s0, 0x3f106ebb
	s_mov_b32 s1, 2.0
	v_pk_mul_f32 v[6:7], v[6:7], s[0:1]
	s_mov_b32 s0, 0xc2ce8ed0
	v_ldexp_f32 v5, v5, v8
	v_cmp_ngt_f32_e32 vcc, s0, v14
	s_mov_b32 s0, 0x42b17218
	v_mov_b32_e32 v8, 0x7f800000
	v_cndmask_b32_e32 v5, 0, v5, vcc
	v_cmp_nlt_f32_e32 vcc, s0, v14
	s_nop 1
	v_cndmask_b32_e32 v5, v8, v5, vcc
	v_mul_f32_e32 v5, v7, v5
	v_div_scale_f32 v7, s[0:1], v5, v5, v6
	v_rcp_f32_e32 v8, v7
	s_mov_b32 s0, 0x41052018
	v_fma_f32 v11, -v7, v8, 1.0
	v_fmac_f32_e32 v8, v11, v8
	v_div_scale_f32 v11, vcc, v6, v5, v6
	v_mul_f32_e32 v12, v11, v8
	v_fma_f32 v13, -v7, v12, v11
	v_fmac_f32_e32 v12, v13, v8
	v_fma_f32 v7, -v7, v12, v11
	v_div_fmas_f32 v7, v7, v8, v12
	v_cmp_nlt_f32_e32 vcc, s0, v9
	s_andn2_b64 s[0:1], s[4:5], exec
	s_and_b64 s[14:15], vcc, exec
	v_div_fixup_f32 v5, v7, v5, v6
	s_or_b64 s[0:1], s[0:1], s[14:15]
.LBB13_71:
	s_or_b64 exec, exec, s[12:13]
	s_and_saveexec_b64 s[12:13], s[0:1]
	s_cbranch_execz .LBB13_75
; %bb.72:
	v_mul_f32_e32 v6, v9, v9
	v_mul_f32_e32 v6, v9, v6
	v_mov_b32_e32 v7, v6
	s_mov_b64 s[14:15], 0
	v_mov_b32_e32 v11, 1.0
	v_mov_b32_e32 v8, 1.0
	;; [unrolled: 1-line block ×3, first 2 shown]
	s_brev_b32 s16, 44
	v_mov_b32_e32 v13, v9
.LBB13_73:                              ; =>This Inner Loop Header: Depth=1
	v_pk_mul_f32 v[12:13], v[6:7], v[12:13]
	v_add_f32_e32 v14, 1.0, v11
	v_add_f32_e32 v15, 1.0, v14
	v_div_scale_f32 v16, s[0:1], v14, v14, v12
	v_rcp_f32_e32 v18, v16
	v_div_scale_f32 v19, s[0:1], v15, v15, v13
	v_rcp_f32_e32 v21, v19
	v_fma_f32 v22, -v16, v18, 1.0
	v_div_scale_f32 v17, vcc, v12, v14, v12
	v_fmac_f32_e32 v18, v22, v18
	v_fma_f32 v22, -v19, v21, 1.0
	v_div_scale_f32 v20, s[0:1], v13, v15, v13
	v_mul_f32_e32 v23, v17, v18
	v_fmac_f32_e32 v21, v22, v21
	v_fma_f32 v22, -v16, v23, v17
	v_mul_f32_e32 v24, v20, v21
	v_fmac_f32_e32 v23, v22, v18
	v_fma_f32 v22, -v19, v24, v20
	v_fma_f32 v16, -v16, v23, v17
	v_fmac_f32_e32 v24, v22, v21
	v_div_fmas_f32 v16, v16, v18, v23
	v_fma_f32 v17, -v19, v24, v20
	s_mov_b64 vcc, s[0:1]
	v_div_fixup_f32 v12, v16, v14, v12
	v_div_fmas_f32 v14, v17, v21, v24
	v_add_f32_e32 v11, 1.0, v15
	v_div_fixup_f32 v13, v14, v15, v13
	v_div_scale_f32 v14, s[0:1], v15, v15, v12
	v_div_scale_f32 v17, s[18:19], v11, v11, v13
	v_rcp_f32_e32 v19, v14
	v_rcp_f32_e32 v20, v17
	v_div_scale_f32 v16, s[0:1], v12, v15, v12
	v_fma_f32 v21, -v14, v19, 1.0
	v_fma_f32 v22, -v17, v20, 1.0
	v_div_scale_f32 v18, vcc, v13, v11, v13
	v_fmac_f32_e32 v19, v21, v19
	v_fmac_f32_e32 v20, v22, v20
	v_mul_f32_e32 v21, v16, v19
	v_mul_f32_e32 v22, v18, v20
	v_fma_f32 v23, -v14, v21, v16
	v_fma_f32 v24, -v17, v22, v18
	v_fmac_f32_e32 v21, v23, v19
	v_fmac_f32_e32 v22, v24, v20
	v_fma_f32 v14, -v14, v21, v16
	v_fma_f32 v16, -v17, v22, v18
	v_div_fmas_f32 v16, v16, v20, v22
	s_mov_b64 vcc, s[0:1]
	v_div_fmas_f32 v14, v14, v19, v21
	v_div_fixup_f32 v13, v16, v11, v13
	v_div_fixup_f32 v12, v14, v15, v12
	v_pk_add_f32 v[8:9], v[8:9], v[12:13]
	s_nop 0
	v_div_scale_f32 v14, s[0:1], v8, v8, v12
	v_rcp_f32_e32 v15, v14
	v_div_scale_f32 v16, vcc, v12, v8, v12
	v_fma_f32 v17, -v14, v15, 1.0
	v_fmac_f32_e32 v15, v17, v15
	v_mul_f32_e32 v17, v16, v15
	v_fma_f32 v18, -v14, v17, v16
	v_fmac_f32_e32 v17, v18, v15
	v_fma_f32 v14, -v14, v17, v16
	v_div_fmas_f32 v14, v14, v15, v17
	v_div_fixup_f32 v14, v14, v8, v12
	v_cmp_ngt_f32_e64 s[0:1], |v14|, s16
	s_or_b64 s[14:15], s[0:1], s[14:15]
	s_andn2_b64 exec, exec, s[14:15]
	s_cbranch_execnz .LBB13_73
; %bb.74:
	s_or_b64 exec, exec, s[14:15]
	s_mov_b32 s0, 0x3eb5c63d
	s_mov_b32 s1, 0x3e8483fa
	v_pk_mul_f32 v[6:7], v[8:9], s[0:1]
	s_nop 0
	v_sub_f32_e32 v6, v6, v7
	v_cndmask_b32_e64 v5, v5, v6, s[4:5]
.LBB13_75:
	s_or_b64 exec, exec, s[12:13]
                                        ; implicit-def: $vgpr6_vgpr7_vgpr8_vgpr9
.LBB13_76:
	s_andn2_saveexec_b64 s[12:13], s[2:3]
	s_cbranch_execz .LBB13_86
; %bb.77:
	s_mov_b32 s0, 0x8f800000
	v_mul_f32_e32 v5, 0xcf800000, v9
	v_cmp_lt_f32_e32 vcc, s0, v9
	v_mul_f32_e32 v7, -2.0, v9
	s_mov_b32 s2, 0x40400000
	v_cndmask_b32_e64 v5, -v9, v5, vcc
	v_sqrt_f32_e32 v6, v5
	s_nop 0
	v_add_u32_e32 v8, -1, v6
	v_fma_f32 v9, -v8, v6, v5
	v_cmp_ge_f32_e64 s[0:1], 0, v9
	v_add_u32_e32 v9, 1, v6
	s_nop 0
	v_cndmask_b32_e64 v8, v6, v8, s[0:1]
	v_fma_f32 v6, -v9, v6, v5
	v_cmp_lt_f32_e64 s[0:1], 0, v6
	s_nop 1
	v_cndmask_b32_e64 v6, v8, v9, s[0:1]
	v_mul_f32_e32 v8, 0x37800000, v6
	v_cndmask_b32_e32 v6, v6, v8, vcc
	v_mov_b32_e32 v8, 0x260
	v_cmp_class_f32_e32 vcc, v5, v8
	s_nop 1
	v_cndmask_b32_e32 v5, v6, v5, vcc
	v_mul_f32_e32 v6, v7, v5
	v_div_scale_f32 v7, s[0:1], s2, s2, v6
	v_rcp_f32_e32 v8, v7
	s_brev_b32 s0, 18
	v_fma_f32 v9, -v7, v8, 1.0
	v_fmac_f32_e32 v8, v9, v8
	v_div_scale_f32 v9, vcc, v6, s2, v6
	v_mul_f32_e32 v11, v9, v8
	v_fma_f32 v12, -v7, v11, v9
	v_fmac_f32_e32 v11, v12, v8
	v_fma_f32 v7, -v7, v11, v9
	v_div_fmas_f32 v7, v7, v8, v11
	v_div_fixup_f32 v8, v7, s2, v6
	v_add_f32_e32 v6, 0x3f490fdb, v8
	v_and_b32_e32 v7, 0x7fffffff, v6
	v_cmp_nlt_f32_e64 s[14:15], |v6|, s0
	v_lshrrev_b32_e32 v14, 23, v7
                                        ; implicit-def: $vgpr9
                                        ; implicit-def: $vgpr11
	s_and_saveexec_b64 s[0:1], s[14:15]
	s_xor_b64 s[16:17], exec, s[0:1]
	s_cbranch_execz .LBB13_79
; %bb.78:
	v_add_u32_e32 v9, 0xffffff88, v14
	v_not_b32_e32 v11, 63
	v_cmp_lt_u32_e32 vcc, 63, v9
	s_mov_b32 s4, 0xfe5163ab
	v_mov_b32_e32 v17, 0
	v_cndmask_b32_e32 v11, 0, v11, vcc
	v_add_u32_e32 v9, v11, v9
	v_not_b32_e32 v11, 31
	v_cmp_lt_u32_e64 s[0:1], 31, v9
	s_nop 1
	v_cndmask_b32_e64 v12, 0, v11, s[0:1]
	v_add_u32_e32 v9, v12, v9
	v_cmp_lt_u32_e64 s[2:3], 31, v9
	s_nop 1
	v_cndmask_b32_e64 v11, 0, v11, s[2:3]
	v_add_u32_e32 v9, v11, v9
	v_and_b32_e32 v11, 0x7fffff, v7
	v_or_b32_e32 v11, 0x800000, v11
	v_mad_u64_u32 v[12:13], s[4:5], v11, s4, 0
	v_mov_b32_e32 v16, v13
	s_mov_b32 s4, 0x3c439041
	v_mad_u64_u32 v[18:19], s[4:5], v11, s4, v[16:17]
	v_mov_b32_e32 v16, v19
	s_mov_b32 s4, 0xdb629599
	v_mad_u64_u32 v[20:21], s[4:5], v11, s4, v[16:17]
	v_mov_b32_e32 v16, v21
	s_mov_b32 s4, 0xf534ddc0
	v_mad_u64_u32 v[22:23], s[4:5], v11, s4, v[16:17]
	v_mov_b32_e32 v16, v23
	s_mov_b32 s4, 0xfc2757d1
	v_mad_u64_u32 v[24:25], s[4:5], v11, s4, v[16:17]
	v_mov_b32_e32 v16, v25
	s_mov_b32 s4, 0x4e441529
	v_mad_u64_u32 v[26:27], s[4:5], v11, s4, v[16:17]
	v_mov_b32_e32 v16, v27
	s_mov_b32 s4, 0xa2f9836e
	v_mad_u64_u32 v[16:17], s[4:5], v11, s4, v[16:17]
	v_cndmask_b32_e32 v13, v26, v22, vcc
	v_cndmask_b32_e32 v11, v16, v24, vcc
	;; [unrolled: 1-line block ×3, first 2 shown]
	v_cndmask_b32_e64 v15, v11, v13, s[0:1]
	v_cndmask_b32_e64 v11, v16, v11, s[0:1]
	v_cndmask_b32_e32 v16, v24, v20, vcc
	v_cndmask_b32_e64 v13, v13, v16, s[0:1]
	v_cndmask_b32_e64 v11, v11, v15, s[2:3]
	v_cndmask_b32_e64 v15, v15, v13, s[2:3]
	v_sub_u32_e32 v17, 32, v9
	v_alignbit_b32 v19, v11, v15, v17
	v_cmp_eq_u32_e64 s[4:5], 0, v9
	v_cndmask_b32_e32 v12, v20, v12, vcc
	s_nop 0
	v_cndmask_b32_e64 v9, v19, v11, s[4:5]
	v_cndmask_b32_e32 v11, v22, v18, vcc
	v_cndmask_b32_e64 v16, v16, v11, s[0:1]
	v_cndmask_b32_e64 v13, v13, v16, s[2:3]
	v_alignbit_b32 v18, v15, v13, v17
	v_cndmask_b32_e64 v11, v11, v12, s[0:1]
	v_cndmask_b32_e64 v15, v18, v15, s[4:5]
	v_bfe_u32 v21, v9, 29, 1
	v_cndmask_b32_e64 v11, v16, v11, s[2:3]
	v_alignbit_b32 v18, v9, v15, 30
	v_sub_u32_e32 v22, 0, v21
	v_alignbit_b32 v12, v13, v11, v17
	v_xor_b32_e32 v18, v18, v22
	v_cndmask_b32_e64 v12, v12, v13, s[4:5]
	v_alignbit_b32 v13, v15, v12, 30
	v_ffbh_u32_e32 v15, v18
	v_min_u32_e32 v15, 32, v15
	v_alignbit_b32 v11, v12, v11, 30
	v_xor_b32_e32 v13, v13, v22
	v_sub_u32_e32 v16, 31, v15
	v_xor_b32_e32 v11, v11, v22
	v_alignbit_b32 v17, v18, v13, v16
	v_alignbit_b32 v11, v13, v11, v16
	;; [unrolled: 1-line block ×3, first 2 shown]
	v_ffbh_u32_e32 v13, v12
	v_min_u32_e32 v13, 32, v13
	v_lshrrev_b32_e32 v19, 29, v9
	v_not_b32_e32 v16, v13
	v_alignbit_b32 v11, v12, v11, v16
	v_lshlrev_b32_e32 v12, 31, v19
	v_or_b32_e32 v16, 0x33000000, v12
	v_add_lshl_u32 v13, v13, v15, 23
	v_lshrrev_b32_e32 v11, 9, v11
	v_sub_u32_e32 v13, v16, v13
	v_or_b32_e32 v12, 0.5, v12
	v_lshlrev_b32_e32 v15, 23, v15
	v_or_b32_e32 v11, v13, v11
	v_lshrrev_b32_e32 v13, 9, v17
	v_sub_u32_e32 v12, v12, v15
	v_or_b32_e32 v12, v13, v12
	s_mov_b32 s0, 0x3fc90fda
	v_mul_f32_e32 v13, 0x3fc90fda, v12
	v_fma_f32 v15, v12, s0, -v13
	v_fmamk_f32 v12, v12, 0x33a22168, v15
	v_fmac_f32_e32 v12, 0x3fc90fda, v11
	v_lshrrev_b32_e32 v9, 30, v9
	v_add_f32_e32 v11, v13, v12
	v_add_u32_e32 v9, v21, v9
	s_andn2_saveexec_b64 s[0:1], s[16:17]
	s_cbranch_execz .LBB13_81
	s_branch .LBB13_80
.LBB13_79:
	s_andn2_saveexec_b64 s[0:1], s[16:17]
	s_cbranch_execz .LBB13_81
.LBB13_80:
	s_mov_b32 s2, 0x3f22f983
	v_mul_f32_e64 v9, |v6|, s2
	v_rndne_f32_e32 v11, v9
	s_mov_b32 s2, 0xbfc90fda
	v_cvt_i32_f32_e32 v9, v11
	v_fma_f32 v12, v11, s2, |v6|
	v_fmamk_f32 v12, v11, 0xb3a22168, v12
	v_fmamk_f32 v11, v11, 0xa7c234c4, v12
.LBB13_81:
	s_or_b64 exec, exec, s[0:1]
                                        ; implicit-def: $vgpr12
                                        ; implicit-def: $vgpr13
	s_and_saveexec_b64 s[0:1], s[14:15]
	s_xor_b64 s[14:15], exec, s[0:1]
	s_cbranch_execz .LBB13_83
; %bb.82:
	v_add_u32_e32 v12, 0xffffff88, v14
	v_not_b32_e32 v13, 63
	v_cmp_lt_u32_e32 vcc, 63, v12
	s_mov_b32 s4, 0xfe5163ab
	v_mov_b32_e32 v15, 0
	v_cndmask_b32_e32 v13, 0, v13, vcc
	v_add_u32_e32 v12, v13, v12
	v_not_b32_e32 v13, 31
	v_cmp_lt_u32_e64 s[0:1], 31, v12
	s_nop 1
	v_cndmask_b32_e64 v14, 0, v13, s[0:1]
	v_add_u32_e32 v12, v14, v12
	v_cmp_lt_u32_e64 s[2:3], 31, v12
	s_nop 1
	v_cndmask_b32_e64 v13, 0, v13, s[2:3]
	v_add_u32_e32 v26, v13, v12
	v_and_b32_e32 v12, 0x7fffff, v7
	v_or_b32_e32 v27, 0x800000, v12
	v_mad_u64_u32 v[12:13], s[4:5], v27, s4, 0
	v_mov_b32_e32 v14, v13
	s_mov_b32 s4, 0x3c439041
	v_mad_u64_u32 v[16:17], s[4:5], v27, s4, v[14:15]
	v_mov_b32_e32 v14, v17
	s_mov_b32 s4, 0xdb629599
	;; [unrolled: 3-line block ×6, first 2 shown]
	v_mad_u64_u32 v[14:15], s[4:5], v27, s4, v[14:15]
	v_cndmask_b32_e32 v13, v24, v20, vcc
	v_cndmask_b32_e32 v14, v14, v22, vcc
	;; [unrolled: 1-line block ×3, first 2 shown]
	v_cndmask_b32_e64 v17, v14, v13, s[0:1]
	v_cndmask_b32_e64 v14, v15, v14, s[0:1]
	v_cndmask_b32_e32 v15, v22, v18, vcc
	v_cndmask_b32_e64 v13, v13, v15, s[0:1]
	v_cndmask_b32_e32 v16, v20, v16, vcc
	v_cndmask_b32_e64 v14, v14, v17, s[2:3]
	v_cndmask_b32_e64 v17, v17, v13, s[2:3]
	v_sub_u32_e32 v19, 32, v26
	v_cndmask_b32_e64 v15, v15, v16, s[0:1]
	v_alignbit_b32 v21, v14, v17, v19
	v_cmp_eq_u32_e64 s[4:5], 0, v26
	v_cndmask_b32_e64 v13, v13, v15, s[2:3]
	v_alignbit_b32 v20, v17, v13, v19
	v_cndmask_b32_e64 v14, v21, v14, s[4:5]
	v_cndmask_b32_e32 v12, v18, v12, vcc
	v_cndmask_b32_e64 v17, v20, v17, s[4:5]
	v_bfe_u32 v22, v14, 29, 1
	v_cndmask_b32_e64 v12, v16, v12, s[0:1]
	v_alignbit_b32 v20, v14, v17, 30
	v_sub_u32_e32 v23, 0, v22
	v_cndmask_b32_e64 v12, v15, v12, s[2:3]
	v_xor_b32_e32 v20, v20, v23
	v_alignbit_b32 v15, v13, v12, v19
	v_cndmask_b32_e64 v13, v15, v13, s[4:5]
	v_ffbh_u32_e32 v16, v20
	v_alignbit_b32 v15, v17, v13, 30
	v_min_u32_e32 v16, 32, v16
	v_alignbit_b32 v12, v13, v12, 30
	v_xor_b32_e32 v15, v15, v23
	v_sub_u32_e32 v17, 31, v16
	v_xor_b32_e32 v12, v12, v23
	v_alignbit_b32 v18, v20, v15, v17
	v_alignbit_b32 v12, v15, v12, v17
	;; [unrolled: 1-line block ×3, first 2 shown]
	v_ffbh_u32_e32 v15, v13
	v_min_u32_e32 v15, 32, v15
	v_lshrrev_b32_e32 v21, 29, v14
	v_not_b32_e32 v17, v15
	v_alignbit_b32 v12, v13, v12, v17
	v_lshlrev_b32_e32 v13, 31, v21
	v_or_b32_e32 v17, 0x33000000, v13
	v_add_lshl_u32 v15, v15, v16, 23
	v_lshrrev_b32_e32 v12, 9, v12
	v_sub_u32_e32 v15, v17, v15
	v_or_b32_e32 v13, 0.5, v13
	v_lshlrev_b32_e32 v16, 23, v16
	v_or_b32_e32 v12, v15, v12
	v_lshrrev_b32_e32 v15, 9, v18
	v_sub_u32_e32 v13, v13, v16
	v_or_b32_e32 v13, v15, v13
	s_mov_b32 s0, 0x3fc90fda
	v_mul_f32_e32 v15, 0x3fc90fda, v13
	v_fma_f32 v16, v13, s0, -v15
	v_fmamk_f32 v13, v13, 0x33a22168, v16
	v_fmac_f32_e32 v13, 0x3fc90fda, v12
	v_lshrrev_b32_e32 v12, 30, v14
	v_add_f32_e32 v13, v15, v13
	v_add_u32_e32 v12, v22, v12
	s_andn2_saveexec_b64 s[0:1], s[14:15]
	s_cbranch_execnz .LBB13_84
	s_branch .LBB13_85
.LBB13_83:
	s_andn2_saveexec_b64 s[0:1], s[14:15]
	s_cbranch_execz .LBB13_85
.LBB13_84:
	s_mov_b32 s2, 0x3f22f983
	v_mul_f32_e64 v12, |v6|, s2
	v_rndne_f32_e32 v13, v12
	s_mov_b32 s2, 0xbfc90fda
	v_cvt_i32_f32_e32 v12, v13
	v_fma_f32 v14, v13, s2, |v6|
	v_fmamk_f32 v14, v13, 0xb3a22168, v14
	v_fmamk_f32 v13, v13, 0xa7c234c4, v14
.LBB13_85:
	s_or_b64 exec, exec, s[0:1]
	v_div_scale_f32 v14, s[0:1], v8, v8, 1.0
	v_rcp_f32_e32 v15, v14
	v_div_scale_f32 v16, vcc, 1.0, v8, 1.0
	v_xor_b32_e32 v7, v7, v6
	v_fma_f32 v17, -v14, v15, 1.0
	v_fmac_f32_e32 v15, v17, v15
	v_mul_f32_e32 v17, v16, v15
	v_fma_f32 v18, -v14, v17, v16
	v_fmac_f32_e32 v17, v18, v15
	v_fma_f32 v14, -v14, v17, v16
	v_div_fmas_f32 v14, v14, v15, v17
	v_div_fixup_f32 v8, v14, v8, 1.0
	v_mul_f32_e32 v14, v8, v8
	v_mov_b32_e32 v15, 0xbe06db67
	v_mul_f32_e32 v17, v11, v11
	v_mov_b32_e32 v18, 0x3c0881c4
	v_fmac_f32_e32 v15, 0, v14
	v_mov_b32_e32 v16, 0x4155b259
	v_fmamk_f32 v19, v17, 0xb94c1982, v18
	v_fmaak_f32 v15, v14, v15, 0xbf205f75
	v_fmac_f32_e32 v16, 0, v14
	v_fmaak_f32 v19, v17, v19, 0xbe2aaa9d
	v_fmaak_f32 v15, v14, v15, 0xbf3172ce
	;; [unrolled: 1-line block ×3, first 2 shown]
	v_mul_f32_e32 v19, v17, v19
	v_fmaak_f32 v15, v14, v15, 0xbe8f3f52
	v_fmaak_f32 v16, v14, v16, 0x41d5e4c5
	v_fmac_f32_e32 v11, v11, v19
	v_mov_b32_e32 v19, 0xbab64f3b
	v_fmaak_f32 v15, v14, v15, 0xbd497b78
	v_fmaak_f32 v16, v14, v16, 0x4112fe41
	v_fmamk_f32 v21, v17, 0x37d75334, v19
	v_fmaak_f32 v15, v14, v15, 0xbb85200e
	v_fmaak_f32 v16, v14, v16, 0x3fbcd65a
	;; [unrolled: 1-line block ×8, first 2 shown]
	v_fma_f32 v17, v17, v21, 1.0
	v_and_b32_e32 v21, 1, v9
	v_lshlrev_b32_e32 v9, 30, v9
	v_fmaak_f32 v16, v14, v16, 0x389e46bd
	v_fmaak_f32 v15, v14, v15, 0xb29020e8
	v_cmp_eq_u32_e32 vcc, 0, v21
	v_and_b32_e32 v9, 0x80000000, v9
	v_fmaak_f32 v16, v14, v16, 0x34f295ce
	v_cndmask_b32_e32 v11, v17, v11, vcc
	v_xor_b32_e32 v7, v7, v9
	v_mul_f32_e32 v9, v14, v15
	v_xor_b32_e32 v7, v7, v11
	v_div_scale_f32 v11, s[0:1], v16, v16, v9
	v_rcp_f32_e32 v15, v11
	s_movk_i32 s2, 0x1f8
	v_mov_b32_e32 v17, 0x7fc00000
	v_cmp_class_f32_e64 s[0:1], v6, s2
	s_mov_b32 s2, 0xf800000
	s_mov_b32 s5, 0x3f106ebb
	v_cndmask_b32_e64 v6, v17, v7, s[0:1]
	v_fma_f32 v7, -v11, v15, 1.0
	v_fmac_f32_e32 v15, v7, v15
	v_div_scale_f32 v7, vcc, v9, v16, v9
	v_mul_f32_e32 v21, v7, v15
	v_fma_f32 v24, -v11, v21, v7
	v_fmac_f32_e32 v21, v24, v15
	v_fma_f32 v7, -v11, v21, v7
	v_div_fmas_f32 v7, v7, v15, v21
	v_mul_f32_e32 v15, 0x4f800000, v5
	v_cmp_gt_f32_e32 vcc, s2, v5
	v_div_fixup_f32 v7, v7, v16, v9
	v_mov_b32_e32 v9, 0x3ca1a92f
	v_cndmask_b32_e32 v5, v5, v15, vcc
	v_sqrt_f32_e32 v15, v5
	v_fmac_f32_e32 v9, 0, v14
	v_mov_b32_e32 v11, 0x4114f160
	v_fmaak_f32 v9, v14, v9, 0x3ec83ea8
	v_add_u32_e32 v16, -1, v15
	v_fma_f32 v21, -v16, v15, v5
	v_cmp_ge_f32_e64 s[2:3], 0, v21
	v_add_u32_e32 v21, 1, v15
	v_fmac_f32_e32 v11, 0, v14
	v_cndmask_b32_e64 v16, v15, v16, s[2:3]
	v_fma_f32 v15, -v21, v15, v5
	v_cmp_lt_f32_e64 s[2:3], 0, v15
	v_fmaak_f32 v9, v14, v9, 0x3f886c1a
	v_fmaak_f32 v11, v14, v11, 0x419eaeae
	v_cndmask_b32_e64 v15, v16, v21, s[2:3]
	v_mul_f32_e32 v16, 0x37800000, v15
	v_cndmask_b32_e32 v15, v15, v16, vcc
	v_mov_b32_e32 v16, 0x260
	v_fmaak_f32 v9, v14, v9, 0x3f706d65
	v_fmaak_f32 v11, v14, v11, 0x417908dc
	v_cmp_class_f32_e32 vcc, v5, v16
	v_fmaak_f32 v9, v14, v9, 0x3eb3f34e
	v_fmaak_f32 v11, v14, v11, 0x40af4271
	v_cndmask_b32_e32 v5, v15, v5, vcc
	v_fmaak_f32 v9, v14, v9, 0x3d81d209
	v_fmaak_f32 v11, v14, v11, 0x3f744c96
	v_div_scale_f32 v15, s[2:3], v5, v5, s5
	v_fmaak_f32 v9, v14, v9, 0x3bbff4d0
	v_fmaak_f32 v11, v14, v11, 0x3db110ef
	v_rcp_f32_e32 v16, v15
	v_fmaak_f32 v9, v14, v9, 0x39944bb3
	v_fmaak_f32 v11, v14, v11, 0x3b873823
	;; [unrolled: 1-line block ×8, first 2 shown]
	v_fma_f32 v14, -v15, v16, 1.0
	v_fmac_f32_e32 v16, v14, v16
	v_div_scale_f32 v14, vcc, s5, v5, s5
	v_mul_f32_e32 v21, v14, v16
	v_fma_f32 v24, -v15, v21, v14
	v_fmac_f32_e32 v21, v24, v16
	v_fma_f32 v14, -v15, v21, v14
	v_div_fmas_f32 v14, v14, v16, v21
	v_div_fixup_f32 v5, v14, v5, s5
	v_mul_f32_e32 v14, v13, v13
	v_mov_b32_e32 v20, 0xbe2aaa9d
	v_fmac_f32_e32 v18, 0xb94c1982, v14
	v_mov_b32_e32 v22, 0x3d2aabf7
	v_fmac_f32_e32 v20, v14, v18
	v_fmac_f32_e32 v19, 0x37d75334, v14
	v_mov_b32_e32 v23, 0xbf000004
	v_mul_f32_e32 v15, v14, v20
	v_fmac_f32_e32 v22, v14, v19
	v_fmac_f32_e32 v13, v13, v15
	;; [unrolled: 1-line block ×3, first 2 shown]
	v_and_b32_e32 v15, 1, v12
	v_mul_f32_e32 v8, v8, v9
	v_fma_f32 v14, v14, v23, 1.0
	v_cmp_eq_u32_e32 vcc, 0, v15
	v_div_scale_f32 v9, s[2:3], v11, v11, v8
	s_nop 0
	v_cndmask_b32_e64 v13, -v13, v14, vcc
	v_rcp_f32_e32 v14, v9
	s_brev_b32 s4, 1
	v_lshlrev_b32_e32 v12, 30, v12
	v_bitop3_b32 v12, v12, v13, s4 bitop3:0x6c
	v_fma_f32 v13, -v9, v14, 1.0
	v_fmac_f32_e32 v14, v13, v14
	v_div_scale_f32 v13, vcc, v8, v11, v8
	v_mul_f32_e32 v15, v13, v14
	v_fma_f32 v16, -v9, v15, v13
	v_fmac_f32_e32 v15, v16, v14
	v_fma_f32 v9, -v9, v15, v13
	v_div_fmas_f32 v9, v9, v14, v15
	v_cndmask_b32_e64 v12, v17, v12, s[0:1]
	v_div_fixup_f32 v8, v9, v11, v8
	v_add_f32_e32 v7, 1.0, v7
	v_mul_f32_e32 v8, v8, v12
	v_fma_f32 v6, v7, v6, -v8
	v_mul_f32_e32 v5, v5, v6
.LBB13_86:
	s_or_b64 exec, exec, s[12:13]
.LBB13_87:
	s_or_b64 exec, exec, s[10:11]
.LBB13_88:
	s_or_b64 exec, exec, s[8:9]
	v_lshl_add_u64 v[0:1], s[6:7], 2, v[0:1]
	v_mov_b32_e32 v11, 0
	v_lshl_add_u64 v[0:1], v[0:1], 0, v[10:11]
	flat_store_dwordx4 v[0:1], v[2:5]
	s_waitcnt vmcnt(0) lgkmcnt(0)
	s_setpc_b64 s[30:31]
.Lfunc_end13:
	.size	_ZN2at6native25elementwise_kernel_helperILb0EZZZNS0_12_GLOBAL__N_119airy_ai_kernel_cudaERNS_18TensorIteratorBaseEENKUlvE_clEvENKUlvE0_clEvEUlfE_NS0_6memory8policies10vectorizedILi4ESt5arrayIPcLm2EELi4EEEEEvT0_T1_, .Lfunc_end13-_ZN2at6native25elementwise_kernel_helperILb0EZZZNS0_12_GLOBAL__N_119airy_ai_kernel_cudaERNS_18TensorIteratorBaseEENKUlvE_clEvENKUlvE0_clEvEUlfE_NS0_6memory8policies10vectorizedILi4ESt5arrayIPcLm2EELi4EEEEEvT0_T1_
                                        ; -- End function
	.set .L_ZN2at6native25elementwise_kernel_helperILb0EZZZNS0_12_GLOBAL__N_119airy_ai_kernel_cudaERNS_18TensorIteratorBaseEENKUlvE_clEvENKUlvE0_clEvEUlfE_NS0_6memory8policies10vectorizedILi4ESt5arrayIPcLm2EELi4EEEEEvT0_T1_.num_vgpr, 32
	.set .L_ZN2at6native25elementwise_kernel_helperILb0EZZZNS0_12_GLOBAL__N_119airy_ai_kernel_cudaERNS_18TensorIteratorBaseEENKUlvE_clEvENKUlvE0_clEvEUlfE_NS0_6memory8policies10vectorizedILi4ESt5arrayIPcLm2EELi4EEEEEvT0_T1_.num_agpr, 0
	.set .L_ZN2at6native25elementwise_kernel_helperILb0EZZZNS0_12_GLOBAL__N_119airy_ai_kernel_cudaERNS_18TensorIteratorBaseEENKUlvE_clEvENKUlvE0_clEvEUlfE_NS0_6memory8policies10vectorizedILi4ESt5arrayIPcLm2EELi4EEEEEvT0_T1_.numbered_sgpr, 32
	.set .L_ZN2at6native25elementwise_kernel_helperILb0EZZZNS0_12_GLOBAL__N_119airy_ai_kernel_cudaERNS_18TensorIteratorBaseEENKUlvE_clEvENKUlvE0_clEvEUlfE_NS0_6memory8policies10vectorizedILi4ESt5arrayIPcLm2EELi4EEEEEvT0_T1_.num_named_barrier, 0
	.set .L_ZN2at6native25elementwise_kernel_helperILb0EZZZNS0_12_GLOBAL__N_119airy_ai_kernel_cudaERNS_18TensorIteratorBaseEENKUlvE_clEvENKUlvE0_clEvEUlfE_NS0_6memory8policies10vectorizedILi4ESt5arrayIPcLm2EELi4EEEEEvT0_T1_.private_seg_size, 0
	.set .L_ZN2at6native25elementwise_kernel_helperILb0EZZZNS0_12_GLOBAL__N_119airy_ai_kernel_cudaERNS_18TensorIteratorBaseEENKUlvE_clEvENKUlvE0_clEvEUlfE_NS0_6memory8policies10vectorizedILi4ESt5arrayIPcLm2EELi4EEEEEvT0_T1_.uses_vcc, 1
	.set .L_ZN2at6native25elementwise_kernel_helperILb0EZZZNS0_12_GLOBAL__N_119airy_ai_kernel_cudaERNS_18TensorIteratorBaseEENKUlvE_clEvENKUlvE0_clEvEUlfE_NS0_6memory8policies10vectorizedILi4ESt5arrayIPcLm2EELi4EEEEEvT0_T1_.uses_flat_scratch, 0
	.set .L_ZN2at6native25elementwise_kernel_helperILb0EZZZNS0_12_GLOBAL__N_119airy_ai_kernel_cudaERNS_18TensorIteratorBaseEENKUlvE_clEvENKUlvE0_clEvEUlfE_NS0_6memory8policies10vectorizedILi4ESt5arrayIPcLm2EELi4EEEEEvT0_T1_.has_dyn_sized_stack, 0
	.set .L_ZN2at6native25elementwise_kernel_helperILb0EZZZNS0_12_GLOBAL__N_119airy_ai_kernel_cudaERNS_18TensorIteratorBaseEENKUlvE_clEvENKUlvE0_clEvEUlfE_NS0_6memory8policies10vectorizedILi4ESt5arrayIPcLm2EELi4EEEEEvT0_T1_.has_recursion, 0
	.set .L_ZN2at6native25elementwise_kernel_helperILb0EZZZNS0_12_GLOBAL__N_119airy_ai_kernel_cudaERNS_18TensorIteratorBaseEENKUlvE_clEvENKUlvE0_clEvEUlfE_NS0_6memory8policies10vectorizedILi4ESt5arrayIPcLm2EELi4EEEEEvT0_T1_.has_indirect_call, 0
	.section	.AMDGPU.csdata,"",@progbits
; Function info:
; codeLenInByte = 16832
; TotalNumSgprs: 38
; NumVgprs: 32
; NumAgprs: 0
; TotalNumVgprs: 32
; ScratchSize: 0
; MemoryBound: 0
	.section	.text._ZN2at6native29vectorized_elementwise_kernelILi16EZZZNS0_12_GLOBAL__N_119airy_ai_kernel_cudaERNS_18TensorIteratorBaseEENKUlvE_clEvENKUlvE0_clEvEUlfE_St5arrayIPcLm2EEEEviT0_T1_,"axG",@progbits,_ZN2at6native29vectorized_elementwise_kernelILi16EZZZNS0_12_GLOBAL__N_119airy_ai_kernel_cudaERNS_18TensorIteratorBaseEENKUlvE_clEvENKUlvE0_clEvEUlfE_St5arrayIPcLm2EEEEviT0_T1_,comdat
	.globl	_ZN2at6native29vectorized_elementwise_kernelILi16EZZZNS0_12_GLOBAL__N_119airy_ai_kernel_cudaERNS_18TensorIteratorBaseEENKUlvE_clEvENKUlvE0_clEvEUlfE_St5arrayIPcLm2EEEEviT0_T1_ ; -- Begin function _ZN2at6native29vectorized_elementwise_kernelILi16EZZZNS0_12_GLOBAL__N_119airy_ai_kernel_cudaERNS_18TensorIteratorBaseEENKUlvE_clEvENKUlvE0_clEvEUlfE_St5arrayIPcLm2EEEEviT0_T1_
	.p2align	8
	.type	_ZN2at6native29vectorized_elementwise_kernelILi16EZZZNS0_12_GLOBAL__N_119airy_ai_kernel_cudaERNS_18TensorIteratorBaseEENKUlvE_clEvENKUlvE0_clEvEUlfE_St5arrayIPcLm2EEEEviT0_T1_,@function
_ZN2at6native29vectorized_elementwise_kernelILi16EZZZNS0_12_GLOBAL__N_119airy_ai_kernel_cudaERNS_18TensorIteratorBaseEENKUlvE_clEvENKUlvE0_clEvEUlfE_St5arrayIPcLm2EEEEviT0_T1_: ; @_ZN2at6native29vectorized_elementwise_kernelILi16EZZZNS0_12_GLOBAL__N_119airy_ai_kernel_cudaERNS_18TensorIteratorBaseEENKUlvE_clEvENKUlvE0_clEvEUlfE_St5arrayIPcLm2EEEEviT0_T1_
; %bb.0:
	s_mov_b32 s22, s2
	s_load_dword s2, s[0:1], 0x0
	s_load_dwordx4 s[24:27], s[0:1], 0x8
	s_lshl_b32 s0, s22, 10
	v_mov_b32_e32 v31, v0
	s_mov_b32 s32, 0
	s_waitcnt lgkmcnt(0)
	s_sub_i32 s23, s2, s0
	s_cmpk_gt_i32 s23, 0x3ff
	s_mov_b64 s[0:1], -1
	s_cbranch_scc1 .LBB14_3
; %bb.1:
	s_andn2_b64 vcc, exec, s[0:1]
	s_cbranch_vccz .LBB14_4
.LBB14_2:
	s_endpgm
.LBB14_3:
	s_getpc_b64 s[0:1]
	s_add_u32 s0, s0, _ZN2at6native25elementwise_kernel_helperILb0EZZZNS0_12_GLOBAL__N_119airy_ai_kernel_cudaERNS_18TensorIteratorBaseEENKUlvE_clEvENKUlvE0_clEvEUlfE_NS0_6memory8policies10vectorizedILi4ESt5arrayIPcLm2EELi4EEEEEvT0_T1_@rel32@lo+4
	s_addc_u32 s1, s1, _ZN2at6native25elementwise_kernel_helperILb0EZZZNS0_12_GLOBAL__N_119airy_ai_kernel_cudaERNS_18TensorIteratorBaseEENKUlvE_clEvENKUlvE0_clEvEUlfE_NS0_6memory8policies10vectorizedILi4ESt5arrayIPcLm2EELi4EEEEEvT0_T1_@rel32@hi+12
	s_mov_b32 s12, s22
	v_mov_b32_e32 v0, s24
	v_mov_b32_e32 v1, s25
	;; [unrolled: 1-line block ×4, first 2 shown]
	s_swappc_b64 s[30:31], s[0:1]
	s_cbranch_execnz .LBB14_2
.LBB14_4:
	s_getpc_b64 s[0:1]
	s_add_u32 s0, s0, _ZN2at6native25elementwise_kernel_helperILb0EZZZNS0_12_GLOBAL__N_119airy_ai_kernel_cudaERNS_18TensorIteratorBaseEENKUlvE_clEvENKUlvE0_clEvEUlfE_NS0_6memory8policies11unroll_baseILi256ESt5arrayIPcLm2EE23TrivialOffsetCalculatorILi1EjESF_NS8_15LoadWithoutCastENS8_16StoreWithoutCastELi4ELi1EEEEEvT0_T1_@rel32@lo+4
	s_addc_u32 s1, s1, _ZN2at6native25elementwise_kernel_helperILb0EZZZNS0_12_GLOBAL__N_119airy_ai_kernel_cudaERNS_18TensorIteratorBaseEENKUlvE_clEvENKUlvE0_clEvEUlfE_NS0_6memory8policies11unroll_baseILi256ESt5arrayIPcLm2EE23TrivialOffsetCalculatorILi1EjESF_NS8_15LoadWithoutCastENS8_16StoreWithoutCastELi4ELi1EEEEEvT0_T1_@rel32@hi+12
	s_mov_b32 s12, s22
	v_mov_b32_e32 v0, s24
	v_mov_b32_e32 v1, s25
	;; [unrolled: 1-line block ×5, first 2 shown]
	s_swappc_b64 s[30:31], s[0:1]
	s_endpgm
	.section	.rodata,"a",@progbits
	.p2align	6, 0x0
	.amdhsa_kernel _ZN2at6native29vectorized_elementwise_kernelILi16EZZZNS0_12_GLOBAL__N_119airy_ai_kernel_cudaERNS_18TensorIteratorBaseEENKUlvE_clEvENKUlvE0_clEvEUlfE_St5arrayIPcLm2EEEEviT0_T1_
		.amdhsa_group_segment_fixed_size 0
		.amdhsa_private_segment_fixed_size 0
		.amdhsa_kernarg_size 24
		.amdhsa_user_sgpr_count 2
		.amdhsa_user_sgpr_dispatch_ptr 0
		.amdhsa_user_sgpr_queue_ptr 0
		.amdhsa_user_sgpr_kernarg_segment_ptr 1
		.amdhsa_user_sgpr_dispatch_id 0
		.amdhsa_user_sgpr_kernarg_preload_length 0
		.amdhsa_user_sgpr_kernarg_preload_offset 0
		.amdhsa_user_sgpr_private_segment_size 0
		.amdhsa_uses_dynamic_stack 0
		.amdhsa_enable_private_segment 0
		.amdhsa_system_sgpr_workgroup_id_x 1
		.amdhsa_system_sgpr_workgroup_id_y 0
		.amdhsa_system_sgpr_workgroup_id_z 0
		.amdhsa_system_sgpr_workgroup_info 0
		.amdhsa_system_vgpr_workitem_id 0
		.amdhsa_next_free_vgpr 33
		.amdhsa_next_free_sgpr 33
		.amdhsa_accum_offset 36
		.amdhsa_reserve_vcc 1
		.amdhsa_float_round_mode_32 0
		.amdhsa_float_round_mode_16_64 0
		.amdhsa_float_denorm_mode_32 3
		.amdhsa_float_denorm_mode_16_64 3
		.amdhsa_dx10_clamp 1
		.amdhsa_ieee_mode 1
		.amdhsa_fp16_overflow 0
		.amdhsa_tg_split 0
		.amdhsa_exception_fp_ieee_invalid_op 0
		.amdhsa_exception_fp_denorm_src 0
		.amdhsa_exception_fp_ieee_div_zero 0
		.amdhsa_exception_fp_ieee_overflow 0
		.amdhsa_exception_fp_ieee_underflow 0
		.amdhsa_exception_fp_ieee_inexact 0
		.amdhsa_exception_int_div_zero 0
	.end_amdhsa_kernel
	.section	.text._ZN2at6native29vectorized_elementwise_kernelILi16EZZZNS0_12_GLOBAL__N_119airy_ai_kernel_cudaERNS_18TensorIteratorBaseEENKUlvE_clEvENKUlvE0_clEvEUlfE_St5arrayIPcLm2EEEEviT0_T1_,"axG",@progbits,_ZN2at6native29vectorized_elementwise_kernelILi16EZZZNS0_12_GLOBAL__N_119airy_ai_kernel_cudaERNS_18TensorIteratorBaseEENKUlvE_clEvENKUlvE0_clEvEUlfE_St5arrayIPcLm2EEEEviT0_T1_,comdat
.Lfunc_end14:
	.size	_ZN2at6native29vectorized_elementwise_kernelILi16EZZZNS0_12_GLOBAL__N_119airy_ai_kernel_cudaERNS_18TensorIteratorBaseEENKUlvE_clEvENKUlvE0_clEvEUlfE_St5arrayIPcLm2EEEEviT0_T1_, .Lfunc_end14-_ZN2at6native29vectorized_elementwise_kernelILi16EZZZNS0_12_GLOBAL__N_119airy_ai_kernel_cudaERNS_18TensorIteratorBaseEENKUlvE_clEvENKUlvE0_clEvEUlfE_St5arrayIPcLm2EEEEviT0_T1_
                                        ; -- End function
	.set _ZN2at6native29vectorized_elementwise_kernelILi16EZZZNS0_12_GLOBAL__N_119airy_ai_kernel_cudaERNS_18TensorIteratorBaseEENKUlvE_clEvENKUlvE0_clEvEUlfE_St5arrayIPcLm2EEEEviT0_T1_.num_vgpr, max(32, .L_ZN2at6native25elementwise_kernel_helperILb0EZZZNS0_12_GLOBAL__N_119airy_ai_kernel_cudaERNS_18TensorIteratorBaseEENKUlvE_clEvENKUlvE0_clEvEUlfE_NS0_6memory8policies10vectorizedILi4ESt5arrayIPcLm2EELi4EEEEEvT0_T1_.num_vgpr, .L_ZN2at6native25elementwise_kernel_helperILb0EZZZNS0_12_GLOBAL__N_119airy_ai_kernel_cudaERNS_18TensorIteratorBaseEENKUlvE_clEvENKUlvE0_clEvEUlfE_NS0_6memory8policies11unroll_baseILi256ESt5arrayIPcLm2EE23TrivialOffsetCalculatorILi1EjESF_NS8_15LoadWithoutCastENS8_16StoreWithoutCastELi4ELi1EEEEEvT0_T1_.num_vgpr)
	.set _ZN2at6native29vectorized_elementwise_kernelILi16EZZZNS0_12_GLOBAL__N_119airy_ai_kernel_cudaERNS_18TensorIteratorBaseEENKUlvE_clEvENKUlvE0_clEvEUlfE_St5arrayIPcLm2EEEEviT0_T1_.num_agpr, max(0, .L_ZN2at6native25elementwise_kernel_helperILb0EZZZNS0_12_GLOBAL__N_119airy_ai_kernel_cudaERNS_18TensorIteratorBaseEENKUlvE_clEvENKUlvE0_clEvEUlfE_NS0_6memory8policies10vectorizedILi4ESt5arrayIPcLm2EELi4EEEEEvT0_T1_.num_agpr, .L_ZN2at6native25elementwise_kernel_helperILb0EZZZNS0_12_GLOBAL__N_119airy_ai_kernel_cudaERNS_18TensorIteratorBaseEENKUlvE_clEvENKUlvE0_clEvEUlfE_NS0_6memory8policies11unroll_baseILi256ESt5arrayIPcLm2EE23TrivialOffsetCalculatorILi1EjESF_NS8_15LoadWithoutCastENS8_16StoreWithoutCastELi4ELi1EEEEEvT0_T1_.num_agpr)
	.set _ZN2at6native29vectorized_elementwise_kernelILi16EZZZNS0_12_GLOBAL__N_119airy_ai_kernel_cudaERNS_18TensorIteratorBaseEENKUlvE_clEvENKUlvE0_clEvEUlfE_St5arrayIPcLm2EEEEviT0_T1_.numbered_sgpr, max(33, .L_ZN2at6native25elementwise_kernel_helperILb0EZZZNS0_12_GLOBAL__N_119airy_ai_kernel_cudaERNS_18TensorIteratorBaseEENKUlvE_clEvENKUlvE0_clEvEUlfE_NS0_6memory8policies10vectorizedILi4ESt5arrayIPcLm2EELi4EEEEEvT0_T1_.numbered_sgpr, .L_ZN2at6native25elementwise_kernel_helperILb0EZZZNS0_12_GLOBAL__N_119airy_ai_kernel_cudaERNS_18TensorIteratorBaseEENKUlvE_clEvENKUlvE0_clEvEUlfE_NS0_6memory8policies11unroll_baseILi256ESt5arrayIPcLm2EE23TrivialOffsetCalculatorILi1EjESF_NS8_15LoadWithoutCastENS8_16StoreWithoutCastELi4ELi1EEEEEvT0_T1_.numbered_sgpr)
	.set _ZN2at6native29vectorized_elementwise_kernelILi16EZZZNS0_12_GLOBAL__N_119airy_ai_kernel_cudaERNS_18TensorIteratorBaseEENKUlvE_clEvENKUlvE0_clEvEUlfE_St5arrayIPcLm2EEEEviT0_T1_.num_named_barrier, max(0, .L_ZN2at6native25elementwise_kernel_helperILb0EZZZNS0_12_GLOBAL__N_119airy_ai_kernel_cudaERNS_18TensorIteratorBaseEENKUlvE_clEvENKUlvE0_clEvEUlfE_NS0_6memory8policies10vectorizedILi4ESt5arrayIPcLm2EELi4EEEEEvT0_T1_.num_named_barrier, .L_ZN2at6native25elementwise_kernel_helperILb0EZZZNS0_12_GLOBAL__N_119airy_ai_kernel_cudaERNS_18TensorIteratorBaseEENKUlvE_clEvENKUlvE0_clEvEUlfE_NS0_6memory8policies11unroll_baseILi256ESt5arrayIPcLm2EE23TrivialOffsetCalculatorILi1EjESF_NS8_15LoadWithoutCastENS8_16StoreWithoutCastELi4ELi1EEEEEvT0_T1_.num_named_barrier)
	.set _ZN2at6native29vectorized_elementwise_kernelILi16EZZZNS0_12_GLOBAL__N_119airy_ai_kernel_cudaERNS_18TensorIteratorBaseEENKUlvE_clEvENKUlvE0_clEvEUlfE_St5arrayIPcLm2EEEEviT0_T1_.private_seg_size, 0+max(.L_ZN2at6native25elementwise_kernel_helperILb0EZZZNS0_12_GLOBAL__N_119airy_ai_kernel_cudaERNS_18TensorIteratorBaseEENKUlvE_clEvENKUlvE0_clEvEUlfE_NS0_6memory8policies10vectorizedILi4ESt5arrayIPcLm2EELi4EEEEEvT0_T1_.private_seg_size, .L_ZN2at6native25elementwise_kernel_helperILb0EZZZNS0_12_GLOBAL__N_119airy_ai_kernel_cudaERNS_18TensorIteratorBaseEENKUlvE_clEvENKUlvE0_clEvEUlfE_NS0_6memory8policies11unroll_baseILi256ESt5arrayIPcLm2EE23TrivialOffsetCalculatorILi1EjESF_NS8_15LoadWithoutCastENS8_16StoreWithoutCastELi4ELi1EEEEEvT0_T1_.private_seg_size)
	.set _ZN2at6native29vectorized_elementwise_kernelILi16EZZZNS0_12_GLOBAL__N_119airy_ai_kernel_cudaERNS_18TensorIteratorBaseEENKUlvE_clEvENKUlvE0_clEvEUlfE_St5arrayIPcLm2EEEEviT0_T1_.uses_vcc, or(1, .L_ZN2at6native25elementwise_kernel_helperILb0EZZZNS0_12_GLOBAL__N_119airy_ai_kernel_cudaERNS_18TensorIteratorBaseEENKUlvE_clEvENKUlvE0_clEvEUlfE_NS0_6memory8policies10vectorizedILi4ESt5arrayIPcLm2EELi4EEEEEvT0_T1_.uses_vcc, .L_ZN2at6native25elementwise_kernel_helperILb0EZZZNS0_12_GLOBAL__N_119airy_ai_kernel_cudaERNS_18TensorIteratorBaseEENKUlvE_clEvENKUlvE0_clEvEUlfE_NS0_6memory8policies11unroll_baseILi256ESt5arrayIPcLm2EE23TrivialOffsetCalculatorILi1EjESF_NS8_15LoadWithoutCastENS8_16StoreWithoutCastELi4ELi1EEEEEvT0_T1_.uses_vcc)
	.set _ZN2at6native29vectorized_elementwise_kernelILi16EZZZNS0_12_GLOBAL__N_119airy_ai_kernel_cudaERNS_18TensorIteratorBaseEENKUlvE_clEvENKUlvE0_clEvEUlfE_St5arrayIPcLm2EEEEviT0_T1_.uses_flat_scratch, or(0, .L_ZN2at6native25elementwise_kernel_helperILb0EZZZNS0_12_GLOBAL__N_119airy_ai_kernel_cudaERNS_18TensorIteratorBaseEENKUlvE_clEvENKUlvE0_clEvEUlfE_NS0_6memory8policies10vectorizedILi4ESt5arrayIPcLm2EELi4EEEEEvT0_T1_.uses_flat_scratch, .L_ZN2at6native25elementwise_kernel_helperILb0EZZZNS0_12_GLOBAL__N_119airy_ai_kernel_cudaERNS_18TensorIteratorBaseEENKUlvE_clEvENKUlvE0_clEvEUlfE_NS0_6memory8policies11unroll_baseILi256ESt5arrayIPcLm2EE23TrivialOffsetCalculatorILi1EjESF_NS8_15LoadWithoutCastENS8_16StoreWithoutCastELi4ELi1EEEEEvT0_T1_.uses_flat_scratch)
	.set _ZN2at6native29vectorized_elementwise_kernelILi16EZZZNS0_12_GLOBAL__N_119airy_ai_kernel_cudaERNS_18TensorIteratorBaseEENKUlvE_clEvENKUlvE0_clEvEUlfE_St5arrayIPcLm2EEEEviT0_T1_.has_dyn_sized_stack, or(0, .L_ZN2at6native25elementwise_kernel_helperILb0EZZZNS0_12_GLOBAL__N_119airy_ai_kernel_cudaERNS_18TensorIteratorBaseEENKUlvE_clEvENKUlvE0_clEvEUlfE_NS0_6memory8policies10vectorizedILi4ESt5arrayIPcLm2EELi4EEEEEvT0_T1_.has_dyn_sized_stack, .L_ZN2at6native25elementwise_kernel_helperILb0EZZZNS0_12_GLOBAL__N_119airy_ai_kernel_cudaERNS_18TensorIteratorBaseEENKUlvE_clEvENKUlvE0_clEvEUlfE_NS0_6memory8policies11unroll_baseILi256ESt5arrayIPcLm2EE23TrivialOffsetCalculatorILi1EjESF_NS8_15LoadWithoutCastENS8_16StoreWithoutCastELi4ELi1EEEEEvT0_T1_.has_dyn_sized_stack)
	.set _ZN2at6native29vectorized_elementwise_kernelILi16EZZZNS0_12_GLOBAL__N_119airy_ai_kernel_cudaERNS_18TensorIteratorBaseEENKUlvE_clEvENKUlvE0_clEvEUlfE_St5arrayIPcLm2EEEEviT0_T1_.has_recursion, or(0, .L_ZN2at6native25elementwise_kernel_helperILb0EZZZNS0_12_GLOBAL__N_119airy_ai_kernel_cudaERNS_18TensorIteratorBaseEENKUlvE_clEvENKUlvE0_clEvEUlfE_NS0_6memory8policies10vectorizedILi4ESt5arrayIPcLm2EELi4EEEEEvT0_T1_.has_recursion, .L_ZN2at6native25elementwise_kernel_helperILb0EZZZNS0_12_GLOBAL__N_119airy_ai_kernel_cudaERNS_18TensorIteratorBaseEENKUlvE_clEvENKUlvE0_clEvEUlfE_NS0_6memory8policies11unroll_baseILi256ESt5arrayIPcLm2EE23TrivialOffsetCalculatorILi1EjESF_NS8_15LoadWithoutCastENS8_16StoreWithoutCastELi4ELi1EEEEEvT0_T1_.has_recursion)
	.set _ZN2at6native29vectorized_elementwise_kernelILi16EZZZNS0_12_GLOBAL__N_119airy_ai_kernel_cudaERNS_18TensorIteratorBaseEENKUlvE_clEvENKUlvE0_clEvEUlfE_St5arrayIPcLm2EEEEviT0_T1_.has_indirect_call, or(0, .L_ZN2at6native25elementwise_kernel_helperILb0EZZZNS0_12_GLOBAL__N_119airy_ai_kernel_cudaERNS_18TensorIteratorBaseEENKUlvE_clEvENKUlvE0_clEvEUlfE_NS0_6memory8policies10vectorizedILi4ESt5arrayIPcLm2EELi4EEEEEvT0_T1_.has_indirect_call, .L_ZN2at6native25elementwise_kernel_helperILb0EZZZNS0_12_GLOBAL__N_119airy_ai_kernel_cudaERNS_18TensorIteratorBaseEENKUlvE_clEvENKUlvE0_clEvEUlfE_NS0_6memory8policies11unroll_baseILi256ESt5arrayIPcLm2EE23TrivialOffsetCalculatorILi1EjESF_NS8_15LoadWithoutCastENS8_16StoreWithoutCastELi4ELi1EEEEEvT0_T1_.has_indirect_call)
	.section	.AMDGPU.csdata,"",@progbits
; Kernel info:
; codeLenInByte = 164
; TotalNumSgprs: 39
; NumVgprs: 33
; NumAgprs: 0
; TotalNumVgprs: 33
; ScratchSize: 0
; MemoryBound: 0
; FloatMode: 240
; IeeeMode: 1
; LDSByteSize: 0 bytes/workgroup (compile time only)
; SGPRBlocks: 4
; VGPRBlocks: 4
; NumSGPRsForWavesPerEU: 39
; NumVGPRsForWavesPerEU: 33
; AccumOffset: 36
; Occupancy: 8
; WaveLimiterHint : 0
; COMPUTE_PGM_RSRC2:SCRATCH_EN: 0
; COMPUTE_PGM_RSRC2:USER_SGPR: 2
; COMPUTE_PGM_RSRC2:TRAP_HANDLER: 0
; COMPUTE_PGM_RSRC2:TGID_X_EN: 1
; COMPUTE_PGM_RSRC2:TGID_Y_EN: 0
; COMPUTE_PGM_RSRC2:TGID_Z_EN: 0
; COMPUTE_PGM_RSRC2:TIDIG_COMP_CNT: 0
; COMPUTE_PGM_RSRC3_GFX90A:ACCUM_OFFSET: 8
; COMPUTE_PGM_RSRC3_GFX90A:TG_SPLIT: 0
	.section	.text._ZN2at6native29vectorized_elementwise_kernelILi8EZZZNS0_12_GLOBAL__N_119airy_ai_kernel_cudaERNS_18TensorIteratorBaseEENKUlvE_clEvENKUlvE0_clEvEUlfE_St5arrayIPcLm2EEEEviT0_T1_,"axG",@progbits,_ZN2at6native29vectorized_elementwise_kernelILi8EZZZNS0_12_GLOBAL__N_119airy_ai_kernel_cudaERNS_18TensorIteratorBaseEENKUlvE_clEvENKUlvE0_clEvEUlfE_St5arrayIPcLm2EEEEviT0_T1_,comdat
	.globl	_ZN2at6native29vectorized_elementwise_kernelILi8EZZZNS0_12_GLOBAL__N_119airy_ai_kernel_cudaERNS_18TensorIteratorBaseEENKUlvE_clEvENKUlvE0_clEvEUlfE_St5arrayIPcLm2EEEEviT0_T1_ ; -- Begin function _ZN2at6native29vectorized_elementwise_kernelILi8EZZZNS0_12_GLOBAL__N_119airy_ai_kernel_cudaERNS_18TensorIteratorBaseEENKUlvE_clEvENKUlvE0_clEvEUlfE_St5arrayIPcLm2EEEEviT0_T1_
	.p2align	8
	.type	_ZN2at6native29vectorized_elementwise_kernelILi8EZZZNS0_12_GLOBAL__N_119airy_ai_kernel_cudaERNS_18TensorIteratorBaseEENKUlvE_clEvENKUlvE0_clEvEUlfE_St5arrayIPcLm2EEEEviT0_T1_,@function
_ZN2at6native29vectorized_elementwise_kernelILi8EZZZNS0_12_GLOBAL__N_119airy_ai_kernel_cudaERNS_18TensorIteratorBaseEENKUlvE_clEvENKUlvE0_clEvEUlfE_St5arrayIPcLm2EEEEviT0_T1_: ; @_ZN2at6native29vectorized_elementwise_kernelILi8EZZZNS0_12_GLOBAL__N_119airy_ai_kernel_cudaERNS_18TensorIteratorBaseEENKUlvE_clEvENKUlvE0_clEvEUlfE_St5arrayIPcLm2EEEEviT0_T1_
; %bb.0:
	s_mov_b32 s22, s2
	s_load_dword s2, s[0:1], 0x0
	s_load_dwordx4 s[24:27], s[0:1], 0x8
	s_lshl_b32 s0, s22, 10
	v_mov_b32_e32 v31, v0
	s_mov_b32 s32, 0
	s_waitcnt lgkmcnt(0)
	s_sub_i32 s23, s2, s0
	s_cmpk_gt_i32 s23, 0x3ff
	s_mov_b64 s[0:1], -1
	s_cbranch_scc1 .LBB15_3
; %bb.1:
	s_andn2_b64 vcc, exec, s[0:1]
	s_cbranch_vccz .LBB15_4
.LBB15_2:
	s_endpgm
.LBB15_3:
	s_getpc_b64 s[0:1]
	s_add_u32 s0, s0, _ZN2at6native25elementwise_kernel_helperILb0EZZZNS0_12_GLOBAL__N_119airy_ai_kernel_cudaERNS_18TensorIteratorBaseEENKUlvE_clEvENKUlvE0_clEvEUlfE_NS0_6memory8policies10vectorizedILi4ESt5arrayIPcLm2EELi4EEEEEvT0_T1_@rel32@lo+4
	s_addc_u32 s1, s1, _ZN2at6native25elementwise_kernel_helperILb0EZZZNS0_12_GLOBAL__N_119airy_ai_kernel_cudaERNS_18TensorIteratorBaseEENKUlvE_clEvENKUlvE0_clEvEUlfE_NS0_6memory8policies10vectorizedILi4ESt5arrayIPcLm2EELi4EEEEEvT0_T1_@rel32@hi+12
	s_mov_b32 s12, s22
	v_mov_b32_e32 v0, s24
	v_mov_b32_e32 v1, s25
	;; [unrolled: 1-line block ×4, first 2 shown]
	s_swappc_b64 s[30:31], s[0:1]
	s_cbranch_execnz .LBB15_2
.LBB15_4:
	s_getpc_b64 s[0:1]
	s_add_u32 s0, s0, _ZN2at6native25elementwise_kernel_helperILb0EZZZNS0_12_GLOBAL__N_119airy_ai_kernel_cudaERNS_18TensorIteratorBaseEENKUlvE_clEvENKUlvE0_clEvEUlfE_NS0_6memory8policies11unroll_baseILi256ESt5arrayIPcLm2EE23TrivialOffsetCalculatorILi1EjESF_NS8_15LoadWithoutCastENS8_16StoreWithoutCastELi4ELi1EEEEEvT0_T1_@rel32@lo+4
	s_addc_u32 s1, s1, _ZN2at6native25elementwise_kernel_helperILb0EZZZNS0_12_GLOBAL__N_119airy_ai_kernel_cudaERNS_18TensorIteratorBaseEENKUlvE_clEvENKUlvE0_clEvEUlfE_NS0_6memory8policies11unroll_baseILi256ESt5arrayIPcLm2EE23TrivialOffsetCalculatorILi1EjESF_NS8_15LoadWithoutCastENS8_16StoreWithoutCastELi4ELi1EEEEEvT0_T1_@rel32@hi+12
	s_mov_b32 s12, s22
	v_mov_b32_e32 v0, s24
	v_mov_b32_e32 v1, s25
	;; [unrolled: 1-line block ×5, first 2 shown]
	s_swappc_b64 s[30:31], s[0:1]
	s_endpgm
	.section	.rodata,"a",@progbits
	.p2align	6, 0x0
	.amdhsa_kernel _ZN2at6native29vectorized_elementwise_kernelILi8EZZZNS0_12_GLOBAL__N_119airy_ai_kernel_cudaERNS_18TensorIteratorBaseEENKUlvE_clEvENKUlvE0_clEvEUlfE_St5arrayIPcLm2EEEEviT0_T1_
		.amdhsa_group_segment_fixed_size 0
		.amdhsa_private_segment_fixed_size 0
		.amdhsa_kernarg_size 24
		.amdhsa_user_sgpr_count 2
		.amdhsa_user_sgpr_dispatch_ptr 0
		.amdhsa_user_sgpr_queue_ptr 0
		.amdhsa_user_sgpr_kernarg_segment_ptr 1
		.amdhsa_user_sgpr_dispatch_id 0
		.amdhsa_user_sgpr_kernarg_preload_length 0
		.amdhsa_user_sgpr_kernarg_preload_offset 0
		.amdhsa_user_sgpr_private_segment_size 0
		.amdhsa_uses_dynamic_stack 0
		.amdhsa_enable_private_segment 0
		.amdhsa_system_sgpr_workgroup_id_x 1
		.amdhsa_system_sgpr_workgroup_id_y 0
		.amdhsa_system_sgpr_workgroup_id_z 0
		.amdhsa_system_sgpr_workgroup_info 0
		.amdhsa_system_vgpr_workitem_id 0
		.amdhsa_next_free_vgpr 33
		.amdhsa_next_free_sgpr 33
		.amdhsa_accum_offset 36
		.amdhsa_reserve_vcc 1
		.amdhsa_float_round_mode_32 0
		.amdhsa_float_round_mode_16_64 0
		.amdhsa_float_denorm_mode_32 3
		.amdhsa_float_denorm_mode_16_64 3
		.amdhsa_dx10_clamp 1
		.amdhsa_ieee_mode 1
		.amdhsa_fp16_overflow 0
		.amdhsa_tg_split 0
		.amdhsa_exception_fp_ieee_invalid_op 0
		.amdhsa_exception_fp_denorm_src 0
		.amdhsa_exception_fp_ieee_div_zero 0
		.amdhsa_exception_fp_ieee_overflow 0
		.amdhsa_exception_fp_ieee_underflow 0
		.amdhsa_exception_fp_ieee_inexact 0
		.amdhsa_exception_int_div_zero 0
	.end_amdhsa_kernel
	.section	.text._ZN2at6native29vectorized_elementwise_kernelILi8EZZZNS0_12_GLOBAL__N_119airy_ai_kernel_cudaERNS_18TensorIteratorBaseEENKUlvE_clEvENKUlvE0_clEvEUlfE_St5arrayIPcLm2EEEEviT0_T1_,"axG",@progbits,_ZN2at6native29vectorized_elementwise_kernelILi8EZZZNS0_12_GLOBAL__N_119airy_ai_kernel_cudaERNS_18TensorIteratorBaseEENKUlvE_clEvENKUlvE0_clEvEUlfE_St5arrayIPcLm2EEEEviT0_T1_,comdat
.Lfunc_end15:
	.size	_ZN2at6native29vectorized_elementwise_kernelILi8EZZZNS0_12_GLOBAL__N_119airy_ai_kernel_cudaERNS_18TensorIteratorBaseEENKUlvE_clEvENKUlvE0_clEvEUlfE_St5arrayIPcLm2EEEEviT0_T1_, .Lfunc_end15-_ZN2at6native29vectorized_elementwise_kernelILi8EZZZNS0_12_GLOBAL__N_119airy_ai_kernel_cudaERNS_18TensorIteratorBaseEENKUlvE_clEvENKUlvE0_clEvEUlfE_St5arrayIPcLm2EEEEviT0_T1_
                                        ; -- End function
	.set _ZN2at6native29vectorized_elementwise_kernelILi8EZZZNS0_12_GLOBAL__N_119airy_ai_kernel_cudaERNS_18TensorIteratorBaseEENKUlvE_clEvENKUlvE0_clEvEUlfE_St5arrayIPcLm2EEEEviT0_T1_.num_vgpr, max(32, .L_ZN2at6native25elementwise_kernel_helperILb0EZZZNS0_12_GLOBAL__N_119airy_ai_kernel_cudaERNS_18TensorIteratorBaseEENKUlvE_clEvENKUlvE0_clEvEUlfE_NS0_6memory8policies10vectorizedILi4ESt5arrayIPcLm2EELi4EEEEEvT0_T1_.num_vgpr, .L_ZN2at6native25elementwise_kernel_helperILb0EZZZNS0_12_GLOBAL__N_119airy_ai_kernel_cudaERNS_18TensorIteratorBaseEENKUlvE_clEvENKUlvE0_clEvEUlfE_NS0_6memory8policies11unroll_baseILi256ESt5arrayIPcLm2EE23TrivialOffsetCalculatorILi1EjESF_NS8_15LoadWithoutCastENS8_16StoreWithoutCastELi4ELi1EEEEEvT0_T1_.num_vgpr)
	.set _ZN2at6native29vectorized_elementwise_kernelILi8EZZZNS0_12_GLOBAL__N_119airy_ai_kernel_cudaERNS_18TensorIteratorBaseEENKUlvE_clEvENKUlvE0_clEvEUlfE_St5arrayIPcLm2EEEEviT0_T1_.num_agpr, max(0, .L_ZN2at6native25elementwise_kernel_helperILb0EZZZNS0_12_GLOBAL__N_119airy_ai_kernel_cudaERNS_18TensorIteratorBaseEENKUlvE_clEvENKUlvE0_clEvEUlfE_NS0_6memory8policies10vectorizedILi4ESt5arrayIPcLm2EELi4EEEEEvT0_T1_.num_agpr, .L_ZN2at6native25elementwise_kernel_helperILb0EZZZNS0_12_GLOBAL__N_119airy_ai_kernel_cudaERNS_18TensorIteratorBaseEENKUlvE_clEvENKUlvE0_clEvEUlfE_NS0_6memory8policies11unroll_baseILi256ESt5arrayIPcLm2EE23TrivialOffsetCalculatorILi1EjESF_NS8_15LoadWithoutCastENS8_16StoreWithoutCastELi4ELi1EEEEEvT0_T1_.num_agpr)
	.set _ZN2at6native29vectorized_elementwise_kernelILi8EZZZNS0_12_GLOBAL__N_119airy_ai_kernel_cudaERNS_18TensorIteratorBaseEENKUlvE_clEvENKUlvE0_clEvEUlfE_St5arrayIPcLm2EEEEviT0_T1_.numbered_sgpr, max(33, .L_ZN2at6native25elementwise_kernel_helperILb0EZZZNS0_12_GLOBAL__N_119airy_ai_kernel_cudaERNS_18TensorIteratorBaseEENKUlvE_clEvENKUlvE0_clEvEUlfE_NS0_6memory8policies10vectorizedILi4ESt5arrayIPcLm2EELi4EEEEEvT0_T1_.numbered_sgpr, .L_ZN2at6native25elementwise_kernel_helperILb0EZZZNS0_12_GLOBAL__N_119airy_ai_kernel_cudaERNS_18TensorIteratorBaseEENKUlvE_clEvENKUlvE0_clEvEUlfE_NS0_6memory8policies11unroll_baseILi256ESt5arrayIPcLm2EE23TrivialOffsetCalculatorILi1EjESF_NS8_15LoadWithoutCastENS8_16StoreWithoutCastELi4ELi1EEEEEvT0_T1_.numbered_sgpr)
	.set _ZN2at6native29vectorized_elementwise_kernelILi8EZZZNS0_12_GLOBAL__N_119airy_ai_kernel_cudaERNS_18TensorIteratorBaseEENKUlvE_clEvENKUlvE0_clEvEUlfE_St5arrayIPcLm2EEEEviT0_T1_.num_named_barrier, max(0, .L_ZN2at6native25elementwise_kernel_helperILb0EZZZNS0_12_GLOBAL__N_119airy_ai_kernel_cudaERNS_18TensorIteratorBaseEENKUlvE_clEvENKUlvE0_clEvEUlfE_NS0_6memory8policies10vectorizedILi4ESt5arrayIPcLm2EELi4EEEEEvT0_T1_.num_named_barrier, .L_ZN2at6native25elementwise_kernel_helperILb0EZZZNS0_12_GLOBAL__N_119airy_ai_kernel_cudaERNS_18TensorIteratorBaseEENKUlvE_clEvENKUlvE0_clEvEUlfE_NS0_6memory8policies11unroll_baseILi256ESt5arrayIPcLm2EE23TrivialOffsetCalculatorILi1EjESF_NS8_15LoadWithoutCastENS8_16StoreWithoutCastELi4ELi1EEEEEvT0_T1_.num_named_barrier)
	.set _ZN2at6native29vectorized_elementwise_kernelILi8EZZZNS0_12_GLOBAL__N_119airy_ai_kernel_cudaERNS_18TensorIteratorBaseEENKUlvE_clEvENKUlvE0_clEvEUlfE_St5arrayIPcLm2EEEEviT0_T1_.private_seg_size, 0+max(.L_ZN2at6native25elementwise_kernel_helperILb0EZZZNS0_12_GLOBAL__N_119airy_ai_kernel_cudaERNS_18TensorIteratorBaseEENKUlvE_clEvENKUlvE0_clEvEUlfE_NS0_6memory8policies10vectorizedILi4ESt5arrayIPcLm2EELi4EEEEEvT0_T1_.private_seg_size, .L_ZN2at6native25elementwise_kernel_helperILb0EZZZNS0_12_GLOBAL__N_119airy_ai_kernel_cudaERNS_18TensorIteratorBaseEENKUlvE_clEvENKUlvE0_clEvEUlfE_NS0_6memory8policies11unroll_baseILi256ESt5arrayIPcLm2EE23TrivialOffsetCalculatorILi1EjESF_NS8_15LoadWithoutCastENS8_16StoreWithoutCastELi4ELi1EEEEEvT0_T1_.private_seg_size)
	.set _ZN2at6native29vectorized_elementwise_kernelILi8EZZZNS0_12_GLOBAL__N_119airy_ai_kernel_cudaERNS_18TensorIteratorBaseEENKUlvE_clEvENKUlvE0_clEvEUlfE_St5arrayIPcLm2EEEEviT0_T1_.uses_vcc, or(1, .L_ZN2at6native25elementwise_kernel_helperILb0EZZZNS0_12_GLOBAL__N_119airy_ai_kernel_cudaERNS_18TensorIteratorBaseEENKUlvE_clEvENKUlvE0_clEvEUlfE_NS0_6memory8policies10vectorizedILi4ESt5arrayIPcLm2EELi4EEEEEvT0_T1_.uses_vcc, .L_ZN2at6native25elementwise_kernel_helperILb0EZZZNS0_12_GLOBAL__N_119airy_ai_kernel_cudaERNS_18TensorIteratorBaseEENKUlvE_clEvENKUlvE0_clEvEUlfE_NS0_6memory8policies11unroll_baseILi256ESt5arrayIPcLm2EE23TrivialOffsetCalculatorILi1EjESF_NS8_15LoadWithoutCastENS8_16StoreWithoutCastELi4ELi1EEEEEvT0_T1_.uses_vcc)
	.set _ZN2at6native29vectorized_elementwise_kernelILi8EZZZNS0_12_GLOBAL__N_119airy_ai_kernel_cudaERNS_18TensorIteratorBaseEENKUlvE_clEvENKUlvE0_clEvEUlfE_St5arrayIPcLm2EEEEviT0_T1_.uses_flat_scratch, or(0, .L_ZN2at6native25elementwise_kernel_helperILb0EZZZNS0_12_GLOBAL__N_119airy_ai_kernel_cudaERNS_18TensorIteratorBaseEENKUlvE_clEvENKUlvE0_clEvEUlfE_NS0_6memory8policies10vectorizedILi4ESt5arrayIPcLm2EELi4EEEEEvT0_T1_.uses_flat_scratch, .L_ZN2at6native25elementwise_kernel_helperILb0EZZZNS0_12_GLOBAL__N_119airy_ai_kernel_cudaERNS_18TensorIteratorBaseEENKUlvE_clEvENKUlvE0_clEvEUlfE_NS0_6memory8policies11unroll_baseILi256ESt5arrayIPcLm2EE23TrivialOffsetCalculatorILi1EjESF_NS8_15LoadWithoutCastENS8_16StoreWithoutCastELi4ELi1EEEEEvT0_T1_.uses_flat_scratch)
	.set _ZN2at6native29vectorized_elementwise_kernelILi8EZZZNS0_12_GLOBAL__N_119airy_ai_kernel_cudaERNS_18TensorIteratorBaseEENKUlvE_clEvENKUlvE0_clEvEUlfE_St5arrayIPcLm2EEEEviT0_T1_.has_dyn_sized_stack, or(0, .L_ZN2at6native25elementwise_kernel_helperILb0EZZZNS0_12_GLOBAL__N_119airy_ai_kernel_cudaERNS_18TensorIteratorBaseEENKUlvE_clEvENKUlvE0_clEvEUlfE_NS0_6memory8policies10vectorizedILi4ESt5arrayIPcLm2EELi4EEEEEvT0_T1_.has_dyn_sized_stack, .L_ZN2at6native25elementwise_kernel_helperILb0EZZZNS0_12_GLOBAL__N_119airy_ai_kernel_cudaERNS_18TensorIteratorBaseEENKUlvE_clEvENKUlvE0_clEvEUlfE_NS0_6memory8policies11unroll_baseILi256ESt5arrayIPcLm2EE23TrivialOffsetCalculatorILi1EjESF_NS8_15LoadWithoutCastENS8_16StoreWithoutCastELi4ELi1EEEEEvT0_T1_.has_dyn_sized_stack)
	.set _ZN2at6native29vectorized_elementwise_kernelILi8EZZZNS0_12_GLOBAL__N_119airy_ai_kernel_cudaERNS_18TensorIteratorBaseEENKUlvE_clEvENKUlvE0_clEvEUlfE_St5arrayIPcLm2EEEEviT0_T1_.has_recursion, or(0, .L_ZN2at6native25elementwise_kernel_helperILb0EZZZNS0_12_GLOBAL__N_119airy_ai_kernel_cudaERNS_18TensorIteratorBaseEENKUlvE_clEvENKUlvE0_clEvEUlfE_NS0_6memory8policies10vectorizedILi4ESt5arrayIPcLm2EELi4EEEEEvT0_T1_.has_recursion, .L_ZN2at6native25elementwise_kernel_helperILb0EZZZNS0_12_GLOBAL__N_119airy_ai_kernel_cudaERNS_18TensorIteratorBaseEENKUlvE_clEvENKUlvE0_clEvEUlfE_NS0_6memory8policies11unroll_baseILi256ESt5arrayIPcLm2EE23TrivialOffsetCalculatorILi1EjESF_NS8_15LoadWithoutCastENS8_16StoreWithoutCastELi4ELi1EEEEEvT0_T1_.has_recursion)
	.set _ZN2at6native29vectorized_elementwise_kernelILi8EZZZNS0_12_GLOBAL__N_119airy_ai_kernel_cudaERNS_18TensorIteratorBaseEENKUlvE_clEvENKUlvE0_clEvEUlfE_St5arrayIPcLm2EEEEviT0_T1_.has_indirect_call, or(0, .L_ZN2at6native25elementwise_kernel_helperILb0EZZZNS0_12_GLOBAL__N_119airy_ai_kernel_cudaERNS_18TensorIteratorBaseEENKUlvE_clEvENKUlvE0_clEvEUlfE_NS0_6memory8policies10vectorizedILi4ESt5arrayIPcLm2EELi4EEEEEvT0_T1_.has_indirect_call, .L_ZN2at6native25elementwise_kernel_helperILb0EZZZNS0_12_GLOBAL__N_119airy_ai_kernel_cudaERNS_18TensorIteratorBaseEENKUlvE_clEvENKUlvE0_clEvEUlfE_NS0_6memory8policies11unroll_baseILi256ESt5arrayIPcLm2EE23TrivialOffsetCalculatorILi1EjESF_NS8_15LoadWithoutCastENS8_16StoreWithoutCastELi4ELi1EEEEEvT0_T1_.has_indirect_call)
	.section	.AMDGPU.csdata,"",@progbits
; Kernel info:
; codeLenInByte = 164
; TotalNumSgprs: 39
; NumVgprs: 33
; NumAgprs: 0
; TotalNumVgprs: 33
; ScratchSize: 0
; MemoryBound: 0
; FloatMode: 240
; IeeeMode: 1
; LDSByteSize: 0 bytes/workgroup (compile time only)
; SGPRBlocks: 4
; VGPRBlocks: 4
; NumSGPRsForWavesPerEU: 39
; NumVGPRsForWavesPerEU: 33
; AccumOffset: 36
; Occupancy: 8
; WaveLimiterHint : 0
; COMPUTE_PGM_RSRC2:SCRATCH_EN: 0
; COMPUTE_PGM_RSRC2:USER_SGPR: 2
; COMPUTE_PGM_RSRC2:TRAP_HANDLER: 0
; COMPUTE_PGM_RSRC2:TGID_X_EN: 1
; COMPUTE_PGM_RSRC2:TGID_Y_EN: 0
; COMPUTE_PGM_RSRC2:TGID_Z_EN: 0
; COMPUTE_PGM_RSRC2:TIDIG_COMP_CNT: 0
; COMPUTE_PGM_RSRC3_GFX90A:ACCUM_OFFSET: 8
; COMPUTE_PGM_RSRC3_GFX90A:TG_SPLIT: 0
	.section	.text._ZN2at6native29vectorized_elementwise_kernelILi4EZZZNS0_12_GLOBAL__N_119airy_ai_kernel_cudaERNS_18TensorIteratorBaseEENKUlvE_clEvENKUlvE0_clEvEUlfE_St5arrayIPcLm2EEEEviT0_T1_,"axG",@progbits,_ZN2at6native29vectorized_elementwise_kernelILi4EZZZNS0_12_GLOBAL__N_119airy_ai_kernel_cudaERNS_18TensorIteratorBaseEENKUlvE_clEvENKUlvE0_clEvEUlfE_St5arrayIPcLm2EEEEviT0_T1_,comdat
	.globl	_ZN2at6native29vectorized_elementwise_kernelILi4EZZZNS0_12_GLOBAL__N_119airy_ai_kernel_cudaERNS_18TensorIteratorBaseEENKUlvE_clEvENKUlvE0_clEvEUlfE_St5arrayIPcLm2EEEEviT0_T1_ ; -- Begin function _ZN2at6native29vectorized_elementwise_kernelILi4EZZZNS0_12_GLOBAL__N_119airy_ai_kernel_cudaERNS_18TensorIteratorBaseEENKUlvE_clEvENKUlvE0_clEvEUlfE_St5arrayIPcLm2EEEEviT0_T1_
	.p2align	8
	.type	_ZN2at6native29vectorized_elementwise_kernelILi4EZZZNS0_12_GLOBAL__N_119airy_ai_kernel_cudaERNS_18TensorIteratorBaseEENKUlvE_clEvENKUlvE0_clEvEUlfE_St5arrayIPcLm2EEEEviT0_T1_,@function
_ZN2at6native29vectorized_elementwise_kernelILi4EZZZNS0_12_GLOBAL__N_119airy_ai_kernel_cudaERNS_18TensorIteratorBaseEENKUlvE_clEvENKUlvE0_clEvEUlfE_St5arrayIPcLm2EEEEviT0_T1_: ; @_ZN2at6native29vectorized_elementwise_kernelILi4EZZZNS0_12_GLOBAL__N_119airy_ai_kernel_cudaERNS_18TensorIteratorBaseEENKUlvE_clEvENKUlvE0_clEvEUlfE_St5arrayIPcLm2EEEEviT0_T1_
; %bb.0:
	s_mov_b32 s22, s2
	s_load_dword s2, s[0:1], 0x0
	s_load_dwordx4 s[24:27], s[0:1], 0x8
	s_lshl_b32 s0, s22, 10
	v_mov_b32_e32 v31, v0
	s_mov_b32 s32, 0
	s_waitcnt lgkmcnt(0)
	s_sub_i32 s23, s2, s0
	s_cmpk_gt_i32 s23, 0x3ff
	s_mov_b64 s[0:1], -1
	s_cbranch_scc1 .LBB16_3
; %bb.1:
	s_andn2_b64 vcc, exec, s[0:1]
	s_cbranch_vccz .LBB16_4
.LBB16_2:
	s_endpgm
.LBB16_3:
	s_getpc_b64 s[0:1]
	s_add_u32 s0, s0, _ZN2at6native25elementwise_kernel_helperILb0EZZZNS0_12_GLOBAL__N_119airy_ai_kernel_cudaERNS_18TensorIteratorBaseEENKUlvE_clEvENKUlvE0_clEvEUlfE_NS0_6memory8policies10vectorizedILi4ESt5arrayIPcLm2EELi4EEEEEvT0_T1_@rel32@lo+4
	s_addc_u32 s1, s1, _ZN2at6native25elementwise_kernel_helperILb0EZZZNS0_12_GLOBAL__N_119airy_ai_kernel_cudaERNS_18TensorIteratorBaseEENKUlvE_clEvENKUlvE0_clEvEUlfE_NS0_6memory8policies10vectorizedILi4ESt5arrayIPcLm2EELi4EEEEEvT0_T1_@rel32@hi+12
	s_mov_b32 s12, s22
	v_mov_b32_e32 v0, s24
	v_mov_b32_e32 v1, s25
	;; [unrolled: 1-line block ×4, first 2 shown]
	s_swappc_b64 s[30:31], s[0:1]
	s_cbranch_execnz .LBB16_2
.LBB16_4:
	s_getpc_b64 s[0:1]
	s_add_u32 s0, s0, _ZN2at6native25elementwise_kernel_helperILb0EZZZNS0_12_GLOBAL__N_119airy_ai_kernel_cudaERNS_18TensorIteratorBaseEENKUlvE_clEvENKUlvE0_clEvEUlfE_NS0_6memory8policies11unroll_baseILi256ESt5arrayIPcLm2EE23TrivialOffsetCalculatorILi1EjESF_NS8_15LoadWithoutCastENS8_16StoreWithoutCastELi4ELi1EEEEEvT0_T1_@rel32@lo+4
	s_addc_u32 s1, s1, _ZN2at6native25elementwise_kernel_helperILb0EZZZNS0_12_GLOBAL__N_119airy_ai_kernel_cudaERNS_18TensorIteratorBaseEENKUlvE_clEvENKUlvE0_clEvEUlfE_NS0_6memory8policies11unroll_baseILi256ESt5arrayIPcLm2EE23TrivialOffsetCalculatorILi1EjESF_NS8_15LoadWithoutCastENS8_16StoreWithoutCastELi4ELi1EEEEEvT0_T1_@rel32@hi+12
	s_mov_b32 s12, s22
	v_mov_b32_e32 v0, s24
	v_mov_b32_e32 v1, s25
	;; [unrolled: 1-line block ×5, first 2 shown]
	s_swappc_b64 s[30:31], s[0:1]
	s_endpgm
	.section	.rodata,"a",@progbits
	.p2align	6, 0x0
	.amdhsa_kernel _ZN2at6native29vectorized_elementwise_kernelILi4EZZZNS0_12_GLOBAL__N_119airy_ai_kernel_cudaERNS_18TensorIteratorBaseEENKUlvE_clEvENKUlvE0_clEvEUlfE_St5arrayIPcLm2EEEEviT0_T1_
		.amdhsa_group_segment_fixed_size 0
		.amdhsa_private_segment_fixed_size 0
		.amdhsa_kernarg_size 24
		.amdhsa_user_sgpr_count 2
		.amdhsa_user_sgpr_dispatch_ptr 0
		.amdhsa_user_sgpr_queue_ptr 0
		.amdhsa_user_sgpr_kernarg_segment_ptr 1
		.amdhsa_user_sgpr_dispatch_id 0
		.amdhsa_user_sgpr_kernarg_preload_length 0
		.amdhsa_user_sgpr_kernarg_preload_offset 0
		.amdhsa_user_sgpr_private_segment_size 0
		.amdhsa_uses_dynamic_stack 0
		.amdhsa_enable_private_segment 0
		.amdhsa_system_sgpr_workgroup_id_x 1
		.amdhsa_system_sgpr_workgroup_id_y 0
		.amdhsa_system_sgpr_workgroup_id_z 0
		.amdhsa_system_sgpr_workgroup_info 0
		.amdhsa_system_vgpr_workitem_id 0
		.amdhsa_next_free_vgpr 33
		.amdhsa_next_free_sgpr 33
		.amdhsa_accum_offset 36
		.amdhsa_reserve_vcc 1
		.amdhsa_float_round_mode_32 0
		.amdhsa_float_round_mode_16_64 0
		.amdhsa_float_denorm_mode_32 3
		.amdhsa_float_denorm_mode_16_64 3
		.amdhsa_dx10_clamp 1
		.amdhsa_ieee_mode 1
		.amdhsa_fp16_overflow 0
		.amdhsa_tg_split 0
		.amdhsa_exception_fp_ieee_invalid_op 0
		.amdhsa_exception_fp_denorm_src 0
		.amdhsa_exception_fp_ieee_div_zero 0
		.amdhsa_exception_fp_ieee_overflow 0
		.amdhsa_exception_fp_ieee_underflow 0
		.amdhsa_exception_fp_ieee_inexact 0
		.amdhsa_exception_int_div_zero 0
	.end_amdhsa_kernel
	.section	.text._ZN2at6native29vectorized_elementwise_kernelILi4EZZZNS0_12_GLOBAL__N_119airy_ai_kernel_cudaERNS_18TensorIteratorBaseEENKUlvE_clEvENKUlvE0_clEvEUlfE_St5arrayIPcLm2EEEEviT0_T1_,"axG",@progbits,_ZN2at6native29vectorized_elementwise_kernelILi4EZZZNS0_12_GLOBAL__N_119airy_ai_kernel_cudaERNS_18TensorIteratorBaseEENKUlvE_clEvENKUlvE0_clEvEUlfE_St5arrayIPcLm2EEEEviT0_T1_,comdat
.Lfunc_end16:
	.size	_ZN2at6native29vectorized_elementwise_kernelILi4EZZZNS0_12_GLOBAL__N_119airy_ai_kernel_cudaERNS_18TensorIteratorBaseEENKUlvE_clEvENKUlvE0_clEvEUlfE_St5arrayIPcLm2EEEEviT0_T1_, .Lfunc_end16-_ZN2at6native29vectorized_elementwise_kernelILi4EZZZNS0_12_GLOBAL__N_119airy_ai_kernel_cudaERNS_18TensorIteratorBaseEENKUlvE_clEvENKUlvE0_clEvEUlfE_St5arrayIPcLm2EEEEviT0_T1_
                                        ; -- End function
	.set _ZN2at6native29vectorized_elementwise_kernelILi4EZZZNS0_12_GLOBAL__N_119airy_ai_kernel_cudaERNS_18TensorIteratorBaseEENKUlvE_clEvENKUlvE0_clEvEUlfE_St5arrayIPcLm2EEEEviT0_T1_.num_vgpr, max(32, .L_ZN2at6native25elementwise_kernel_helperILb0EZZZNS0_12_GLOBAL__N_119airy_ai_kernel_cudaERNS_18TensorIteratorBaseEENKUlvE_clEvENKUlvE0_clEvEUlfE_NS0_6memory8policies10vectorizedILi4ESt5arrayIPcLm2EELi4EEEEEvT0_T1_.num_vgpr, .L_ZN2at6native25elementwise_kernel_helperILb0EZZZNS0_12_GLOBAL__N_119airy_ai_kernel_cudaERNS_18TensorIteratorBaseEENKUlvE_clEvENKUlvE0_clEvEUlfE_NS0_6memory8policies11unroll_baseILi256ESt5arrayIPcLm2EE23TrivialOffsetCalculatorILi1EjESF_NS8_15LoadWithoutCastENS8_16StoreWithoutCastELi4ELi1EEEEEvT0_T1_.num_vgpr)
	.set _ZN2at6native29vectorized_elementwise_kernelILi4EZZZNS0_12_GLOBAL__N_119airy_ai_kernel_cudaERNS_18TensorIteratorBaseEENKUlvE_clEvENKUlvE0_clEvEUlfE_St5arrayIPcLm2EEEEviT0_T1_.num_agpr, max(0, .L_ZN2at6native25elementwise_kernel_helperILb0EZZZNS0_12_GLOBAL__N_119airy_ai_kernel_cudaERNS_18TensorIteratorBaseEENKUlvE_clEvENKUlvE0_clEvEUlfE_NS0_6memory8policies10vectorizedILi4ESt5arrayIPcLm2EELi4EEEEEvT0_T1_.num_agpr, .L_ZN2at6native25elementwise_kernel_helperILb0EZZZNS0_12_GLOBAL__N_119airy_ai_kernel_cudaERNS_18TensorIteratorBaseEENKUlvE_clEvENKUlvE0_clEvEUlfE_NS0_6memory8policies11unroll_baseILi256ESt5arrayIPcLm2EE23TrivialOffsetCalculatorILi1EjESF_NS8_15LoadWithoutCastENS8_16StoreWithoutCastELi4ELi1EEEEEvT0_T1_.num_agpr)
	.set _ZN2at6native29vectorized_elementwise_kernelILi4EZZZNS0_12_GLOBAL__N_119airy_ai_kernel_cudaERNS_18TensorIteratorBaseEENKUlvE_clEvENKUlvE0_clEvEUlfE_St5arrayIPcLm2EEEEviT0_T1_.numbered_sgpr, max(33, .L_ZN2at6native25elementwise_kernel_helperILb0EZZZNS0_12_GLOBAL__N_119airy_ai_kernel_cudaERNS_18TensorIteratorBaseEENKUlvE_clEvENKUlvE0_clEvEUlfE_NS0_6memory8policies10vectorizedILi4ESt5arrayIPcLm2EELi4EEEEEvT0_T1_.numbered_sgpr, .L_ZN2at6native25elementwise_kernel_helperILb0EZZZNS0_12_GLOBAL__N_119airy_ai_kernel_cudaERNS_18TensorIteratorBaseEENKUlvE_clEvENKUlvE0_clEvEUlfE_NS0_6memory8policies11unroll_baseILi256ESt5arrayIPcLm2EE23TrivialOffsetCalculatorILi1EjESF_NS8_15LoadWithoutCastENS8_16StoreWithoutCastELi4ELi1EEEEEvT0_T1_.numbered_sgpr)
	.set _ZN2at6native29vectorized_elementwise_kernelILi4EZZZNS0_12_GLOBAL__N_119airy_ai_kernel_cudaERNS_18TensorIteratorBaseEENKUlvE_clEvENKUlvE0_clEvEUlfE_St5arrayIPcLm2EEEEviT0_T1_.num_named_barrier, max(0, .L_ZN2at6native25elementwise_kernel_helperILb0EZZZNS0_12_GLOBAL__N_119airy_ai_kernel_cudaERNS_18TensorIteratorBaseEENKUlvE_clEvENKUlvE0_clEvEUlfE_NS0_6memory8policies10vectorizedILi4ESt5arrayIPcLm2EELi4EEEEEvT0_T1_.num_named_barrier, .L_ZN2at6native25elementwise_kernel_helperILb0EZZZNS0_12_GLOBAL__N_119airy_ai_kernel_cudaERNS_18TensorIteratorBaseEENKUlvE_clEvENKUlvE0_clEvEUlfE_NS0_6memory8policies11unroll_baseILi256ESt5arrayIPcLm2EE23TrivialOffsetCalculatorILi1EjESF_NS8_15LoadWithoutCastENS8_16StoreWithoutCastELi4ELi1EEEEEvT0_T1_.num_named_barrier)
	.set _ZN2at6native29vectorized_elementwise_kernelILi4EZZZNS0_12_GLOBAL__N_119airy_ai_kernel_cudaERNS_18TensorIteratorBaseEENKUlvE_clEvENKUlvE0_clEvEUlfE_St5arrayIPcLm2EEEEviT0_T1_.private_seg_size, 0+max(.L_ZN2at6native25elementwise_kernel_helperILb0EZZZNS0_12_GLOBAL__N_119airy_ai_kernel_cudaERNS_18TensorIteratorBaseEENKUlvE_clEvENKUlvE0_clEvEUlfE_NS0_6memory8policies10vectorizedILi4ESt5arrayIPcLm2EELi4EEEEEvT0_T1_.private_seg_size, .L_ZN2at6native25elementwise_kernel_helperILb0EZZZNS0_12_GLOBAL__N_119airy_ai_kernel_cudaERNS_18TensorIteratorBaseEENKUlvE_clEvENKUlvE0_clEvEUlfE_NS0_6memory8policies11unroll_baseILi256ESt5arrayIPcLm2EE23TrivialOffsetCalculatorILi1EjESF_NS8_15LoadWithoutCastENS8_16StoreWithoutCastELi4ELi1EEEEEvT0_T1_.private_seg_size)
	.set _ZN2at6native29vectorized_elementwise_kernelILi4EZZZNS0_12_GLOBAL__N_119airy_ai_kernel_cudaERNS_18TensorIteratorBaseEENKUlvE_clEvENKUlvE0_clEvEUlfE_St5arrayIPcLm2EEEEviT0_T1_.uses_vcc, or(1, .L_ZN2at6native25elementwise_kernel_helperILb0EZZZNS0_12_GLOBAL__N_119airy_ai_kernel_cudaERNS_18TensorIteratorBaseEENKUlvE_clEvENKUlvE0_clEvEUlfE_NS0_6memory8policies10vectorizedILi4ESt5arrayIPcLm2EELi4EEEEEvT0_T1_.uses_vcc, .L_ZN2at6native25elementwise_kernel_helperILb0EZZZNS0_12_GLOBAL__N_119airy_ai_kernel_cudaERNS_18TensorIteratorBaseEENKUlvE_clEvENKUlvE0_clEvEUlfE_NS0_6memory8policies11unroll_baseILi256ESt5arrayIPcLm2EE23TrivialOffsetCalculatorILi1EjESF_NS8_15LoadWithoutCastENS8_16StoreWithoutCastELi4ELi1EEEEEvT0_T1_.uses_vcc)
	.set _ZN2at6native29vectorized_elementwise_kernelILi4EZZZNS0_12_GLOBAL__N_119airy_ai_kernel_cudaERNS_18TensorIteratorBaseEENKUlvE_clEvENKUlvE0_clEvEUlfE_St5arrayIPcLm2EEEEviT0_T1_.uses_flat_scratch, or(0, .L_ZN2at6native25elementwise_kernel_helperILb0EZZZNS0_12_GLOBAL__N_119airy_ai_kernel_cudaERNS_18TensorIteratorBaseEENKUlvE_clEvENKUlvE0_clEvEUlfE_NS0_6memory8policies10vectorizedILi4ESt5arrayIPcLm2EELi4EEEEEvT0_T1_.uses_flat_scratch, .L_ZN2at6native25elementwise_kernel_helperILb0EZZZNS0_12_GLOBAL__N_119airy_ai_kernel_cudaERNS_18TensorIteratorBaseEENKUlvE_clEvENKUlvE0_clEvEUlfE_NS0_6memory8policies11unroll_baseILi256ESt5arrayIPcLm2EE23TrivialOffsetCalculatorILi1EjESF_NS8_15LoadWithoutCastENS8_16StoreWithoutCastELi4ELi1EEEEEvT0_T1_.uses_flat_scratch)
	.set _ZN2at6native29vectorized_elementwise_kernelILi4EZZZNS0_12_GLOBAL__N_119airy_ai_kernel_cudaERNS_18TensorIteratorBaseEENKUlvE_clEvENKUlvE0_clEvEUlfE_St5arrayIPcLm2EEEEviT0_T1_.has_dyn_sized_stack, or(0, .L_ZN2at6native25elementwise_kernel_helperILb0EZZZNS0_12_GLOBAL__N_119airy_ai_kernel_cudaERNS_18TensorIteratorBaseEENKUlvE_clEvENKUlvE0_clEvEUlfE_NS0_6memory8policies10vectorizedILi4ESt5arrayIPcLm2EELi4EEEEEvT0_T1_.has_dyn_sized_stack, .L_ZN2at6native25elementwise_kernel_helperILb0EZZZNS0_12_GLOBAL__N_119airy_ai_kernel_cudaERNS_18TensorIteratorBaseEENKUlvE_clEvENKUlvE0_clEvEUlfE_NS0_6memory8policies11unroll_baseILi256ESt5arrayIPcLm2EE23TrivialOffsetCalculatorILi1EjESF_NS8_15LoadWithoutCastENS8_16StoreWithoutCastELi4ELi1EEEEEvT0_T1_.has_dyn_sized_stack)
	.set _ZN2at6native29vectorized_elementwise_kernelILi4EZZZNS0_12_GLOBAL__N_119airy_ai_kernel_cudaERNS_18TensorIteratorBaseEENKUlvE_clEvENKUlvE0_clEvEUlfE_St5arrayIPcLm2EEEEviT0_T1_.has_recursion, or(0, .L_ZN2at6native25elementwise_kernel_helperILb0EZZZNS0_12_GLOBAL__N_119airy_ai_kernel_cudaERNS_18TensorIteratorBaseEENKUlvE_clEvENKUlvE0_clEvEUlfE_NS0_6memory8policies10vectorizedILi4ESt5arrayIPcLm2EELi4EEEEEvT0_T1_.has_recursion, .L_ZN2at6native25elementwise_kernel_helperILb0EZZZNS0_12_GLOBAL__N_119airy_ai_kernel_cudaERNS_18TensorIteratorBaseEENKUlvE_clEvENKUlvE0_clEvEUlfE_NS0_6memory8policies11unroll_baseILi256ESt5arrayIPcLm2EE23TrivialOffsetCalculatorILi1EjESF_NS8_15LoadWithoutCastENS8_16StoreWithoutCastELi4ELi1EEEEEvT0_T1_.has_recursion)
	.set _ZN2at6native29vectorized_elementwise_kernelILi4EZZZNS0_12_GLOBAL__N_119airy_ai_kernel_cudaERNS_18TensorIteratorBaseEENKUlvE_clEvENKUlvE0_clEvEUlfE_St5arrayIPcLm2EEEEviT0_T1_.has_indirect_call, or(0, .L_ZN2at6native25elementwise_kernel_helperILb0EZZZNS0_12_GLOBAL__N_119airy_ai_kernel_cudaERNS_18TensorIteratorBaseEENKUlvE_clEvENKUlvE0_clEvEUlfE_NS0_6memory8policies10vectorizedILi4ESt5arrayIPcLm2EELi4EEEEEvT0_T1_.has_indirect_call, .L_ZN2at6native25elementwise_kernel_helperILb0EZZZNS0_12_GLOBAL__N_119airy_ai_kernel_cudaERNS_18TensorIteratorBaseEENKUlvE_clEvENKUlvE0_clEvEUlfE_NS0_6memory8policies11unroll_baseILi256ESt5arrayIPcLm2EE23TrivialOffsetCalculatorILi1EjESF_NS8_15LoadWithoutCastENS8_16StoreWithoutCastELi4ELi1EEEEEvT0_T1_.has_indirect_call)
	.section	.AMDGPU.csdata,"",@progbits
; Kernel info:
; codeLenInByte = 164
; TotalNumSgprs: 39
; NumVgprs: 33
; NumAgprs: 0
; TotalNumVgprs: 33
; ScratchSize: 0
; MemoryBound: 0
; FloatMode: 240
; IeeeMode: 1
; LDSByteSize: 0 bytes/workgroup (compile time only)
; SGPRBlocks: 4
; VGPRBlocks: 4
; NumSGPRsForWavesPerEU: 39
; NumVGPRsForWavesPerEU: 33
; AccumOffset: 36
; Occupancy: 8
; WaveLimiterHint : 0
; COMPUTE_PGM_RSRC2:SCRATCH_EN: 0
; COMPUTE_PGM_RSRC2:USER_SGPR: 2
; COMPUTE_PGM_RSRC2:TRAP_HANDLER: 0
; COMPUTE_PGM_RSRC2:TGID_X_EN: 1
; COMPUTE_PGM_RSRC2:TGID_Y_EN: 0
; COMPUTE_PGM_RSRC2:TGID_Z_EN: 0
; COMPUTE_PGM_RSRC2:TIDIG_COMP_CNT: 0
; COMPUTE_PGM_RSRC3_GFX90A:ACCUM_OFFSET: 8
; COMPUTE_PGM_RSRC3_GFX90A:TG_SPLIT: 0
	.section	.text._ZN2at6native29vectorized_elementwise_kernelILi2EZZZNS0_12_GLOBAL__N_119airy_ai_kernel_cudaERNS_18TensorIteratorBaseEENKUlvE_clEvENKUlvE0_clEvEUlfE_St5arrayIPcLm2EEEEviT0_T1_,"axG",@progbits,_ZN2at6native29vectorized_elementwise_kernelILi2EZZZNS0_12_GLOBAL__N_119airy_ai_kernel_cudaERNS_18TensorIteratorBaseEENKUlvE_clEvENKUlvE0_clEvEUlfE_St5arrayIPcLm2EEEEviT0_T1_,comdat
	.globl	_ZN2at6native29vectorized_elementwise_kernelILi2EZZZNS0_12_GLOBAL__N_119airy_ai_kernel_cudaERNS_18TensorIteratorBaseEENKUlvE_clEvENKUlvE0_clEvEUlfE_St5arrayIPcLm2EEEEviT0_T1_ ; -- Begin function _ZN2at6native29vectorized_elementwise_kernelILi2EZZZNS0_12_GLOBAL__N_119airy_ai_kernel_cudaERNS_18TensorIteratorBaseEENKUlvE_clEvENKUlvE0_clEvEUlfE_St5arrayIPcLm2EEEEviT0_T1_
	.p2align	8
	.type	_ZN2at6native29vectorized_elementwise_kernelILi2EZZZNS0_12_GLOBAL__N_119airy_ai_kernel_cudaERNS_18TensorIteratorBaseEENKUlvE_clEvENKUlvE0_clEvEUlfE_St5arrayIPcLm2EEEEviT0_T1_,@function
_ZN2at6native29vectorized_elementwise_kernelILi2EZZZNS0_12_GLOBAL__N_119airy_ai_kernel_cudaERNS_18TensorIteratorBaseEENKUlvE_clEvENKUlvE0_clEvEUlfE_St5arrayIPcLm2EEEEviT0_T1_: ; @_ZN2at6native29vectorized_elementwise_kernelILi2EZZZNS0_12_GLOBAL__N_119airy_ai_kernel_cudaERNS_18TensorIteratorBaseEENKUlvE_clEvENKUlvE0_clEvEUlfE_St5arrayIPcLm2EEEEviT0_T1_
; %bb.0:
	s_load_dword s3, s[0:1], 0x0
	s_load_dwordx4 s[8:11], s[0:1], 0x8
	s_lshl_b32 s0, s2, 10
	s_mov_b64 s[4:5], -1
	s_mov_b32 s32, 0
	s_waitcnt lgkmcnt(0)
	s_sub_i32 s3, s3, s0
	s_cmpk_gt_i32 s3, 0x3ff
	s_cbranch_scc0 .LBB17_14
; %bb.1:
	s_ashr_i32 s1, s0, 31
	s_lshl_b64 s[12:13], s[0:1], 2
	s_add_u32 s0, s10, s12
	s_addc_u32 s1, s11, s13
	v_lshlrev_b32_e32 v1, 3, v0
	global_load_dwordx2 v[6:7], v1, s[0:1]
	global_load_dwordx2 v[4:5], v1, s[0:1] offset:2048
	s_mov_b32 s24, 0x7f800000
	v_mov_b32_e32 v14, 0
	v_mov_b32_e32 v3, 0x7fc00000
	;; [unrolled: 1-line block ×3, first 2 shown]
	s_waitcnt vmcnt(1)
	v_cmp_neq_f32_e64 s[0:1], |v6|, s24
	s_and_saveexec_b64 s[14:15], s[0:1]
	s_cbranch_execz .LBB17_25
; %bb.2:
	s_mov_b32 s0, 0x42cfc8b4
	v_cmp_nlt_f32_e32 vcc, s0, v6
	s_and_saveexec_b64 s[16:17], vcc
	s_cbranch_execz .LBB17_24
; %bb.3:
	s_mov_b32 s0, 0xc005c28f
	v_cmp_ngt_f32_e32 vcc, s0, v6
                                        ; implicit-def: $vgpr14
	s_and_saveexec_b64 s[0:1], vcc
	s_xor_b64 s[4:5], exec, s[0:1]
	s_cbranch_execz .LBB17_11
; %bb.4:
	s_mov_b32 s0, 0x4005c28f
	v_cmp_nle_f32_e64 s[6:7], s0, v6
	v_cmp_le_f32_e32 vcc, s0, v6
	v_mov_b32_e32 v14, 0
	s_mov_b64 s[0:1], s[6:7]
	s_and_saveexec_b64 s[18:19], vcc
	s_cbranch_execz .LBB17_6
; %bb.5:
	s_mov_b32 s20, 0xf800000
	v_mul_f32_e32 v2, 0x4f800000, v6
	v_cmp_gt_f32_e32 vcc, s20, v6
	v_add_f32_e32 v9, v6, v6
	s_mov_b32 s21, 0x40400000
	v_cndmask_b32_e32 v2, v6, v2, vcc
	v_sqrt_f32_e32 v8, v2
	s_nop 0
	v_add_u32_e32 v10, -1, v8
	v_fma_f32 v11, -v10, v8, v2
	v_cmp_ge_f32_e64 s[0:1], 0, v11
	v_add_u32_e32 v11, 1, v8
	s_nop 0
	v_cndmask_b32_e64 v10, v8, v10, s[0:1]
	v_fma_f32 v8, -v11, v8, v2
	v_cmp_lt_f32_e64 s[0:1], 0, v8
	s_nop 1
	v_cndmask_b32_e64 v8, v10, v11, s[0:1]
	v_mul_f32_e32 v10, 0x37800000, v8
	v_cndmask_b32_e32 v8, v8, v10, vcc
	v_mov_b32_e32 v10, 0x260
	v_cmp_class_f32_e32 vcc, v2, v10
	s_nop 1
	v_cndmask_b32_e32 v11, v8, v2, vcc
	v_mul_f32_e32 v2, v9, v11
	v_div_scale_f32 v8, s[0:1], s21, s21, v2
	v_rcp_f32_e32 v9, v8
	s_nop 0
	v_fma_f32 v12, -v8, v9, 1.0
	v_fmac_f32_e32 v9, v12, v9
	v_div_scale_f32 v12, vcc, v2, s21, v2
	v_mul_f32_e32 v13, v12, v9
	v_fma_f32 v14, -v8, v13, v12
	v_fmac_f32_e32 v13, v14, v9
	v_fma_f32 v8, -v8, v13, v12
	v_div_fmas_f32 v8, v8, v9, v13
	v_div_fixup_f32 v12, v8, s21, v2
	v_div_scale_f32 v2, s[0:1], v12, v12, 1.0
	v_rcp_f32_e32 v8, v2
	s_mov_b32 s0, 0x3eb16d71
	s_mov_b32 s1, 0x3f114de0
	v_fma_f32 v9, -v2, v8, 1.0
	v_fmac_f32_e32 v8, v9, v8
	v_div_scale_f32 v9, vcc, 1.0, v12, 1.0
	v_mul_f32_e32 v13, v9, v8
	v_fma_f32 v14, -v2, v13, v9
	v_fmac_f32_e32 v13, v14, v8
	v_fma_f32 v2, -v2, v13, v9
	v_div_fmas_f32 v2, v2, v8, v13
	v_div_fixup_f32 v2, v2, v12, 1.0
	v_mul_f32_e32 v8, 0, v2
	v_pk_add_f32 v[8:9], v[8:9], s[0:1] op_sel_hi:[0,1]
	s_mov_b32 s0, 0x41401f1c
	s_mov_b32 s1, 0x416c19a0
	v_pk_fma_f32 v[8:9], v[2:3], v[8:9], s[0:1] op_sel_hi:[0,1,1]
	s_mov_b32 s0, 0x42988f28
	s_mov_b32 s1, 0x42a9071e
	v_pk_fma_f32 v[8:9], v[2:3], v[8:9], s[0:1] op_sel_hi:[0,1,1]
	;; [unrolled: 3-line block ×6, first 2 shown]
	v_pk_fma_f32 v[8:9], v[2:3], v[8:9], 1.0 op_sel_hi:[0,1,0]
	v_div_scale_f32 v2, s[0:1], v9, v9, v8
	v_rcp_f32_e32 v13, v2
	v_cmp_gt_f32_e64 s[0:1], s20, v11
	v_fma_f32 v14, -v2, v13, 1.0
	v_fmac_f32_e32 v13, v14, v13
	v_div_scale_f32 v14, vcc, v8, v9, v8
	v_mul_f32_e32 v15, v14, v13
	v_fma_f32 v16, -v2, v15, v14
	v_fmac_f32_e32 v15, v16, v13
	v_fma_f32 v2, -v2, v15, v14
	v_mul_f32_e32 v14, 0x4f800000, v11
	v_cndmask_b32_e64 v11, v11, v14, s[0:1]
	v_sqrt_f32_e32 v14, v11
	v_div_fmas_f32 v2, v2, v13, v15
	v_div_fixup_f32 v8, v2, v9, v8
	v_add_u32_e32 v2, -1, v14
	v_fma_f32 v9, -v2, v14, v11
	v_cmp_ge_f32_e32 vcc, 0, v9
	v_add_u32_e32 v9, 1, v14
	v_fma_f32 v13, -v9, v14, v11
	v_cndmask_b32_e32 v2, v14, v2, vcc
	v_cmp_lt_f32_e32 vcc, 0, v13
	s_nop 1
	v_cndmask_b32_e32 v2, v2, v9, vcc
	v_mul_f32_e32 v9, 0x37800000, v2
	v_cndmask_b32_e64 v2, v2, v9, s[0:1]
	v_cmp_class_f32_e32 vcc, v11, v10
	s_mov_b32 s0, 0x3fb8aa3b
	s_nop 0
	v_cndmask_b32_e32 v9, v2, v11, vcc
	v_mul_f32_e32 v2, 0x3fb8aa3b, v12
	v_fma_f32 v10, v12, s0, -v2
	v_rndne_f32_e32 v11, v2
	v_fmamk_f32 v10, v12, 0x32a5705f, v10
	v_sub_f32_e32 v2, v2, v11
	v_add_f32_e32 v2, v2, v10
	v_exp_f32_e32 v2, v2
	v_cvt_i32_f32_e32 v10, v11
	s_mov_b32 s0, 0x3f106ebb
	s_mov_b32 s1, 2.0
	v_pk_mul_f32 v[8:9], v[8:9], s[0:1]
	s_mov_b32 s0, 0xc2ce8ed0
	v_ldexp_f32 v2, v2, v10
	v_cmp_ngt_f32_e32 vcc, s0, v12
	s_mov_b32 s0, 0x42b17218
	v_mov_b32_e32 v10, 0x7f800000
	v_cndmask_b32_e32 v2, 0, v2, vcc
	v_cmp_nlt_f32_e32 vcc, s0, v12
	s_nop 1
	v_cndmask_b32_e32 v2, v10, v2, vcc
	v_mul_f32_e32 v2, v9, v2
	v_div_scale_f32 v9, s[0:1], v2, v2, v8
	v_rcp_f32_e32 v10, v9
	s_mov_b32 s0, 0x41052018
	v_fma_f32 v11, -v9, v10, 1.0
	v_fmac_f32_e32 v10, v11, v10
	v_div_scale_f32 v11, vcc, v8, v2, v8
	v_mul_f32_e32 v12, v11, v10
	v_fma_f32 v13, -v9, v12, v11
	v_fmac_f32_e32 v12, v13, v10
	v_fma_f32 v9, -v9, v12, v11
	v_div_fmas_f32 v9, v9, v10, v12
	v_cmp_nlt_f32_e32 vcc, s0, v6
	s_andn2_b64 s[0:1], s[6:7], exec
	s_and_b64 s[20:21], vcc, exec
	v_div_fixup_f32 v14, v9, v2, v8
	s_or_b64 s[0:1], s[0:1], s[20:21]
.LBB17_6:
	s_or_b64 exec, exec, s[18:19]
	s_and_saveexec_b64 s[18:19], s[0:1]
	s_cbranch_execz .LBB17_10
; %bb.7:
	v_mul_f32_e32 v2, v6, v6
	v_mul_f32_e32 v10, v6, v2
	v_mov_b32_e32 v11, v10
	s_mov_b64 s[20:21], 0
	v_mov_b32_e32 v2, 1.0
	v_mov_b32_e32 v8, 1.0
	;; [unrolled: 1-line block ×3, first 2 shown]
	s_brev_b32 s22, 44
	v_mov_b32_e32 v9, v6
	v_mov_b32_e32 v13, v6
.LBB17_8:                               ; =>This Inner Loop Header: Depth=1
	v_pk_mul_f32 v[12:13], v[10:11], v[12:13]
	v_add_f32_e32 v15, 1.0, v2
	v_add_f32_e32 v16, 1.0, v15
	v_div_scale_f32 v17, s[0:1], v15, v15, v12
	v_rcp_f32_e32 v19, v17
	v_div_scale_f32 v20, s[0:1], v16, v16, v13
	v_rcp_f32_e32 v22, v20
	v_fma_f32 v23, -v17, v19, 1.0
	v_div_scale_f32 v18, vcc, v12, v15, v12
	v_fmac_f32_e32 v19, v23, v19
	v_fma_f32 v23, -v20, v22, 1.0
	v_div_scale_f32 v21, s[0:1], v13, v16, v13
	v_mul_f32_e32 v24, v18, v19
	v_fmac_f32_e32 v22, v23, v22
	v_fma_f32 v23, -v17, v24, v18
	v_mul_f32_e32 v25, v21, v22
	v_fmac_f32_e32 v24, v23, v19
	v_fma_f32 v23, -v20, v25, v21
	v_fma_f32 v17, -v17, v24, v18
	v_fmac_f32_e32 v25, v23, v22
	v_div_fmas_f32 v17, v17, v19, v24
	v_fma_f32 v18, -v20, v25, v21
	s_mov_b64 vcc, s[0:1]
	v_div_fixup_f32 v12, v17, v15, v12
	v_div_fmas_f32 v15, v18, v22, v25
	v_add_f32_e32 v2, 1.0, v16
	v_div_fixup_f32 v13, v15, v16, v13
	v_div_scale_f32 v15, s[0:1], v16, v16, v12
	v_div_scale_f32 v18, s[26:27], v2, v2, v13
	v_rcp_f32_e32 v20, v15
	v_rcp_f32_e32 v21, v18
	v_div_scale_f32 v17, s[0:1], v12, v16, v12
	v_fma_f32 v22, -v15, v20, 1.0
	v_fma_f32 v23, -v18, v21, 1.0
	v_div_scale_f32 v19, vcc, v13, v2, v13
	v_fmac_f32_e32 v20, v22, v20
	v_fmac_f32_e32 v21, v23, v21
	v_mul_f32_e32 v22, v17, v20
	v_mul_f32_e32 v23, v19, v21
	v_fma_f32 v24, -v15, v22, v17
	v_fma_f32 v25, -v18, v23, v19
	v_fmac_f32_e32 v22, v24, v20
	v_fmac_f32_e32 v23, v25, v21
	v_fma_f32 v15, -v15, v22, v17
	v_fma_f32 v17, -v18, v23, v19
	v_div_fmas_f32 v17, v17, v21, v23
	s_mov_b64 vcc, s[0:1]
	v_div_fmas_f32 v15, v15, v20, v22
	v_div_fixup_f32 v13, v17, v2, v13
	v_div_fixup_f32 v12, v15, v16, v12
	v_pk_add_f32 v[8:9], v[8:9], v[12:13]
	s_nop 0
	v_div_scale_f32 v15, s[0:1], v8, v8, v12
	v_rcp_f32_e32 v16, v15
	v_div_scale_f32 v17, vcc, v12, v8, v12
	v_fma_f32 v18, -v15, v16, 1.0
	v_fmac_f32_e32 v16, v18, v16
	v_mul_f32_e32 v18, v17, v16
	v_fma_f32 v19, -v15, v18, v17
	v_fmac_f32_e32 v18, v19, v16
	v_fma_f32 v15, -v15, v18, v17
	v_div_fmas_f32 v15, v15, v16, v18
	v_div_fixup_f32 v15, v15, v8, v12
	v_cmp_ngt_f32_e64 s[0:1], |v15|, s22
	s_or_b64 s[20:21], s[0:1], s[20:21]
	s_andn2_b64 exec, exec, s[20:21]
	s_cbranch_execnz .LBB17_8
; %bb.9:
	s_or_b64 exec, exec, s[20:21]
	s_mov_b32 s0, 0x3eb5c63d
	s_mov_b32 s1, 0x3e8483fa
	v_pk_mul_f32 v[8:9], v[8:9], s[0:1]
	s_nop 0
	v_sub_f32_e32 v2, v8, v9
	v_cndmask_b32_e64 v14, v14, v2, s[6:7]
.LBB17_10:
	s_or_b64 exec, exec, s[18:19]
.LBB17_11:
	s_andn2_saveexec_b64 s[18:19], s[4:5]
	s_cbranch_execz .LBB17_23
; %bb.12:
	s_mov_b32 s0, 0x8f800000
	v_mul_f32_e32 v2, 0xcf800000, v6
	v_cmp_lt_f32_e32 vcc, s0, v6
	s_mov_b32 s4, 0x40400000
	s_nop 0
	v_cndmask_b32_e64 v2, -v6, v2, vcc
	v_sqrt_f32_e32 v8, v2
	v_mul_f32_e32 v6, -2.0, v6
	v_add_u32_e32 v9, -1, v8
	v_fma_f32 v10, -v9, v8, v2
	v_cmp_ge_f32_e64 s[0:1], 0, v10
	v_add_u32_e32 v10, 1, v8
	s_nop 0
	v_cndmask_b32_e64 v9, v8, v9, s[0:1]
	v_fma_f32 v8, -v10, v8, v2
	v_cmp_lt_f32_e64 s[0:1], 0, v8
	s_nop 1
	v_cndmask_b32_e64 v8, v9, v10, s[0:1]
	v_mul_f32_e32 v9, 0x37800000, v8
	v_cndmask_b32_e32 v8, v8, v9, vcc
	v_mov_b32_e32 v9, 0x260
	v_cmp_class_f32_e32 vcc, v2, v9
	s_nop 1
	v_cndmask_b32_e32 v2, v8, v2, vcc
	v_mul_f32_e32 v6, v6, v2
	v_div_scale_f32 v8, s[0:1], s4, s4, v6
	v_rcp_f32_e32 v9, v8
	s_brev_b32 s0, 18
	v_fma_f32 v10, -v8, v9, 1.0
	v_fmac_f32_e32 v9, v10, v9
	v_div_scale_f32 v10, vcc, v6, s4, v6
	v_mul_f32_e32 v11, v10, v9
	v_fma_f32 v12, -v8, v11, v10
	v_fmac_f32_e32 v11, v12, v9
	v_fma_f32 v8, -v8, v11, v10
	v_div_fmas_f32 v8, v8, v9, v11
	v_div_fixup_f32 v9, v8, s4, v6
	v_add_f32_e32 v6, 0x3f490fdb, v9
	v_and_b32_e32 v8, 0x7fffffff, v6
	v_cmp_nlt_f32_e64 s[20:21], |v6|, s0
	v_lshrrev_b32_e32 v14, 23, v8
                                        ; implicit-def: $vgpr10
                                        ; implicit-def: $vgpr11
	s_and_saveexec_b64 s[0:1], s[20:21]
	s_xor_b64 s[22:23], exec, s[0:1]
	s_cbranch_execz .LBB17_16
; %bb.13:
	v_add_u32_e32 v10, 0xffffff88, v14
	v_not_b32_e32 v11, 63
	v_cmp_lt_u32_e32 vcc, 63, v10
	s_mov_b32 s6, 0xfe5163ab
	v_mov_b32_e32 v13, 0
	v_cndmask_b32_e32 v11, 0, v11, vcc
	v_add_u32_e32 v10, v11, v10
	v_not_b32_e32 v11, 31
	v_cmp_lt_u32_e64 s[0:1], 31, v10
	s_nop 1
	v_cndmask_b32_e64 v12, 0, v11, s[0:1]
	v_add_u32_e32 v10, v12, v10
	v_cmp_lt_u32_e64 s[4:5], 31, v10
	s_nop 1
	v_cndmask_b32_e64 v11, 0, v11, s[4:5]
	v_add_u32_e32 v15, v11, v10
	v_and_b32_e32 v10, 0x7fffff, v8
	v_or_b32_e32 v26, 0x800000, v10
	v_mad_u64_u32 v[10:11], s[6:7], v26, s6, 0
	v_mov_b32_e32 v12, v11
	s_mov_b32 s6, 0x3c439041
	v_mad_u64_u32 v[16:17], s[6:7], v26, s6, v[12:13]
	v_mov_b32_e32 v12, v17
	s_mov_b32 s6, 0xdb629599
	;; [unrolled: 3-line block ×6, first 2 shown]
	v_mad_u64_u32 v[12:13], s[6:7], v26, s6, v[12:13]
	v_cndmask_b32_e32 v11, v24, v20, vcc
	v_cndmask_b32_e32 v12, v12, v22, vcc
	;; [unrolled: 1-line block ×3, first 2 shown]
	v_cndmask_b32_e64 v17, v12, v11, s[0:1]
	v_cndmask_b32_e64 v12, v13, v12, s[0:1]
	v_cndmask_b32_e32 v13, v22, v18, vcc
	v_cndmask_b32_e64 v11, v11, v13, s[0:1]
	v_sub_u32_e32 v19, 32, v15
	v_cmp_eq_u32_e64 s[6:7], 0, v15
	v_cndmask_b32_e32 v15, v20, v16, vcc
	v_cndmask_b32_e64 v12, v12, v17, s[4:5]
	v_cndmask_b32_e64 v17, v17, v11, s[4:5]
	;; [unrolled: 1-line block ×3, first 2 shown]
	v_alignbit_b32 v21, v12, v17, v19
	v_cndmask_b32_e64 v11, v11, v13, s[4:5]
	v_cndmask_b32_e64 v12, v21, v12, s[6:7]
	v_alignbit_b32 v16, v17, v11, v19
	v_cndmask_b32_e32 v10, v18, v10, vcc
	v_cndmask_b32_e64 v16, v16, v17, s[6:7]
	v_bfe_u32 v21, v12, 29, 1
	v_cndmask_b32_e64 v10, v15, v10, s[0:1]
	v_alignbit_b32 v17, v12, v16, 30
	v_sub_u32_e32 v22, 0, v21
	v_cndmask_b32_e64 v10, v13, v10, s[4:5]
	v_xor_b32_e32 v17, v17, v22
	v_alignbit_b32 v13, v11, v10, v19
	v_cndmask_b32_e64 v11, v13, v11, s[6:7]
	v_ffbh_u32_e32 v15, v17
	v_alignbit_b32 v13, v16, v11, 30
	v_min_u32_e32 v15, 32, v15
	v_alignbit_b32 v10, v11, v10, 30
	v_xor_b32_e32 v13, v13, v22
	v_sub_u32_e32 v16, 31, v15
	v_xor_b32_e32 v10, v10, v22
	v_alignbit_b32 v17, v17, v13, v16
	v_alignbit_b32 v10, v13, v10, v16
	v_alignbit_b32 v11, v17, v10, 9
	v_ffbh_u32_e32 v13, v11
	v_min_u32_e32 v13, 32, v13
	v_lshrrev_b32_e32 v20, 29, v12
	v_not_b32_e32 v16, v13
	v_alignbit_b32 v10, v11, v10, v16
	v_lshlrev_b32_e32 v11, 31, v20
	v_or_b32_e32 v16, 0x33000000, v11
	v_add_lshl_u32 v13, v13, v15, 23
	v_lshrrev_b32_e32 v10, 9, v10
	v_sub_u32_e32 v13, v16, v13
	v_or_b32_e32 v11, 0.5, v11
	v_lshlrev_b32_e32 v15, 23, v15
	v_or_b32_e32 v10, v13, v10
	v_lshrrev_b32_e32 v13, 9, v17
	v_sub_u32_e32 v11, v11, v15
	v_or_b32_e32 v11, v13, v11
	s_mov_b32 s0, 0x3fc90fda
	v_mul_f32_e32 v13, 0x3fc90fda, v11
	v_fma_f32 v15, v11, s0, -v13
	v_fmamk_f32 v11, v11, 0x33a22168, v15
	v_fmac_f32_e32 v11, 0x3fc90fda, v10
	v_lshrrev_b32_e32 v10, 30, v12
	v_add_f32_e32 v11, v13, v11
	v_add_u32_e32 v10, v21, v10
	s_andn2_saveexec_b64 s[0:1], s[22:23]
	s_cbranch_execz .LBB17_18
	s_branch .LBB17_17
.LBB17_14:
	s_and_b64 vcc, exec, s[4:5]
	s_cbranch_vccz .LBB17_92
; %bb.15:
	s_getpc_b64 s[0:1]
	s_add_u32 s0, s0, _ZN2at6native25elementwise_kernel_helperILb0EZZZNS0_12_GLOBAL__N_119airy_ai_kernel_cudaERNS_18TensorIteratorBaseEENKUlvE_clEvENKUlvE0_clEvEUlfE_NS0_6memory8policies11unroll_baseILi256ESt5arrayIPcLm2EE23TrivialOffsetCalculatorILi1EjESF_NS8_15LoadWithoutCastENS8_16StoreWithoutCastELi4ELi1EEEEEvT0_T1_@rel32@lo+4
	s_addc_u32 s1, s1, _ZN2at6native25elementwise_kernel_helperILb0EZZZNS0_12_GLOBAL__N_119airy_ai_kernel_cudaERNS_18TensorIteratorBaseEENKUlvE_clEvENKUlvE0_clEvEUlfE_NS0_6memory8policies11unroll_baseILi256ESt5arrayIPcLm2EE23TrivialOffsetCalculatorILi1EjESF_NS8_15LoadWithoutCastENS8_16StoreWithoutCastELi4ELi1EEEEEvT0_T1_@rel32@hi+12
	s_mov_b32 s12, s2
	v_mov_b32_e32 v31, v0
	v_mov_b32_e32 v0, s8
	;; [unrolled: 1-line block ×6, first 2 shown]
	s_swappc_b64 s[30:31], s[0:1]
	s_endpgm
.LBB17_16:
	s_andn2_saveexec_b64 s[0:1], s[22:23]
	s_cbranch_execz .LBB17_18
.LBB17_17:
	s_mov_b32 s4, 0x3f22f983
	v_mul_f32_e64 v10, |v6|, s4
	v_rndne_f32_e32 v11, v10
	s_mov_b32 s4, 0xbfc90fda
	v_cvt_i32_f32_e32 v10, v11
	v_fma_f32 v12, v11, s4, |v6|
	v_fmamk_f32 v12, v11, 0xb3a22168, v12
	v_fmamk_f32 v11, v11, 0xa7c234c4, v12
.LBB17_18:
	s_or_b64 exec, exec, s[0:1]
                                        ; implicit-def: $vgpr12
                                        ; implicit-def: $vgpr13
	s_and_saveexec_b64 s[0:1], s[20:21]
	s_xor_b64 s[20:21], exec, s[0:1]
	s_cbranch_execz .LBB17_20
; %bb.19:
	v_add_u32_e32 v12, 0xffffff88, v14
	v_not_b32_e32 v13, 63
	v_cmp_lt_u32_e32 vcc, 63, v12
	s_mov_b32 s6, 0xfe5163ab
	v_mov_b32_e32 v15, 0
	v_cndmask_b32_e32 v13, 0, v13, vcc
	v_add_u32_e32 v12, v13, v12
	v_not_b32_e32 v13, 31
	v_cmp_lt_u32_e64 s[0:1], 31, v12
	s_nop 1
	v_cndmask_b32_e64 v14, 0, v13, s[0:1]
	v_add_u32_e32 v12, v14, v12
	v_cmp_lt_u32_e64 s[4:5], 31, v12
	s_nop 1
	v_cndmask_b32_e64 v13, 0, v13, s[4:5]
	v_add_u32_e32 v26, v13, v12
	v_and_b32_e32 v12, 0x7fffff, v8
	v_or_b32_e32 v27, 0x800000, v12
	v_mad_u64_u32 v[12:13], s[6:7], v27, s6, 0
	v_mov_b32_e32 v14, v13
	s_mov_b32 s6, 0x3c439041
	v_mad_u64_u32 v[16:17], s[6:7], v27, s6, v[14:15]
	v_mov_b32_e32 v14, v17
	s_mov_b32 s6, 0xdb629599
	;; [unrolled: 3-line block ×6, first 2 shown]
	v_mad_u64_u32 v[14:15], s[6:7], v27, s6, v[14:15]
	v_cndmask_b32_e32 v13, v24, v20, vcc
	v_cndmask_b32_e32 v14, v14, v22, vcc
	v_cndmask_b32_e32 v15, v15, v24, vcc
	v_cndmask_b32_e64 v17, v14, v13, s[0:1]
	v_cndmask_b32_e64 v14, v15, v14, s[0:1]
	v_cndmask_b32_e32 v15, v22, v18, vcc
	v_cndmask_b32_e64 v13, v13, v15, s[0:1]
	v_cndmask_b32_e32 v16, v20, v16, vcc
	v_cndmask_b32_e64 v14, v14, v17, s[4:5]
	v_cndmask_b32_e64 v17, v17, v13, s[4:5]
	v_sub_u32_e32 v19, 32, v26
	v_cndmask_b32_e64 v15, v15, v16, s[0:1]
	v_alignbit_b32 v21, v14, v17, v19
	v_cmp_eq_u32_e64 s[6:7], 0, v26
	v_cndmask_b32_e64 v13, v13, v15, s[4:5]
	v_alignbit_b32 v20, v17, v13, v19
	v_cndmask_b32_e64 v14, v21, v14, s[6:7]
	v_cndmask_b32_e32 v12, v18, v12, vcc
	v_cndmask_b32_e64 v17, v20, v17, s[6:7]
	v_bfe_u32 v22, v14, 29, 1
	v_cndmask_b32_e64 v12, v16, v12, s[0:1]
	v_alignbit_b32 v20, v14, v17, 30
	v_sub_u32_e32 v23, 0, v22
	v_cndmask_b32_e64 v12, v15, v12, s[4:5]
	v_xor_b32_e32 v20, v20, v23
	v_alignbit_b32 v15, v13, v12, v19
	v_cndmask_b32_e64 v13, v15, v13, s[6:7]
	v_ffbh_u32_e32 v16, v20
	v_alignbit_b32 v15, v17, v13, 30
	v_min_u32_e32 v16, 32, v16
	v_alignbit_b32 v12, v13, v12, 30
	v_xor_b32_e32 v15, v15, v23
	v_sub_u32_e32 v17, 31, v16
	v_xor_b32_e32 v12, v12, v23
	v_alignbit_b32 v18, v20, v15, v17
	v_alignbit_b32 v12, v15, v12, v17
	;; [unrolled: 1-line block ×3, first 2 shown]
	v_ffbh_u32_e32 v15, v13
	v_min_u32_e32 v15, 32, v15
	v_lshrrev_b32_e32 v21, 29, v14
	v_not_b32_e32 v17, v15
	v_alignbit_b32 v12, v13, v12, v17
	v_lshlrev_b32_e32 v13, 31, v21
	v_or_b32_e32 v17, 0x33000000, v13
	v_add_lshl_u32 v15, v15, v16, 23
	v_lshrrev_b32_e32 v12, 9, v12
	v_sub_u32_e32 v15, v17, v15
	v_or_b32_e32 v13, 0.5, v13
	v_lshlrev_b32_e32 v16, 23, v16
	v_or_b32_e32 v12, v15, v12
	v_lshrrev_b32_e32 v15, 9, v18
	v_sub_u32_e32 v13, v13, v16
	v_or_b32_e32 v13, v15, v13
	s_mov_b32 s0, 0x3fc90fda
	v_mul_f32_e32 v15, 0x3fc90fda, v13
	v_fma_f32 v16, v13, s0, -v15
	v_fmamk_f32 v13, v13, 0x33a22168, v16
	v_fmac_f32_e32 v13, 0x3fc90fda, v12
	v_lshrrev_b32_e32 v12, 30, v14
	v_add_f32_e32 v13, v15, v13
	v_add_u32_e32 v12, v22, v12
	s_andn2_saveexec_b64 s[0:1], s[20:21]
	s_cbranch_execnz .LBB17_21
	s_branch .LBB17_22
.LBB17_20:
	s_andn2_saveexec_b64 s[0:1], s[20:21]
	s_cbranch_execz .LBB17_22
.LBB17_21:
	s_mov_b32 s4, 0x3f22f983
	v_mul_f32_e64 v12, |v6|, s4
	v_rndne_f32_e32 v13, v12
	s_mov_b32 s4, 0xbfc90fda
	v_cvt_i32_f32_e32 v12, v13
	v_fma_f32 v14, v13, s4, |v6|
	v_fmamk_f32 v14, v13, 0xb3a22168, v14
	v_fmamk_f32 v13, v13, 0xa7c234c4, v14
.LBB17_22:
	s_or_b64 exec, exec, s[0:1]
	v_div_scale_f32 v14, s[0:1], v9, v9, 1.0
	v_rcp_f32_e32 v15, v14
	v_div_scale_f32 v16, vcc, 1.0, v9, 1.0
	v_xor_b32_e32 v8, v8, v6
	v_fma_f32 v17, -v14, v15, 1.0
	v_fmac_f32_e32 v15, v17, v15
	v_mul_f32_e32 v17, v16, v15
	v_fma_f32 v18, -v14, v17, v16
	v_fmac_f32_e32 v17, v18, v15
	v_fma_f32 v14, -v14, v17, v16
	v_div_fmas_f32 v14, v14, v15, v17
	v_div_fixup_f32 v9, v14, v9, 1.0
	v_mul_f32_e32 v14, v9, v9
	v_mov_b32_e32 v15, 0xbe06db67
	v_mul_f32_e32 v17, v11, v11
	v_mov_b32_e32 v18, 0x3c0881c4
	v_fmac_f32_e32 v15, 0, v14
	v_mov_b32_e32 v16, 0x4155b259
	v_fmamk_f32 v19, v17, 0xb94c1982, v18
	v_fmaak_f32 v15, v14, v15, 0xbf205f75
	v_fmac_f32_e32 v16, 0, v14
	v_fmaak_f32 v19, v17, v19, 0xbe2aaa9d
	v_fmaak_f32 v15, v14, v15, 0xbf3172ce
	;; [unrolled: 1-line block ×3, first 2 shown]
	v_mul_f32_e32 v19, v17, v19
	v_fmaak_f32 v15, v14, v15, 0xbe8f3f52
	v_fmaak_f32 v16, v14, v16, 0x41d5e4c5
	v_fmac_f32_e32 v11, v11, v19
	v_mov_b32_e32 v19, 0xbab64f3b
	v_fmaak_f32 v15, v14, v15, 0xbd497b78
	v_fmaak_f32 v16, v14, v16, 0x4112fe41
	v_fmamk_f32 v21, v17, 0x37d75334, v19
	v_fmaak_f32 v15, v14, v15, 0xbb85200e
	v_fmaak_f32 v16, v14, v16, 0x3fbcd65a
	v_fmaak_f32 v21, v17, v21, 0x3d2aabf7
	v_fmaak_f32 v15, v14, v15, 0xb9270375
	v_fmaak_f32 v16, v14, v16, 0x3deced66
	v_fmaak_f32 v21, v17, v21, 0xbf000004
	v_fmaak_f32 v15, v14, v15, 0xb63a53c1
	v_fmaak_f32 v16, v14, v16, 0x3b904657
	v_fma_f32 v17, v17, v21, 1.0
	v_and_b32_e32 v21, 1, v10
	v_lshlrev_b32_e32 v10, 30, v10
	v_fmaak_f32 v16, v14, v16, 0x389e46bd
	v_fmaak_f32 v15, v14, v15, 0xb29020e8
	v_cmp_eq_u32_e32 vcc, 0, v21
	v_and_b32_e32 v10, 0x80000000, v10
	v_fmaak_f32 v16, v14, v16, 0x34f295ce
	v_cndmask_b32_e32 v11, v17, v11, vcc
	v_xor_b32_e32 v8, v8, v10
	v_mul_f32_e32 v10, v14, v15
	v_xor_b32_e32 v8, v8, v11
	v_div_scale_f32 v11, s[0:1], v16, v16, v10
	v_rcp_f32_e32 v15, v11
	s_movk_i32 s4, 0x1f8
	v_mov_b32_e32 v17, 0x7fc00000
	v_cmp_class_f32_e64 s[0:1], v6, s4
	s_mov_b32 s4, 0xf800000
	s_mov_b32 s7, 0x3f106ebb
	v_cndmask_b32_e64 v6, v17, v8, s[0:1]
	v_fma_f32 v8, -v11, v15, 1.0
	v_fmac_f32_e32 v15, v8, v15
	v_div_scale_f32 v8, vcc, v10, v16, v10
	v_mul_f32_e32 v21, v8, v15
	v_fma_f32 v24, -v11, v21, v8
	v_fmac_f32_e32 v21, v24, v15
	v_fma_f32 v8, -v11, v21, v8
	v_div_fmas_f32 v8, v8, v15, v21
	v_mul_f32_e32 v15, 0x4f800000, v2
	v_cmp_gt_f32_e32 vcc, s4, v2
	v_div_fixup_f32 v8, v8, v16, v10
	v_mov_b32_e32 v10, 0x3ca1a92f
	v_cndmask_b32_e32 v2, v2, v15, vcc
	v_sqrt_f32_e32 v15, v2
	v_fmac_f32_e32 v10, 0, v14
	v_mov_b32_e32 v11, 0x4114f160
	v_fmaak_f32 v10, v14, v10, 0x3ec83ea8
	v_add_u32_e32 v16, -1, v15
	v_fma_f32 v21, -v16, v15, v2
	v_cmp_ge_f32_e64 s[4:5], 0, v21
	v_add_u32_e32 v21, 1, v15
	v_fmac_f32_e32 v11, 0, v14
	v_cndmask_b32_e64 v16, v15, v16, s[4:5]
	v_fma_f32 v15, -v21, v15, v2
	v_cmp_lt_f32_e64 s[4:5], 0, v15
	v_fmaak_f32 v10, v14, v10, 0x3f886c1a
	v_fmaak_f32 v11, v14, v11, 0x419eaeae
	v_cndmask_b32_e64 v15, v16, v21, s[4:5]
	v_mul_f32_e32 v16, 0x37800000, v15
	v_cndmask_b32_e32 v15, v15, v16, vcc
	v_mov_b32_e32 v16, 0x260
	v_fmaak_f32 v10, v14, v10, 0x3f706d65
	v_fmaak_f32 v11, v14, v11, 0x417908dc
	v_cmp_class_f32_e32 vcc, v2, v16
	v_fmaak_f32 v10, v14, v10, 0x3eb3f34e
	v_fmaak_f32 v11, v14, v11, 0x40af4271
	v_cndmask_b32_e32 v2, v15, v2, vcc
	v_fmaak_f32 v10, v14, v10, 0x3d81d209
	v_fmaak_f32 v11, v14, v11, 0x3f744c96
	v_div_scale_f32 v15, s[4:5], v2, v2, s7
	v_fmaak_f32 v10, v14, v10, 0x3bbff4d0
	v_fmaak_f32 v11, v14, v11, 0x3db110ef
	v_rcp_f32_e32 v16, v15
	v_fmaak_f32 v10, v14, v10, 0x39944bb3
	v_fmaak_f32 v11, v14, v11, 0x3b873823
	;; [unrolled: 1-line block ×8, first 2 shown]
	v_fma_f32 v14, -v15, v16, 1.0
	v_fmac_f32_e32 v16, v14, v16
	v_div_scale_f32 v14, vcc, s7, v2, s7
	v_mul_f32_e32 v21, v14, v16
	v_fma_f32 v24, -v15, v21, v14
	v_fmac_f32_e32 v21, v24, v16
	v_fma_f32 v14, -v15, v21, v14
	v_div_fmas_f32 v14, v14, v16, v21
	v_div_fixup_f32 v2, v14, v2, s7
	v_mul_f32_e32 v14, v13, v13
	v_mov_b32_e32 v20, 0xbe2aaa9d
	v_fmac_f32_e32 v18, 0xb94c1982, v14
	v_mov_b32_e32 v22, 0x3d2aabf7
	v_fmac_f32_e32 v20, v14, v18
	v_fmac_f32_e32 v19, 0x37d75334, v14
	v_mov_b32_e32 v23, 0xbf000004
	v_mul_f32_e32 v15, v14, v20
	v_fmac_f32_e32 v22, v14, v19
	v_fmac_f32_e32 v13, v13, v15
	v_fmac_f32_e32 v23, v14, v22
	v_and_b32_e32 v15, 1, v12
	v_mul_f32_e32 v9, v9, v10
	v_fma_f32 v14, v14, v23, 1.0
	v_cmp_eq_u32_e32 vcc, 0, v15
	v_div_scale_f32 v10, s[4:5], v11, v11, v9
	s_nop 0
	v_cndmask_b32_e64 v13, -v13, v14, vcc
	v_rcp_f32_e32 v14, v10
	s_brev_b32 s6, 1
	v_lshlrev_b32_e32 v12, 30, v12
	v_bitop3_b32 v12, v12, v13, s6 bitop3:0x6c
	v_fma_f32 v13, -v10, v14, 1.0
	v_fmac_f32_e32 v14, v13, v14
	v_div_scale_f32 v13, vcc, v9, v11, v9
	v_mul_f32_e32 v15, v13, v14
	v_fma_f32 v16, -v10, v15, v13
	v_fmac_f32_e32 v15, v16, v14
	v_fma_f32 v10, -v10, v15, v13
	v_div_fmas_f32 v10, v10, v14, v15
	v_cndmask_b32_e64 v12, v17, v12, s[0:1]
	v_div_fixup_f32 v9, v10, v11, v9
	v_add_f32_e32 v8, 1.0, v8
	v_mul_f32_e32 v9, v9, v12
	v_fma_f32 v6, v8, v6, -v9
	v_mul_f32_e32 v14, v2, v6
.LBB17_23:
	s_or_b64 exec, exec, s[18:19]
.LBB17_24:
	s_or_b64 exec, exec, s[16:17]
	v_mov_b32_e32 v2, v14
.LBB17_25:
	s_or_b64 exec, exec, s[14:15]
	v_cmp_neq_f32_e64 s[0:1], |v7|, s24
	s_and_saveexec_b64 s[14:15], s[0:1]
	s_cbranch_execz .LBB17_47
; %bb.26:
	s_mov_b32 s0, 0x42cfc8b4
	v_cmp_nlt_f32_e32 vcc, s0, v7
	v_mov_b32_e32 v3, 0
	s_and_saveexec_b64 s[16:17], vcc
	s_cbranch_execz .LBB17_46
; %bb.27:
	s_mov_b32 s0, 0xc005c28f
	v_cmp_ngt_f32_e32 vcc, s0, v7
	s_and_saveexec_b64 s[0:1], vcc
	s_xor_b64 s[4:5], exec, s[0:1]
	s_cbranch_execz .LBB17_35
; %bb.28:
	s_mov_b32 s0, 0x4005c28f
	v_cmp_nle_f32_e64 s[6:7], s0, v7
	v_cmp_le_f32_e32 vcc, s0, v7
	v_mov_b32_e32 v3, 0
	s_mov_b64 s[0:1], s[6:7]
	s_and_saveexec_b64 s[18:19], vcc
	s_cbranch_execz .LBB17_30
; %bb.29:
	s_mov_b32 s20, 0xf800000
	v_mul_f32_e32 v3, 0x4f800000, v7
	v_cmp_gt_f32_e32 vcc, s20, v7
	v_add_f32_e32 v8, v7, v7
	s_mov_b32 s21, 0x40400000
	v_cndmask_b32_e32 v3, v7, v3, vcc
	v_sqrt_f32_e32 v6, v3
	s_nop 0
	v_add_u32_e32 v9, -1, v6
	v_fma_f32 v10, -v9, v6, v3
	v_cmp_ge_f32_e64 s[0:1], 0, v10
	v_add_u32_e32 v10, 1, v6
	s_nop 0
	v_cndmask_b32_e64 v9, v6, v9, s[0:1]
	v_fma_f32 v6, -v10, v6, v3
	v_cmp_lt_f32_e64 s[0:1], 0, v6
	s_nop 1
	v_cndmask_b32_e64 v6, v9, v10, s[0:1]
	v_mul_f32_e32 v9, 0x37800000, v6
	v_mov_b32_e32 v10, 0x260
	v_cndmask_b32_e32 v6, v6, v9, vcc
	v_cmp_class_f32_e32 vcc, v3, v10
	s_nop 1
	v_cndmask_b32_e32 v3, v6, v3, vcc
	v_mul_f32_e32 v6, v8, v3
	v_div_scale_f32 v8, s[0:1], s21, s21, v6
	v_rcp_f32_e32 v9, v8
	s_nop 0
	v_fma_f32 v11, -v8, v9, 1.0
	v_fmac_f32_e32 v9, v11, v9
	v_div_scale_f32 v11, vcc, v6, s21, v6
	v_mul_f32_e32 v12, v11, v9
	v_fma_f32 v13, -v8, v12, v11
	v_fmac_f32_e32 v12, v13, v9
	v_fma_f32 v8, -v8, v12, v11
	v_div_fmas_f32 v8, v8, v9, v12
	v_div_fixup_f32 v11, v8, s21, v6
	v_div_scale_f32 v6, s[0:1], v11, v11, 1.0
	v_rcp_f32_e32 v8, v6
	s_mov_b32 s0, 0x3eb16d71
	s_mov_b32 s1, 0x3f114de0
	v_fma_f32 v9, -v6, v8, 1.0
	v_fmac_f32_e32 v8, v9, v8
	v_div_scale_f32 v9, vcc, 1.0, v11, 1.0
	v_mul_f32_e32 v12, v9, v8
	v_fma_f32 v13, -v6, v12, v9
	v_fmac_f32_e32 v12, v13, v8
	v_fma_f32 v6, -v6, v12, v9
	v_div_fmas_f32 v6, v6, v8, v12
	v_div_fixup_f32 v6, v6, v11, 1.0
	v_mul_f32_e32 v8, 0, v6
	v_pk_add_f32 v[8:9], v[8:9], s[0:1] op_sel_hi:[0,1]
	s_mov_b32 s0, 0x41401f1c
	s_mov_b32 s1, 0x416c19a0
	v_pk_fma_f32 v[8:9], v[6:7], v[8:9], s[0:1] op_sel_hi:[0,1,1]
	s_mov_b32 s0, 0x42988f28
	s_mov_b32 s1, 0x42a9071e
	v_pk_fma_f32 v[8:9], v[6:7], v[8:9], s[0:1] op_sel_hi:[0,1,1]
	;; [unrolled: 3-line block ×6, first 2 shown]
	v_pk_fma_f32 v[8:9], v[6:7], v[8:9], 1.0 op_sel_hi:[0,1,0]
	v_div_scale_f32 v6, s[0:1], v9, v9, v8
	v_rcp_f32_e32 v12, v6
	v_cmp_gt_f32_e64 s[0:1], s20, v3
	v_fma_f32 v13, -v6, v12, 1.0
	v_fmac_f32_e32 v12, v13, v12
	v_div_scale_f32 v13, vcc, v8, v9, v8
	v_mul_f32_e32 v14, v13, v12
	v_fma_f32 v15, -v6, v14, v13
	v_fmac_f32_e32 v14, v15, v12
	v_fma_f32 v6, -v6, v14, v13
	v_mul_f32_e32 v13, 0x4f800000, v3
	v_cndmask_b32_e64 v3, v3, v13, s[0:1]
	v_sqrt_f32_e32 v13, v3
	v_div_fmas_f32 v6, v6, v12, v14
	v_div_fixup_f32 v8, v6, v9, v8
	v_add_u32_e32 v6, -1, v13
	v_fma_f32 v9, -v6, v13, v3
	v_cmp_ge_f32_e32 vcc, 0, v9
	v_add_u32_e32 v9, 1, v13
	v_fma_f32 v12, -v9, v13, v3
	v_cndmask_b32_e32 v6, v13, v6, vcc
	v_cmp_lt_f32_e32 vcc, 0, v12
	s_nop 1
	v_cndmask_b32_e32 v6, v6, v9, vcc
	v_mul_f32_e32 v9, 0x37800000, v6
	v_cndmask_b32_e64 v6, v6, v9, s[0:1]
	v_cmp_class_f32_e32 vcc, v3, v10
	s_mov_b32 s0, 0x3fb8aa3b
	s_nop 0
	v_cndmask_b32_e32 v9, v6, v3, vcc
	v_mul_f32_e32 v3, 0x3fb8aa3b, v11
	v_fma_f32 v6, v11, s0, -v3
	v_rndne_f32_e32 v10, v3
	v_fmamk_f32 v6, v11, 0x32a5705f, v6
	v_sub_f32_e32 v3, v3, v10
	v_add_f32_e32 v3, v3, v6
	v_exp_f32_e32 v3, v3
	v_cvt_i32_f32_e32 v6, v10
	s_mov_b32 s0, 0x3f106ebb
	s_mov_b32 s1, 2.0
	v_pk_mul_f32 v[8:9], v[8:9], s[0:1]
	s_mov_b32 s0, 0xc2ce8ed0
	v_ldexp_f32 v3, v3, v6
	v_cmp_ngt_f32_e32 vcc, s0, v11
	s_mov_b32 s0, 0x42b17218
	v_mov_b32_e32 v6, 0x7f800000
	v_cndmask_b32_e32 v3, 0, v3, vcc
	v_cmp_nlt_f32_e32 vcc, s0, v11
	s_nop 1
	v_cndmask_b32_e32 v3, v6, v3, vcc
	v_mul_f32_e32 v3, v9, v3
	v_div_scale_f32 v6, s[0:1], v3, v3, v8
	v_rcp_f32_e32 v9, v6
	s_mov_b32 s0, 0x41052018
	v_fma_f32 v10, -v6, v9, 1.0
	v_fmac_f32_e32 v9, v10, v9
	v_div_scale_f32 v10, vcc, v8, v3, v8
	v_mul_f32_e32 v11, v10, v9
	v_fma_f32 v12, -v6, v11, v10
	v_fmac_f32_e32 v11, v12, v9
	v_fma_f32 v6, -v6, v11, v10
	v_div_fmas_f32 v6, v6, v9, v11
	v_cmp_nlt_f32_e32 vcc, s0, v7
	s_andn2_b64 s[0:1], s[6:7], exec
	s_and_b64 s[20:21], vcc, exec
	v_div_fixup_f32 v3, v6, v3, v8
	s_or_b64 s[0:1], s[0:1], s[20:21]
.LBB17_30:
	s_or_b64 exec, exec, s[18:19]
	s_and_saveexec_b64 s[18:19], s[0:1]
	s_cbranch_execz .LBB17_34
; %bb.31:
	v_mul_f32_e32 v6, v7, v7
	v_mul_f32_e32 v8, v7, v6
	v_mov_b32_e32 v9, v8
	s_mov_b64 s[20:21], 0
	v_mov_b32_e32 v12, 1.0
	v_mov_b32_e32 v6, 1.0
	;; [unrolled: 1-line block ×3, first 2 shown]
	s_brev_b32 s22, 44
	v_mov_b32_e32 v11, v7
.LBB17_32:                              ; =>This Inner Loop Header: Depth=1
	v_pk_mul_f32 v[10:11], v[8:9], v[10:11]
	v_add_f32_e32 v13, 1.0, v12
	v_add_f32_e32 v14, 1.0, v13
	v_div_scale_f32 v15, s[0:1], v13, v13, v10
	v_rcp_f32_e32 v17, v15
	v_div_scale_f32 v18, s[0:1], v14, v14, v11
	v_rcp_f32_e32 v20, v18
	v_fma_f32 v21, -v15, v17, 1.0
	v_div_scale_f32 v16, vcc, v10, v13, v10
	v_fmac_f32_e32 v17, v21, v17
	v_fma_f32 v21, -v18, v20, 1.0
	v_div_scale_f32 v19, s[0:1], v11, v14, v11
	v_mul_f32_e32 v22, v16, v17
	v_fmac_f32_e32 v20, v21, v20
	v_fma_f32 v21, -v15, v22, v16
	v_mul_f32_e32 v23, v19, v20
	v_fmac_f32_e32 v22, v21, v17
	v_fma_f32 v21, -v18, v23, v19
	v_fma_f32 v15, -v15, v22, v16
	v_fmac_f32_e32 v23, v21, v20
	v_div_fmas_f32 v15, v15, v17, v22
	v_fma_f32 v16, -v18, v23, v19
	s_mov_b64 vcc, s[0:1]
	v_div_fixup_f32 v10, v15, v13, v10
	v_div_fmas_f32 v13, v16, v20, v23
	v_add_f32_e32 v12, 1.0, v14
	v_div_fixup_f32 v11, v13, v14, v11
	v_div_scale_f32 v13, s[0:1], v14, v14, v10
	v_div_scale_f32 v16, s[24:25], v12, v12, v11
	v_rcp_f32_e32 v18, v13
	v_rcp_f32_e32 v19, v16
	v_div_scale_f32 v15, s[0:1], v10, v14, v10
	v_fma_f32 v20, -v13, v18, 1.0
	v_fma_f32 v21, -v16, v19, 1.0
	v_div_scale_f32 v17, vcc, v11, v12, v11
	v_fmac_f32_e32 v18, v20, v18
	v_fmac_f32_e32 v19, v21, v19
	v_mul_f32_e32 v20, v15, v18
	v_mul_f32_e32 v21, v17, v19
	v_fma_f32 v22, -v13, v20, v15
	v_fma_f32 v23, -v16, v21, v17
	v_fmac_f32_e32 v20, v22, v18
	v_fmac_f32_e32 v21, v23, v19
	v_fma_f32 v13, -v13, v20, v15
	v_fma_f32 v15, -v16, v21, v17
	v_div_fmas_f32 v15, v15, v19, v21
	s_mov_b64 vcc, s[0:1]
	v_div_fmas_f32 v13, v13, v18, v20
	v_div_fixup_f32 v11, v15, v12, v11
	v_div_fixup_f32 v10, v13, v14, v10
	v_pk_add_f32 v[6:7], v[6:7], v[10:11]
	s_nop 0
	v_div_scale_f32 v13, s[0:1], v6, v6, v10
	v_rcp_f32_e32 v14, v13
	v_div_scale_f32 v15, vcc, v10, v6, v10
	v_fma_f32 v16, -v13, v14, 1.0
	v_fmac_f32_e32 v14, v16, v14
	v_mul_f32_e32 v16, v15, v14
	v_fma_f32 v17, -v13, v16, v15
	v_fmac_f32_e32 v16, v17, v14
	v_fma_f32 v13, -v13, v16, v15
	v_div_fmas_f32 v13, v13, v14, v16
	v_div_fixup_f32 v13, v13, v6, v10
	v_cmp_ngt_f32_e64 s[0:1], |v13|, s22
	s_or_b64 s[20:21], s[0:1], s[20:21]
	s_andn2_b64 exec, exec, s[20:21]
	s_cbranch_execnz .LBB17_32
; %bb.33:
	s_or_b64 exec, exec, s[20:21]
	s_mov_b32 s0, 0x3eb5c63d
	s_mov_b32 s1, 0x3e8483fa
	v_pk_mul_f32 v[6:7], v[6:7], s[0:1]
	s_nop 0
	v_sub_f32_e32 v6, v6, v7
	v_cndmask_b32_e64 v3, v3, v6, s[6:7]
.LBB17_34:
	s_or_b64 exec, exec, s[18:19]
                                        ; implicit-def: $vgpr6_vgpr7
.LBB17_35:
	s_andn2_saveexec_b64 s[18:19], s[4:5]
	s_cbranch_execz .LBB17_45
; %bb.36:
	s_mov_b32 s0, 0x8f800000
	v_mul_f32_e32 v3, 0xcf800000, v7
	v_cmp_lt_f32_e32 vcc, s0, v7
	s_mov_b32 s4, 0x40400000
	s_nop 0
	v_cndmask_b32_e64 v3, -v7, v3, vcc
	v_sqrt_f32_e32 v6, v3
	v_mul_f32_e32 v7, -2.0, v7
	v_add_u32_e32 v8, -1, v6
	v_fma_f32 v9, -v8, v6, v3
	v_cmp_ge_f32_e64 s[0:1], 0, v9
	v_add_u32_e32 v9, 1, v6
	s_nop 0
	v_cndmask_b32_e64 v8, v6, v8, s[0:1]
	v_fma_f32 v6, -v9, v6, v3
	v_cmp_lt_f32_e64 s[0:1], 0, v6
	s_nop 1
	v_cndmask_b32_e64 v6, v8, v9, s[0:1]
	v_mul_f32_e32 v8, 0x37800000, v6
	v_cndmask_b32_e32 v6, v6, v8, vcc
	v_mov_b32_e32 v8, 0x260
	v_cmp_class_f32_e32 vcc, v3, v8
	s_nop 1
	v_cndmask_b32_e32 v3, v6, v3, vcc
	v_mul_f32_e32 v6, v7, v3
	v_div_scale_f32 v7, s[0:1], s4, s4, v6
	v_rcp_f32_e32 v8, v7
	s_brev_b32 s0, 18
	v_fma_f32 v9, -v7, v8, 1.0
	v_fmac_f32_e32 v8, v9, v8
	v_div_scale_f32 v9, vcc, v6, s4, v6
	v_mul_f32_e32 v10, v9, v8
	v_fma_f32 v11, -v7, v10, v9
	v_fmac_f32_e32 v10, v11, v8
	v_fma_f32 v7, -v7, v10, v9
	v_div_fmas_f32 v7, v7, v8, v10
	v_div_fixup_f32 v8, v7, s4, v6
	v_add_f32_e32 v6, 0x3f490fdb, v8
	v_and_b32_e32 v7, 0x7fffffff, v6
	v_cmp_nlt_f32_e64 s[20:21], |v6|, s0
	v_lshrrev_b32_e32 v13, 23, v7
                                        ; implicit-def: $vgpr9
                                        ; implicit-def: $vgpr10
	s_and_saveexec_b64 s[0:1], s[20:21]
	s_xor_b64 s[22:23], exec, s[0:1]
	s_cbranch_execz .LBB17_38
; %bb.37:
	v_add_u32_e32 v9, 0xffffff88, v13
	v_not_b32_e32 v10, 63
	v_cmp_lt_u32_e32 vcc, 63, v9
	s_mov_b32 s6, 0xfe5163ab
	v_mov_b32_e32 v15, 0
	v_cndmask_b32_e32 v10, 0, v10, vcc
	v_add_u32_e32 v9, v10, v9
	v_not_b32_e32 v10, 31
	v_cmp_lt_u32_e64 s[0:1], 31, v9
	s_nop 1
	v_cndmask_b32_e64 v11, 0, v10, s[0:1]
	v_add_u32_e32 v9, v11, v9
	v_cmp_lt_u32_e64 s[4:5], 31, v9
	s_nop 1
	v_cndmask_b32_e64 v10, 0, v10, s[4:5]
	v_add_u32_e32 v9, v10, v9
	v_and_b32_e32 v10, 0x7fffff, v7
	v_or_b32_e32 v12, 0x800000, v10
	v_mad_u64_u32 v[10:11], s[6:7], v12, s6, 0
	v_mov_b32_e32 v14, v11
	s_mov_b32 s6, 0x3c439041
	v_mad_u64_u32 v[16:17], s[6:7], v12, s6, v[14:15]
	v_mov_b32_e32 v14, v17
	s_mov_b32 s6, 0xdb629599
	;; [unrolled: 3-line block ×6, first 2 shown]
	v_mad_u64_u32 v[14:15], s[6:7], v12, s6, v[14:15]
	v_cndmask_b32_e32 v11, v24, v20, vcc
	v_cndmask_b32_e32 v12, v14, v22, vcc
	;; [unrolled: 1-line block ×3, first 2 shown]
	v_cndmask_b32_e64 v14, v12, v11, s[0:1]
	v_cndmask_b32_e64 v12, v15, v12, s[0:1]
	v_cndmask_b32_e32 v15, v22, v18, vcc
	v_cndmask_b32_e64 v11, v11, v15, s[0:1]
	v_cndmask_b32_e64 v12, v12, v14, s[4:5]
	;; [unrolled: 1-line block ×3, first 2 shown]
	v_sub_u32_e32 v17, 32, v9
	v_alignbit_b32 v19, v12, v14, v17
	v_cmp_eq_u32_e64 s[6:7], 0, v9
	v_cndmask_b32_e32 v10, v18, v10, vcc
	s_nop 0
	v_cndmask_b32_e64 v9, v19, v12, s[6:7]
	v_cndmask_b32_e32 v12, v20, v16, vcc
	v_cndmask_b32_e64 v15, v15, v12, s[0:1]
	v_cndmask_b32_e64 v11, v11, v15, s[4:5]
	v_alignbit_b32 v16, v14, v11, v17
	v_cndmask_b32_e64 v10, v12, v10, s[0:1]
	v_cndmask_b32_e64 v14, v16, v14, s[6:7]
	v_bfe_u32 v20, v9, 29, 1
	v_cndmask_b32_e64 v10, v15, v10, s[4:5]
	v_alignbit_b32 v16, v9, v14, 30
	v_sub_u32_e32 v21, 0, v20
	v_alignbit_b32 v12, v11, v10, v17
	v_xor_b32_e32 v16, v16, v21
	v_cndmask_b32_e64 v11, v12, v11, s[6:7]
	v_alignbit_b32 v12, v14, v11, 30
	v_ffbh_u32_e32 v14, v16
	v_min_u32_e32 v14, 32, v14
	v_alignbit_b32 v10, v11, v10, 30
	v_xor_b32_e32 v12, v12, v21
	v_sub_u32_e32 v15, 31, v14
	v_xor_b32_e32 v10, v10, v21
	v_alignbit_b32 v16, v16, v12, v15
	v_alignbit_b32 v10, v12, v10, v15
	;; [unrolled: 1-line block ×3, first 2 shown]
	v_ffbh_u32_e32 v12, v11
	v_min_u32_e32 v12, 32, v12
	v_lshrrev_b32_e32 v19, 29, v9
	v_not_b32_e32 v15, v12
	v_alignbit_b32 v10, v11, v10, v15
	v_lshlrev_b32_e32 v11, 31, v19
	v_or_b32_e32 v15, 0x33000000, v11
	v_add_lshl_u32 v12, v12, v14, 23
	v_lshrrev_b32_e32 v10, 9, v10
	v_sub_u32_e32 v12, v15, v12
	v_or_b32_e32 v11, 0.5, v11
	v_lshlrev_b32_e32 v14, 23, v14
	v_or_b32_e32 v10, v12, v10
	v_lshrrev_b32_e32 v12, 9, v16
	v_sub_u32_e32 v11, v11, v14
	v_or_b32_e32 v11, v12, v11
	s_mov_b32 s0, 0x3fc90fda
	v_mul_f32_e32 v12, 0x3fc90fda, v11
	v_fma_f32 v14, v11, s0, -v12
	v_fmamk_f32 v11, v11, 0x33a22168, v14
	v_fmac_f32_e32 v11, 0x3fc90fda, v10
	v_lshrrev_b32_e32 v9, 30, v9
	v_add_f32_e32 v10, v12, v11
	v_add_u32_e32 v9, v20, v9
	s_andn2_saveexec_b64 s[0:1], s[22:23]
	s_cbranch_execz .LBB17_40
	s_branch .LBB17_39
.LBB17_38:
	s_andn2_saveexec_b64 s[0:1], s[22:23]
	s_cbranch_execz .LBB17_40
.LBB17_39:
	s_mov_b32 s4, 0x3f22f983
	v_mul_f32_e64 v9, |v6|, s4
	v_rndne_f32_e32 v10, v9
	s_mov_b32 s4, 0xbfc90fda
	v_cvt_i32_f32_e32 v9, v10
	v_fma_f32 v11, v10, s4, |v6|
	v_fmamk_f32 v11, v10, 0xb3a22168, v11
	v_fmamk_f32 v10, v10, 0xa7c234c4, v11
.LBB17_40:
	s_or_b64 exec, exec, s[0:1]
                                        ; implicit-def: $vgpr11
                                        ; implicit-def: $vgpr12
	s_and_saveexec_b64 s[0:1], s[20:21]
	s_xor_b64 s[20:21], exec, s[0:1]
	s_cbranch_execz .LBB17_42
; %bb.41:
	v_add_u32_e32 v11, 0xffffff88, v13
	v_not_b32_e32 v12, 63
	v_cmp_lt_u32_e32 vcc, 63, v11
	s_mov_b32 s6, 0xfe5163ab
	v_mov_b32_e32 v15, 0
	v_cndmask_b32_e32 v12, 0, v12, vcc
	v_add_u32_e32 v11, v12, v11
	v_not_b32_e32 v12, 31
	v_cmp_lt_u32_e64 s[0:1], 31, v11
	s_nop 1
	v_cndmask_b32_e64 v13, 0, v12, s[0:1]
	v_add_u32_e32 v11, v13, v11
	v_cmp_lt_u32_e64 s[4:5], 31, v11
	s_nop 1
	v_cndmask_b32_e64 v12, 0, v12, s[4:5]
	v_add_u32_e32 v11, v12, v11
	v_and_b32_e32 v12, 0x7fffff, v7
	v_or_b32_e32 v26, 0x800000, v12
	v_mad_u64_u32 v[12:13], s[6:7], v26, s6, 0
	v_mov_b32_e32 v14, v13
	s_mov_b32 s6, 0x3c439041
	v_mad_u64_u32 v[16:17], s[6:7], v26, s6, v[14:15]
	v_mov_b32_e32 v14, v17
	s_mov_b32 s6, 0xdb629599
	;; [unrolled: 3-line block ×6, first 2 shown]
	v_mad_u64_u32 v[14:15], s[6:7], v26, s6, v[14:15]
	v_cndmask_b32_e32 v13, v24, v20, vcc
	v_cndmask_b32_e32 v14, v14, v22, vcc
	;; [unrolled: 1-line block ×3, first 2 shown]
	v_cndmask_b32_e64 v17, v14, v13, s[0:1]
	v_cndmask_b32_e64 v14, v15, v14, s[0:1]
	v_cndmask_b32_e32 v15, v22, v18, vcc
	v_cndmask_b32_e64 v13, v13, v15, s[0:1]
	v_cndmask_b32_e64 v14, v14, v17, s[4:5]
	;; [unrolled: 1-line block ×3, first 2 shown]
	v_sub_u32_e32 v19, 32, v11
	v_alignbit_b32 v21, v14, v17, v19
	v_cmp_eq_u32_e64 s[6:7], 0, v11
	v_cndmask_b32_e32 v12, v18, v12, vcc
	s_nop 0
	v_cndmask_b32_e64 v11, v21, v14, s[6:7]
	v_cndmask_b32_e32 v14, v20, v16, vcc
	v_cndmask_b32_e64 v15, v15, v14, s[0:1]
	v_cndmask_b32_e64 v13, v13, v15, s[4:5]
	v_alignbit_b32 v16, v17, v13, v19
	v_cndmask_b32_e64 v16, v16, v17, s[6:7]
	v_bfe_u32 v21, v11, 29, 1
	v_cndmask_b32_e64 v12, v14, v12, s[0:1]
	v_alignbit_b32 v17, v11, v16, 30
	v_sub_u32_e32 v22, 0, v21
	v_cndmask_b32_e64 v12, v15, v12, s[4:5]
	v_xor_b32_e32 v17, v17, v22
	v_alignbit_b32 v14, v13, v12, v19
	v_cndmask_b32_e64 v13, v14, v13, s[6:7]
	v_ffbh_u32_e32 v15, v17
	v_alignbit_b32 v14, v16, v13, 30
	v_min_u32_e32 v15, 32, v15
	v_alignbit_b32 v12, v13, v12, 30
	v_xor_b32_e32 v14, v14, v22
	v_sub_u32_e32 v16, 31, v15
	v_xor_b32_e32 v12, v12, v22
	v_alignbit_b32 v17, v17, v14, v16
	v_alignbit_b32 v12, v14, v12, v16
	;; [unrolled: 1-line block ×3, first 2 shown]
	v_ffbh_u32_e32 v14, v13
	v_min_u32_e32 v14, 32, v14
	v_lshrrev_b32_e32 v20, 29, v11
	v_not_b32_e32 v16, v14
	v_alignbit_b32 v12, v13, v12, v16
	v_lshlrev_b32_e32 v13, 31, v20
	v_or_b32_e32 v16, 0x33000000, v13
	v_add_lshl_u32 v14, v14, v15, 23
	v_lshrrev_b32_e32 v12, 9, v12
	v_sub_u32_e32 v14, v16, v14
	v_or_b32_e32 v13, 0.5, v13
	v_lshlrev_b32_e32 v15, 23, v15
	v_or_b32_e32 v12, v14, v12
	v_lshrrev_b32_e32 v14, 9, v17
	v_sub_u32_e32 v13, v13, v15
	v_or_b32_e32 v13, v14, v13
	s_mov_b32 s0, 0x3fc90fda
	v_mul_f32_e32 v14, 0x3fc90fda, v13
	v_fma_f32 v15, v13, s0, -v14
	v_fmamk_f32 v13, v13, 0x33a22168, v15
	v_fmac_f32_e32 v13, 0x3fc90fda, v12
	v_lshrrev_b32_e32 v11, 30, v11
	v_add_f32_e32 v12, v14, v13
	v_add_u32_e32 v11, v21, v11
	s_andn2_saveexec_b64 s[0:1], s[20:21]
	s_cbranch_execnz .LBB17_43
	s_branch .LBB17_44
.LBB17_42:
	s_andn2_saveexec_b64 s[0:1], s[20:21]
	s_cbranch_execz .LBB17_44
.LBB17_43:
	s_mov_b32 s4, 0x3f22f983
	v_mul_f32_e64 v11, |v6|, s4
	v_rndne_f32_e32 v12, v11
	s_mov_b32 s4, 0xbfc90fda
	v_cvt_i32_f32_e32 v11, v12
	v_fma_f32 v13, v12, s4, |v6|
	v_fmamk_f32 v13, v12, 0xb3a22168, v13
	v_fmamk_f32 v12, v12, 0xa7c234c4, v13
.LBB17_44:
	s_or_b64 exec, exec, s[0:1]
	v_div_scale_f32 v13, s[0:1], v8, v8, 1.0
	v_rcp_f32_e32 v14, v13
	v_div_scale_f32 v15, vcc, 1.0, v8, 1.0
	v_xor_b32_e32 v7, v7, v6
	v_fma_f32 v16, -v13, v14, 1.0
	v_fmac_f32_e32 v14, v16, v14
	v_mul_f32_e32 v16, v15, v14
	v_fma_f32 v17, -v13, v16, v15
	v_fmac_f32_e32 v16, v17, v14
	v_fma_f32 v13, -v13, v16, v15
	v_div_fmas_f32 v13, v13, v14, v16
	v_div_fixup_f32 v8, v13, v8, 1.0
	v_mul_f32_e32 v13, v8, v8
	v_mov_b32_e32 v14, 0xbe06db67
	v_mul_f32_e32 v16, v10, v10
	v_mov_b32_e32 v17, 0x3c0881c4
	v_fmac_f32_e32 v14, 0, v13
	v_mov_b32_e32 v15, 0x4155b259
	v_fmamk_f32 v18, v16, 0xb94c1982, v17
	v_fmaak_f32 v14, v13, v14, 0xbf205f75
	v_fmac_f32_e32 v15, 0, v13
	v_fmaak_f32 v18, v16, v18, 0xbe2aaa9d
	v_fmaak_f32 v14, v13, v14, 0xbf3172ce
	;; [unrolled: 1-line block ×3, first 2 shown]
	v_mul_f32_e32 v18, v16, v18
	v_fmaak_f32 v14, v13, v14, 0xbe8f3f52
	v_fmaak_f32 v15, v13, v15, 0x41d5e4c5
	v_fmac_f32_e32 v10, v10, v18
	v_mov_b32_e32 v18, 0xbab64f3b
	v_fmaak_f32 v14, v13, v14, 0xbd497b78
	v_fmaak_f32 v15, v13, v15, 0x4112fe41
	v_fmamk_f32 v20, v16, 0x37d75334, v18
	v_fmaak_f32 v14, v13, v14, 0xbb85200e
	v_fmaak_f32 v15, v13, v15, 0x3fbcd65a
	;; [unrolled: 1-line block ×8, first 2 shown]
	v_fma_f32 v16, v16, v20, 1.0
	v_and_b32_e32 v20, 1, v9
	v_lshlrev_b32_e32 v9, 30, v9
	v_fmaak_f32 v15, v13, v15, 0x389e46bd
	v_fmaak_f32 v14, v13, v14, 0xb29020e8
	v_cmp_eq_u32_e32 vcc, 0, v20
	v_and_b32_e32 v9, 0x80000000, v9
	v_fmaak_f32 v15, v13, v15, 0x34f295ce
	v_cndmask_b32_e32 v10, v16, v10, vcc
	v_xor_b32_e32 v7, v7, v9
	v_mul_f32_e32 v9, v13, v14
	v_xor_b32_e32 v7, v7, v10
	v_div_scale_f32 v10, s[0:1], v15, v15, v9
	v_rcp_f32_e32 v14, v10
	s_movk_i32 s4, 0x1f8
	v_mov_b32_e32 v16, 0x7fc00000
	v_cmp_class_f32_e64 s[0:1], v6, s4
	s_mov_b32 s4, 0xf800000
	s_mov_b32 s7, 0x3f106ebb
	v_cndmask_b32_e64 v6, v16, v7, s[0:1]
	v_fma_f32 v7, -v10, v14, 1.0
	v_fmac_f32_e32 v14, v7, v14
	v_div_scale_f32 v7, vcc, v9, v15, v9
	v_mul_f32_e32 v20, v7, v14
	v_fma_f32 v23, -v10, v20, v7
	v_fmac_f32_e32 v20, v23, v14
	v_fma_f32 v7, -v10, v20, v7
	v_div_fmas_f32 v7, v7, v14, v20
	v_mul_f32_e32 v14, 0x4f800000, v3
	v_cmp_gt_f32_e32 vcc, s4, v3
	v_div_fixup_f32 v7, v7, v15, v9
	v_mov_b32_e32 v9, 0x3ca1a92f
	v_cndmask_b32_e32 v3, v3, v14, vcc
	v_sqrt_f32_e32 v14, v3
	v_fmac_f32_e32 v9, 0, v13
	v_mov_b32_e32 v10, 0x4114f160
	v_fmaak_f32 v9, v13, v9, 0x3ec83ea8
	v_add_u32_e32 v15, -1, v14
	v_fma_f32 v20, -v15, v14, v3
	v_cmp_ge_f32_e64 s[4:5], 0, v20
	v_add_u32_e32 v20, 1, v14
	v_fmac_f32_e32 v10, 0, v13
	v_cndmask_b32_e64 v15, v14, v15, s[4:5]
	v_fma_f32 v14, -v20, v14, v3
	v_cmp_lt_f32_e64 s[4:5], 0, v14
	v_fmaak_f32 v9, v13, v9, 0x3f886c1a
	v_fmaak_f32 v10, v13, v10, 0x419eaeae
	v_cndmask_b32_e64 v14, v15, v20, s[4:5]
	v_mul_f32_e32 v15, 0x37800000, v14
	v_cndmask_b32_e32 v14, v14, v15, vcc
	v_mov_b32_e32 v15, 0x260
	v_fmaak_f32 v9, v13, v9, 0x3f706d65
	v_fmaak_f32 v10, v13, v10, 0x417908dc
	v_cmp_class_f32_e32 vcc, v3, v15
	v_fmaak_f32 v9, v13, v9, 0x3eb3f34e
	v_fmaak_f32 v10, v13, v10, 0x40af4271
	v_cndmask_b32_e32 v3, v14, v3, vcc
	v_fmaak_f32 v9, v13, v9, 0x3d81d209
	v_fmaak_f32 v10, v13, v10, 0x3f744c96
	v_div_scale_f32 v14, s[4:5], v3, v3, s7
	v_fmaak_f32 v9, v13, v9, 0x3bbff4d0
	v_fmaak_f32 v10, v13, v10, 0x3db110ef
	v_rcp_f32_e32 v15, v14
	v_fmaak_f32 v9, v13, v9, 0x39944bb3
	v_fmaak_f32 v10, v13, v10, 0x3b873823
	;; [unrolled: 1-line block ×8, first 2 shown]
	v_fma_f32 v13, -v14, v15, 1.0
	v_fmac_f32_e32 v15, v13, v15
	v_div_scale_f32 v13, vcc, s7, v3, s7
	v_mul_f32_e32 v20, v13, v15
	v_fma_f32 v23, -v14, v20, v13
	v_fmac_f32_e32 v20, v23, v15
	v_fma_f32 v13, -v14, v20, v13
	v_div_fmas_f32 v13, v13, v15, v20
	v_div_fixup_f32 v3, v13, v3, s7
	v_mul_f32_e32 v13, v12, v12
	v_mov_b32_e32 v19, 0xbe2aaa9d
	v_fmac_f32_e32 v17, 0xb94c1982, v13
	v_mov_b32_e32 v21, 0x3d2aabf7
	v_fmac_f32_e32 v19, v13, v17
	v_fmac_f32_e32 v18, 0x37d75334, v13
	v_mov_b32_e32 v22, 0xbf000004
	v_mul_f32_e32 v14, v13, v19
	v_fmac_f32_e32 v21, v13, v18
	v_fmac_f32_e32 v12, v12, v14
	;; [unrolled: 1-line block ×3, first 2 shown]
	v_and_b32_e32 v14, 1, v11
	v_mul_f32_e32 v8, v8, v9
	v_fma_f32 v13, v13, v22, 1.0
	v_cmp_eq_u32_e32 vcc, 0, v14
	v_div_scale_f32 v9, s[4:5], v10, v10, v8
	s_nop 0
	v_cndmask_b32_e64 v12, -v12, v13, vcc
	v_rcp_f32_e32 v13, v9
	s_brev_b32 s6, 1
	v_lshlrev_b32_e32 v11, 30, v11
	v_bitop3_b32 v11, v11, v12, s6 bitop3:0x6c
	v_fma_f32 v12, -v9, v13, 1.0
	v_fmac_f32_e32 v13, v12, v13
	v_div_scale_f32 v12, vcc, v8, v10, v8
	v_mul_f32_e32 v14, v12, v13
	v_fma_f32 v15, -v9, v14, v12
	v_fmac_f32_e32 v14, v15, v13
	v_fma_f32 v9, -v9, v14, v12
	v_div_fmas_f32 v9, v9, v13, v14
	v_cndmask_b32_e64 v11, v16, v11, s[0:1]
	v_div_fixup_f32 v8, v9, v10, v8
	v_add_f32_e32 v7, 1.0, v7
	v_mul_f32_e32 v8, v8, v11
	v_fma_f32 v6, v7, v6, -v8
	v_mul_f32_e32 v3, v3, v6
.LBB17_45:
	s_or_b64 exec, exec, s[18:19]
.LBB17_46:
	s_or_b64 exec, exec, s[16:17]
.LBB17_47:
	s_or_b64 exec, exec, s[14:15]
	s_mov_b32 s24, 0x7f800000
	s_waitcnt vmcnt(0)
	v_cmp_neq_f32_e64 s[0:1], |v4|, s24
	v_mov_b32_e32 v7, 0x7fc00000
	v_mov_b32_e32 v6, 0x7fc00000
	s_and_saveexec_b64 s[14:15], s[0:1]
	s_cbranch_execz .LBB17_69
; %bb.48:
	s_mov_b32 s0, 0x42cfc8b4
	v_cmp_nlt_f32_e32 vcc, s0, v4
	v_mov_b32_e32 v6, 0
	s_and_saveexec_b64 s[16:17], vcc
	s_cbranch_execz .LBB17_68
; %bb.49:
	s_mov_b32 s0, 0xc005c28f
	v_cmp_ngt_f32_e32 vcc, s0, v4
	s_and_saveexec_b64 s[0:1], vcc
	s_xor_b64 s[4:5], exec, s[0:1]
	s_cbranch_execz .LBB17_57
; %bb.50:
	s_mov_b32 s0, 0x4005c28f
	v_cmp_nle_f32_e64 s[6:7], s0, v4
	v_cmp_le_f32_e32 vcc, s0, v4
	v_mov_b32_e32 v6, 0
	s_mov_b64 s[0:1], s[6:7]
	s_and_saveexec_b64 s[18:19], vcc
	s_cbranch_execz .LBB17_52
; %bb.51:
	s_mov_b32 s20, 0xf800000
	v_mul_f32_e32 v6, 0x4f800000, v4
	v_cmp_gt_f32_e32 vcc, s20, v4
	v_add_f32_e32 v9, v4, v4
	s_mov_b32 s21, 0x40400000
	v_cndmask_b32_e32 v6, v4, v6, vcc
	v_sqrt_f32_e32 v8, v6
	s_nop 0
	v_add_u32_e32 v10, -1, v8
	v_fma_f32 v11, -v10, v8, v6
	v_cmp_ge_f32_e64 s[0:1], 0, v11
	v_add_u32_e32 v11, 1, v8
	s_nop 0
	v_cndmask_b32_e64 v10, v8, v10, s[0:1]
	v_fma_f32 v8, -v11, v8, v6
	v_cmp_lt_f32_e64 s[0:1], 0, v8
	s_nop 1
	v_cndmask_b32_e64 v8, v10, v11, s[0:1]
	v_mul_f32_e32 v10, 0x37800000, v8
	v_cndmask_b32_e32 v8, v8, v10, vcc
	v_mov_b32_e32 v10, 0x260
	v_cmp_class_f32_e32 vcc, v6, v10
	s_nop 1
	v_cndmask_b32_e32 v11, v8, v6, vcc
	v_mul_f32_e32 v6, v9, v11
	v_div_scale_f32 v8, s[0:1], s21, s21, v6
	v_rcp_f32_e32 v9, v8
	s_nop 0
	v_fma_f32 v12, -v8, v9, 1.0
	v_fmac_f32_e32 v9, v12, v9
	v_div_scale_f32 v12, vcc, v6, s21, v6
	v_mul_f32_e32 v13, v12, v9
	v_fma_f32 v14, -v8, v13, v12
	v_fmac_f32_e32 v13, v14, v9
	v_fma_f32 v8, -v8, v13, v12
	v_div_fmas_f32 v8, v8, v9, v13
	v_div_fixup_f32 v12, v8, s21, v6
	v_div_scale_f32 v6, s[0:1], v12, v12, 1.0
	v_rcp_f32_e32 v8, v6
	s_mov_b32 s0, 0x3eb16d71
	s_mov_b32 s1, 0x3f114de0
	v_fma_f32 v9, -v6, v8, 1.0
	v_fmac_f32_e32 v8, v9, v8
	v_div_scale_f32 v9, vcc, 1.0, v12, 1.0
	v_mul_f32_e32 v13, v9, v8
	v_fma_f32 v14, -v6, v13, v9
	v_fmac_f32_e32 v13, v14, v8
	v_fma_f32 v6, -v6, v13, v9
	v_div_fmas_f32 v6, v6, v8, v13
	v_div_fixup_f32 v6, v6, v12, 1.0
	v_mul_f32_e32 v8, 0, v6
	v_pk_add_f32 v[8:9], v[8:9], s[0:1] op_sel_hi:[0,1]
	s_mov_b32 s0, 0x41401f1c
	s_mov_b32 s1, 0x416c19a0
	v_pk_fma_f32 v[8:9], v[6:7], v[8:9], s[0:1] op_sel_hi:[0,1,1]
	s_mov_b32 s0, 0x42988f28
	s_mov_b32 s1, 0x42a9071e
	v_pk_fma_f32 v[8:9], v[6:7], v[8:9], s[0:1] op_sel_hi:[0,1,1]
	;; [unrolled: 3-line block ×6, first 2 shown]
	v_pk_fma_f32 v[8:9], v[6:7], v[8:9], 1.0 op_sel_hi:[0,1,0]
	v_div_scale_f32 v6, s[0:1], v9, v9, v8
	v_rcp_f32_e32 v13, v6
	v_cmp_gt_f32_e64 s[0:1], s20, v11
	v_fma_f32 v14, -v6, v13, 1.0
	v_fmac_f32_e32 v13, v14, v13
	v_div_scale_f32 v14, vcc, v8, v9, v8
	v_mul_f32_e32 v15, v14, v13
	v_fma_f32 v16, -v6, v15, v14
	v_fmac_f32_e32 v15, v16, v13
	v_fma_f32 v6, -v6, v15, v14
	v_mul_f32_e32 v14, 0x4f800000, v11
	v_cndmask_b32_e64 v11, v11, v14, s[0:1]
	v_sqrt_f32_e32 v14, v11
	v_div_fmas_f32 v6, v6, v13, v15
	v_div_fixup_f32 v8, v6, v9, v8
	v_add_u32_e32 v6, -1, v14
	v_fma_f32 v9, -v6, v14, v11
	v_cmp_ge_f32_e32 vcc, 0, v9
	v_add_u32_e32 v9, 1, v14
	v_fma_f32 v13, -v9, v14, v11
	v_cndmask_b32_e32 v6, v14, v6, vcc
	v_cmp_lt_f32_e32 vcc, 0, v13
	s_nop 1
	v_cndmask_b32_e32 v6, v6, v9, vcc
	v_mul_f32_e32 v9, 0x37800000, v6
	v_cndmask_b32_e64 v6, v6, v9, s[0:1]
	v_cmp_class_f32_e32 vcc, v11, v10
	s_mov_b32 s0, 0x3fb8aa3b
	s_nop 0
	v_cndmask_b32_e32 v9, v6, v11, vcc
	v_mul_f32_e32 v6, 0x3fb8aa3b, v12
	v_fma_f32 v10, v12, s0, -v6
	v_rndne_f32_e32 v11, v6
	v_fmamk_f32 v10, v12, 0x32a5705f, v10
	v_sub_f32_e32 v6, v6, v11
	v_add_f32_e32 v6, v6, v10
	v_exp_f32_e32 v6, v6
	v_cvt_i32_f32_e32 v10, v11
	s_mov_b32 s0, 0x3f106ebb
	s_mov_b32 s1, 2.0
	v_pk_mul_f32 v[8:9], v[8:9], s[0:1]
	s_mov_b32 s0, 0xc2ce8ed0
	v_ldexp_f32 v6, v6, v10
	v_cmp_ngt_f32_e32 vcc, s0, v12
	s_mov_b32 s0, 0x42b17218
	v_mov_b32_e32 v10, 0x7f800000
	v_cndmask_b32_e32 v6, 0, v6, vcc
	v_cmp_nlt_f32_e32 vcc, s0, v12
	s_nop 1
	v_cndmask_b32_e32 v6, v10, v6, vcc
	v_mul_f32_e32 v6, v9, v6
	v_div_scale_f32 v9, s[0:1], v6, v6, v8
	v_rcp_f32_e32 v10, v9
	s_mov_b32 s0, 0x41052018
	v_fma_f32 v11, -v9, v10, 1.0
	v_fmac_f32_e32 v10, v11, v10
	v_div_scale_f32 v11, vcc, v8, v6, v8
	v_mul_f32_e32 v12, v11, v10
	v_fma_f32 v13, -v9, v12, v11
	v_fmac_f32_e32 v12, v13, v10
	v_fma_f32 v9, -v9, v12, v11
	v_div_fmas_f32 v9, v9, v10, v12
	v_cmp_nlt_f32_e32 vcc, s0, v4
	s_andn2_b64 s[0:1], s[6:7], exec
	s_and_b64 s[20:21], vcc, exec
	v_div_fixup_f32 v6, v9, v6, v8
	s_or_b64 s[0:1], s[0:1], s[20:21]
.LBB17_52:
	s_or_b64 exec, exec, s[18:19]
	s_and_saveexec_b64 s[18:19], s[0:1]
	s_cbranch_execz .LBB17_56
; %bb.53:
	v_mul_f32_e32 v8, v4, v4
	v_mul_f32_e32 v10, v4, v8
	v_mov_b32_e32 v11, v10
	s_mov_b64 s[20:21], 0
	v_mov_b32_e32 v14, 1.0
	v_mov_b32_e32 v8, 1.0
	;; [unrolled: 1-line block ×3, first 2 shown]
	s_brev_b32 s22, 44
	v_mov_b32_e32 v9, v4
	v_mov_b32_e32 v13, v4
.LBB17_54:                              ; =>This Inner Loop Header: Depth=1
	v_pk_mul_f32 v[12:13], v[10:11], v[12:13]
	v_add_f32_e32 v15, 1.0, v14
	v_add_f32_e32 v16, 1.0, v15
	v_div_scale_f32 v17, s[0:1], v15, v15, v12
	v_rcp_f32_e32 v19, v17
	v_div_scale_f32 v20, s[0:1], v16, v16, v13
	v_rcp_f32_e32 v22, v20
	v_fma_f32 v23, -v17, v19, 1.0
	v_div_scale_f32 v18, vcc, v12, v15, v12
	v_fmac_f32_e32 v19, v23, v19
	v_fma_f32 v23, -v20, v22, 1.0
	v_div_scale_f32 v21, s[0:1], v13, v16, v13
	v_mul_f32_e32 v24, v18, v19
	v_fmac_f32_e32 v22, v23, v22
	v_fma_f32 v23, -v17, v24, v18
	v_mul_f32_e32 v25, v21, v22
	v_fmac_f32_e32 v24, v23, v19
	v_fma_f32 v23, -v20, v25, v21
	v_fma_f32 v17, -v17, v24, v18
	v_fmac_f32_e32 v25, v23, v22
	v_div_fmas_f32 v17, v17, v19, v24
	v_fma_f32 v18, -v20, v25, v21
	s_mov_b64 vcc, s[0:1]
	v_div_fixup_f32 v12, v17, v15, v12
	v_div_fmas_f32 v15, v18, v22, v25
	v_add_f32_e32 v14, 1.0, v16
	v_div_fixup_f32 v13, v15, v16, v13
	v_div_scale_f32 v15, s[0:1], v16, v16, v12
	v_div_scale_f32 v18, s[26:27], v14, v14, v13
	v_rcp_f32_e32 v20, v15
	v_rcp_f32_e32 v21, v18
	v_div_scale_f32 v17, s[0:1], v12, v16, v12
	v_fma_f32 v22, -v15, v20, 1.0
	v_fma_f32 v23, -v18, v21, 1.0
	v_div_scale_f32 v19, vcc, v13, v14, v13
	v_fmac_f32_e32 v20, v22, v20
	v_fmac_f32_e32 v21, v23, v21
	v_mul_f32_e32 v22, v17, v20
	v_mul_f32_e32 v23, v19, v21
	v_fma_f32 v24, -v15, v22, v17
	v_fma_f32 v25, -v18, v23, v19
	v_fmac_f32_e32 v22, v24, v20
	v_fmac_f32_e32 v23, v25, v21
	v_fma_f32 v15, -v15, v22, v17
	v_fma_f32 v17, -v18, v23, v19
	v_div_fmas_f32 v17, v17, v21, v23
	s_mov_b64 vcc, s[0:1]
	v_div_fmas_f32 v15, v15, v20, v22
	v_div_fixup_f32 v13, v17, v14, v13
	v_div_fixup_f32 v12, v15, v16, v12
	v_pk_add_f32 v[8:9], v[8:9], v[12:13]
	s_nop 0
	v_div_scale_f32 v15, s[0:1], v8, v8, v12
	v_rcp_f32_e32 v16, v15
	v_div_scale_f32 v17, vcc, v12, v8, v12
	v_fma_f32 v18, -v15, v16, 1.0
	v_fmac_f32_e32 v16, v18, v16
	v_mul_f32_e32 v18, v17, v16
	v_fma_f32 v19, -v15, v18, v17
	v_fmac_f32_e32 v18, v19, v16
	v_fma_f32 v15, -v15, v18, v17
	v_div_fmas_f32 v15, v15, v16, v18
	v_div_fixup_f32 v15, v15, v8, v12
	v_cmp_ngt_f32_e64 s[0:1], |v15|, s22
	s_or_b64 s[20:21], s[0:1], s[20:21]
	s_andn2_b64 exec, exec, s[20:21]
	s_cbranch_execnz .LBB17_54
; %bb.55:
	s_or_b64 exec, exec, s[20:21]
	s_mov_b32 s0, 0x3eb5c63d
	s_mov_b32 s1, 0x3e8483fa
	v_pk_mul_f32 v[8:9], v[8:9], s[0:1]
	s_nop 0
	v_sub_f32_e32 v8, v8, v9
	v_cndmask_b32_e64 v6, v6, v8, s[6:7]
.LBB17_56:
	s_or_b64 exec, exec, s[18:19]
.LBB17_57:
	s_andn2_saveexec_b64 s[18:19], s[4:5]
	s_cbranch_execz .LBB17_67
; %bb.58:
	s_mov_b32 s0, 0x8f800000
	v_mul_f32_e32 v6, 0xcf800000, v4
	v_cmp_lt_f32_e32 vcc, s0, v4
	v_mul_f32_e32 v9, -2.0, v4
	s_mov_b32 s4, 0x40400000
	v_cndmask_b32_e64 v6, -v4, v6, vcc
	v_sqrt_f32_e32 v8, v6
	s_nop 0
	v_add_u32_e32 v4, -1, v8
	v_fma_f32 v10, -v4, v8, v6
	v_cmp_ge_f32_e64 s[0:1], 0, v10
	v_add_u32_e32 v10, 1, v8
	s_nop 0
	v_cndmask_b32_e64 v4, v8, v4, s[0:1]
	v_fma_f32 v8, -v10, v8, v6
	v_cmp_lt_f32_e64 s[0:1], 0, v8
	s_nop 1
	v_cndmask_b32_e64 v4, v4, v10, s[0:1]
	v_mul_f32_e32 v8, 0x37800000, v4
	v_cndmask_b32_e32 v4, v4, v8, vcc
	v_mov_b32_e32 v8, 0x260
	v_cmp_class_f32_e32 vcc, v6, v8
	s_nop 1
	v_cndmask_b32_e32 v4, v4, v6, vcc
	v_mul_f32_e32 v6, v9, v4
	v_div_scale_f32 v8, s[0:1], s4, s4, v6
	v_rcp_f32_e32 v9, v8
	s_brev_b32 s0, 18
	v_fma_f32 v10, -v8, v9, 1.0
	v_fmac_f32_e32 v9, v10, v9
	v_div_scale_f32 v10, vcc, v6, s4, v6
	v_mul_f32_e32 v11, v10, v9
	v_fma_f32 v12, -v8, v11, v10
	v_fmac_f32_e32 v11, v12, v9
	v_fma_f32 v8, -v8, v11, v10
	v_div_fmas_f32 v8, v8, v9, v11
	v_div_fixup_f32 v9, v8, s4, v6
	v_add_f32_e32 v6, 0x3f490fdb, v9
	v_and_b32_e32 v8, 0x7fffffff, v6
	v_cmp_nlt_f32_e64 s[20:21], |v6|, s0
	v_lshrrev_b32_e32 v14, 23, v8
                                        ; implicit-def: $vgpr10
                                        ; implicit-def: $vgpr11
	s_and_saveexec_b64 s[0:1], s[20:21]
	s_xor_b64 s[22:23], exec, s[0:1]
	s_cbranch_execz .LBB17_60
; %bb.59:
	v_add_u32_e32 v10, 0xffffff88, v14
	v_not_b32_e32 v11, 63
	v_cmp_lt_u32_e32 vcc, 63, v10
	s_mov_b32 s6, 0xfe5163ab
	v_mov_b32_e32 v13, 0
	v_cndmask_b32_e32 v11, 0, v11, vcc
	v_add_u32_e32 v10, v11, v10
	v_not_b32_e32 v11, 31
	v_cmp_lt_u32_e64 s[0:1], 31, v10
	s_nop 1
	v_cndmask_b32_e64 v12, 0, v11, s[0:1]
	v_add_u32_e32 v10, v12, v10
	v_cmp_lt_u32_e64 s[4:5], 31, v10
	s_nop 1
	v_cndmask_b32_e64 v11, 0, v11, s[4:5]
	v_add_u32_e32 v15, v11, v10
	v_and_b32_e32 v10, 0x7fffff, v8
	v_or_b32_e32 v26, 0x800000, v10
	v_mad_u64_u32 v[10:11], s[6:7], v26, s6, 0
	v_mov_b32_e32 v12, v11
	s_mov_b32 s6, 0x3c439041
	v_mad_u64_u32 v[16:17], s[6:7], v26, s6, v[12:13]
	v_mov_b32_e32 v12, v17
	s_mov_b32 s6, 0xdb629599
	;; [unrolled: 3-line block ×6, first 2 shown]
	v_mad_u64_u32 v[12:13], s[6:7], v26, s6, v[12:13]
	v_cndmask_b32_e32 v11, v24, v20, vcc
	v_cndmask_b32_e32 v12, v12, v22, vcc
	;; [unrolled: 1-line block ×3, first 2 shown]
	v_cndmask_b32_e64 v17, v12, v11, s[0:1]
	v_cndmask_b32_e64 v12, v13, v12, s[0:1]
	v_cndmask_b32_e32 v13, v22, v18, vcc
	v_cndmask_b32_e64 v11, v11, v13, s[0:1]
	v_sub_u32_e32 v19, 32, v15
	v_cmp_eq_u32_e64 s[6:7], 0, v15
	v_cndmask_b32_e32 v15, v20, v16, vcc
	v_cndmask_b32_e64 v12, v12, v17, s[4:5]
	v_cndmask_b32_e64 v17, v17, v11, s[4:5]
	;; [unrolled: 1-line block ×3, first 2 shown]
	v_alignbit_b32 v21, v12, v17, v19
	v_cndmask_b32_e64 v11, v11, v13, s[4:5]
	v_cndmask_b32_e64 v12, v21, v12, s[6:7]
	v_alignbit_b32 v16, v17, v11, v19
	v_cndmask_b32_e32 v10, v18, v10, vcc
	v_cndmask_b32_e64 v16, v16, v17, s[6:7]
	v_bfe_u32 v21, v12, 29, 1
	v_cndmask_b32_e64 v10, v15, v10, s[0:1]
	v_alignbit_b32 v17, v12, v16, 30
	v_sub_u32_e32 v22, 0, v21
	v_cndmask_b32_e64 v10, v13, v10, s[4:5]
	v_xor_b32_e32 v17, v17, v22
	v_alignbit_b32 v13, v11, v10, v19
	v_cndmask_b32_e64 v11, v13, v11, s[6:7]
	v_ffbh_u32_e32 v15, v17
	v_alignbit_b32 v13, v16, v11, 30
	v_min_u32_e32 v15, 32, v15
	v_alignbit_b32 v10, v11, v10, 30
	v_xor_b32_e32 v13, v13, v22
	v_sub_u32_e32 v16, 31, v15
	v_xor_b32_e32 v10, v10, v22
	v_alignbit_b32 v17, v17, v13, v16
	v_alignbit_b32 v10, v13, v10, v16
	;; [unrolled: 1-line block ×3, first 2 shown]
	v_ffbh_u32_e32 v13, v11
	v_min_u32_e32 v13, 32, v13
	v_lshrrev_b32_e32 v20, 29, v12
	v_not_b32_e32 v16, v13
	v_alignbit_b32 v10, v11, v10, v16
	v_lshlrev_b32_e32 v11, 31, v20
	v_or_b32_e32 v16, 0x33000000, v11
	v_add_lshl_u32 v13, v13, v15, 23
	v_lshrrev_b32_e32 v10, 9, v10
	v_sub_u32_e32 v13, v16, v13
	v_or_b32_e32 v11, 0.5, v11
	v_lshlrev_b32_e32 v15, 23, v15
	v_or_b32_e32 v10, v13, v10
	v_lshrrev_b32_e32 v13, 9, v17
	v_sub_u32_e32 v11, v11, v15
	v_or_b32_e32 v11, v13, v11
	s_mov_b32 s0, 0x3fc90fda
	v_mul_f32_e32 v13, 0x3fc90fda, v11
	v_fma_f32 v15, v11, s0, -v13
	v_fmamk_f32 v11, v11, 0x33a22168, v15
	v_fmac_f32_e32 v11, 0x3fc90fda, v10
	v_lshrrev_b32_e32 v10, 30, v12
	v_add_f32_e32 v11, v13, v11
	v_add_u32_e32 v10, v21, v10
	s_andn2_saveexec_b64 s[0:1], s[22:23]
	s_cbranch_execz .LBB17_62
	s_branch .LBB17_61
.LBB17_60:
	s_andn2_saveexec_b64 s[0:1], s[22:23]
	s_cbranch_execz .LBB17_62
.LBB17_61:
	s_mov_b32 s4, 0x3f22f983
	v_mul_f32_e64 v10, |v6|, s4
	v_rndne_f32_e32 v11, v10
	s_mov_b32 s4, 0xbfc90fda
	v_cvt_i32_f32_e32 v10, v11
	v_fma_f32 v12, v11, s4, |v6|
	v_fmamk_f32 v12, v11, 0xb3a22168, v12
	v_fmamk_f32 v11, v11, 0xa7c234c4, v12
.LBB17_62:
	s_or_b64 exec, exec, s[0:1]
                                        ; implicit-def: $vgpr12
                                        ; implicit-def: $vgpr13
	s_and_saveexec_b64 s[0:1], s[20:21]
	s_xor_b64 s[20:21], exec, s[0:1]
	s_cbranch_execz .LBB17_64
; %bb.63:
	v_add_u32_e32 v12, 0xffffff88, v14
	v_not_b32_e32 v13, 63
	v_cmp_lt_u32_e32 vcc, 63, v12
	s_mov_b32 s6, 0xfe5163ab
	v_mov_b32_e32 v15, 0
	v_cndmask_b32_e32 v13, 0, v13, vcc
	v_add_u32_e32 v12, v13, v12
	v_not_b32_e32 v13, 31
	v_cmp_lt_u32_e64 s[0:1], 31, v12
	s_nop 1
	v_cndmask_b32_e64 v14, 0, v13, s[0:1]
	v_add_u32_e32 v12, v14, v12
	v_cmp_lt_u32_e64 s[4:5], 31, v12
	s_nop 1
	v_cndmask_b32_e64 v13, 0, v13, s[4:5]
	v_add_u32_e32 v26, v13, v12
	v_and_b32_e32 v12, 0x7fffff, v8
	v_or_b32_e32 v27, 0x800000, v12
	v_mad_u64_u32 v[12:13], s[6:7], v27, s6, 0
	v_mov_b32_e32 v14, v13
	s_mov_b32 s6, 0x3c439041
	v_mad_u64_u32 v[16:17], s[6:7], v27, s6, v[14:15]
	v_mov_b32_e32 v14, v17
	s_mov_b32 s6, 0xdb629599
	;; [unrolled: 3-line block ×6, first 2 shown]
	v_mad_u64_u32 v[14:15], s[6:7], v27, s6, v[14:15]
	v_cndmask_b32_e32 v13, v24, v20, vcc
	v_cndmask_b32_e32 v14, v14, v22, vcc
	;; [unrolled: 1-line block ×3, first 2 shown]
	v_cndmask_b32_e64 v17, v14, v13, s[0:1]
	v_cndmask_b32_e64 v14, v15, v14, s[0:1]
	v_cndmask_b32_e32 v15, v22, v18, vcc
	v_cndmask_b32_e64 v13, v13, v15, s[0:1]
	v_cndmask_b32_e32 v16, v20, v16, vcc
	v_cndmask_b32_e64 v14, v14, v17, s[4:5]
	v_cndmask_b32_e64 v17, v17, v13, s[4:5]
	v_sub_u32_e32 v19, 32, v26
	v_cndmask_b32_e64 v15, v15, v16, s[0:1]
	v_alignbit_b32 v21, v14, v17, v19
	v_cmp_eq_u32_e64 s[6:7], 0, v26
	v_cndmask_b32_e64 v13, v13, v15, s[4:5]
	v_alignbit_b32 v20, v17, v13, v19
	v_cndmask_b32_e64 v14, v21, v14, s[6:7]
	v_cndmask_b32_e32 v12, v18, v12, vcc
	v_cndmask_b32_e64 v17, v20, v17, s[6:7]
	v_bfe_u32 v22, v14, 29, 1
	v_cndmask_b32_e64 v12, v16, v12, s[0:1]
	v_alignbit_b32 v20, v14, v17, 30
	v_sub_u32_e32 v23, 0, v22
	v_cndmask_b32_e64 v12, v15, v12, s[4:5]
	v_xor_b32_e32 v20, v20, v23
	v_alignbit_b32 v15, v13, v12, v19
	v_cndmask_b32_e64 v13, v15, v13, s[6:7]
	v_ffbh_u32_e32 v16, v20
	v_alignbit_b32 v15, v17, v13, 30
	v_min_u32_e32 v16, 32, v16
	v_alignbit_b32 v12, v13, v12, 30
	v_xor_b32_e32 v15, v15, v23
	v_sub_u32_e32 v17, 31, v16
	v_xor_b32_e32 v12, v12, v23
	v_alignbit_b32 v18, v20, v15, v17
	v_alignbit_b32 v12, v15, v12, v17
	;; [unrolled: 1-line block ×3, first 2 shown]
	v_ffbh_u32_e32 v15, v13
	v_min_u32_e32 v15, 32, v15
	v_lshrrev_b32_e32 v21, 29, v14
	v_not_b32_e32 v17, v15
	v_alignbit_b32 v12, v13, v12, v17
	v_lshlrev_b32_e32 v13, 31, v21
	v_or_b32_e32 v17, 0x33000000, v13
	v_add_lshl_u32 v15, v15, v16, 23
	v_lshrrev_b32_e32 v12, 9, v12
	v_sub_u32_e32 v15, v17, v15
	v_or_b32_e32 v13, 0.5, v13
	v_lshlrev_b32_e32 v16, 23, v16
	v_or_b32_e32 v12, v15, v12
	v_lshrrev_b32_e32 v15, 9, v18
	v_sub_u32_e32 v13, v13, v16
	v_or_b32_e32 v13, v15, v13
	s_mov_b32 s0, 0x3fc90fda
	v_mul_f32_e32 v15, 0x3fc90fda, v13
	v_fma_f32 v16, v13, s0, -v15
	v_fmamk_f32 v13, v13, 0x33a22168, v16
	v_fmac_f32_e32 v13, 0x3fc90fda, v12
	v_lshrrev_b32_e32 v12, 30, v14
	v_add_f32_e32 v13, v15, v13
	v_add_u32_e32 v12, v22, v12
	s_andn2_saveexec_b64 s[0:1], s[20:21]
	s_cbranch_execnz .LBB17_65
	s_branch .LBB17_66
.LBB17_64:
	s_andn2_saveexec_b64 s[0:1], s[20:21]
	s_cbranch_execz .LBB17_66
.LBB17_65:
	s_mov_b32 s4, 0x3f22f983
	v_mul_f32_e64 v12, |v6|, s4
	v_rndne_f32_e32 v13, v12
	s_mov_b32 s4, 0xbfc90fda
	v_cvt_i32_f32_e32 v12, v13
	v_fma_f32 v14, v13, s4, |v6|
	v_fmamk_f32 v14, v13, 0xb3a22168, v14
	v_fmamk_f32 v13, v13, 0xa7c234c4, v14
.LBB17_66:
	s_or_b64 exec, exec, s[0:1]
	v_div_scale_f32 v14, s[0:1], v9, v9, 1.0
	v_rcp_f32_e32 v15, v14
	v_div_scale_f32 v16, vcc, 1.0, v9, 1.0
	v_xor_b32_e32 v8, v8, v6
	v_fma_f32 v17, -v14, v15, 1.0
	v_fmac_f32_e32 v15, v17, v15
	v_mul_f32_e32 v17, v16, v15
	v_fma_f32 v18, -v14, v17, v16
	v_fmac_f32_e32 v17, v18, v15
	v_fma_f32 v14, -v14, v17, v16
	v_div_fmas_f32 v14, v14, v15, v17
	v_div_fixup_f32 v9, v14, v9, 1.0
	v_mul_f32_e32 v14, v9, v9
	v_mov_b32_e32 v15, 0xbe06db67
	v_mul_f32_e32 v17, v11, v11
	v_mov_b32_e32 v18, 0x3c0881c4
	v_fmac_f32_e32 v15, 0, v14
	v_mov_b32_e32 v16, 0x4155b259
	v_fmamk_f32 v19, v17, 0xb94c1982, v18
	v_fmaak_f32 v15, v14, v15, 0xbf205f75
	v_fmac_f32_e32 v16, 0, v14
	v_fmaak_f32 v19, v17, v19, 0xbe2aaa9d
	v_fmaak_f32 v15, v14, v15, 0xbf3172ce
	;; [unrolled: 1-line block ×3, first 2 shown]
	v_mul_f32_e32 v19, v17, v19
	v_fmaak_f32 v15, v14, v15, 0xbe8f3f52
	v_fmaak_f32 v16, v14, v16, 0x41d5e4c5
	v_fmac_f32_e32 v11, v11, v19
	v_mov_b32_e32 v19, 0xbab64f3b
	v_fmaak_f32 v15, v14, v15, 0xbd497b78
	v_fmaak_f32 v16, v14, v16, 0x4112fe41
	v_fmamk_f32 v21, v17, 0x37d75334, v19
	v_fmaak_f32 v15, v14, v15, 0xbb85200e
	v_fmaak_f32 v16, v14, v16, 0x3fbcd65a
	v_fmaak_f32 v21, v17, v21, 0x3d2aabf7
	v_fmaak_f32 v15, v14, v15, 0xb9270375
	v_fmaak_f32 v16, v14, v16, 0x3deced66
	v_fmaak_f32 v21, v17, v21, 0xbf000004
	v_fmaak_f32 v15, v14, v15, 0xb63a53c1
	v_fmaak_f32 v16, v14, v16, 0x3b904657
	v_fma_f32 v17, v17, v21, 1.0
	v_and_b32_e32 v21, 1, v10
	v_lshlrev_b32_e32 v10, 30, v10
	v_fmaak_f32 v16, v14, v16, 0x389e46bd
	v_fmaak_f32 v15, v14, v15, 0xb29020e8
	v_cmp_eq_u32_e32 vcc, 0, v21
	v_and_b32_e32 v10, 0x80000000, v10
	v_fmaak_f32 v16, v14, v16, 0x34f295ce
	v_cndmask_b32_e32 v11, v17, v11, vcc
	v_xor_b32_e32 v8, v8, v10
	v_mul_f32_e32 v10, v14, v15
	v_xor_b32_e32 v8, v8, v11
	v_div_scale_f32 v11, s[0:1], v16, v16, v10
	v_rcp_f32_e32 v15, v11
	s_movk_i32 s4, 0x1f8
	v_mov_b32_e32 v17, 0x7fc00000
	v_cmp_class_f32_e64 s[0:1], v6, s4
	s_mov_b32 s4, 0xf800000
	s_mov_b32 s7, 0x3f106ebb
	v_cndmask_b32_e64 v6, v17, v8, s[0:1]
	v_fma_f32 v8, -v11, v15, 1.0
	v_fmac_f32_e32 v15, v8, v15
	v_div_scale_f32 v8, vcc, v10, v16, v10
	v_mul_f32_e32 v21, v8, v15
	v_fma_f32 v24, -v11, v21, v8
	v_fmac_f32_e32 v21, v24, v15
	v_fma_f32 v8, -v11, v21, v8
	v_div_fmas_f32 v8, v8, v15, v21
	v_mul_f32_e32 v15, 0x4f800000, v4
	v_cmp_gt_f32_e32 vcc, s4, v4
	v_div_fixup_f32 v8, v8, v16, v10
	v_mov_b32_e32 v10, 0x3ca1a92f
	v_cndmask_b32_e32 v4, v4, v15, vcc
	v_sqrt_f32_e32 v15, v4
	v_fmac_f32_e32 v10, 0, v14
	v_mov_b32_e32 v11, 0x4114f160
	v_fmaak_f32 v10, v14, v10, 0x3ec83ea8
	v_add_u32_e32 v16, -1, v15
	v_fma_f32 v21, -v16, v15, v4
	v_cmp_ge_f32_e64 s[4:5], 0, v21
	v_add_u32_e32 v21, 1, v15
	v_fmac_f32_e32 v11, 0, v14
	v_cndmask_b32_e64 v16, v15, v16, s[4:5]
	v_fma_f32 v15, -v21, v15, v4
	v_cmp_lt_f32_e64 s[4:5], 0, v15
	v_fmaak_f32 v10, v14, v10, 0x3f886c1a
	v_fmaak_f32 v11, v14, v11, 0x419eaeae
	v_cndmask_b32_e64 v15, v16, v21, s[4:5]
	v_mul_f32_e32 v16, 0x37800000, v15
	v_cndmask_b32_e32 v15, v15, v16, vcc
	v_mov_b32_e32 v16, 0x260
	v_fmaak_f32 v10, v14, v10, 0x3f706d65
	v_fmaak_f32 v11, v14, v11, 0x417908dc
	v_cmp_class_f32_e32 vcc, v4, v16
	v_fmaak_f32 v10, v14, v10, 0x3eb3f34e
	v_fmaak_f32 v11, v14, v11, 0x40af4271
	v_cndmask_b32_e32 v4, v15, v4, vcc
	v_fmaak_f32 v10, v14, v10, 0x3d81d209
	v_fmaak_f32 v11, v14, v11, 0x3f744c96
	v_div_scale_f32 v15, s[4:5], v4, v4, s7
	v_fmaak_f32 v10, v14, v10, 0x3bbff4d0
	v_fmaak_f32 v11, v14, v11, 0x3db110ef
	v_rcp_f32_e32 v16, v15
	v_fmaak_f32 v10, v14, v10, 0x39944bb3
	v_fmaak_f32 v11, v14, v11, 0x3b873823
	;; [unrolled: 1-line block ×8, first 2 shown]
	v_fma_f32 v14, -v15, v16, 1.0
	v_fmac_f32_e32 v16, v14, v16
	v_div_scale_f32 v14, vcc, s7, v4, s7
	v_mul_f32_e32 v21, v14, v16
	v_fma_f32 v24, -v15, v21, v14
	v_fmac_f32_e32 v21, v24, v16
	v_fma_f32 v14, -v15, v21, v14
	v_div_fmas_f32 v14, v14, v16, v21
	v_div_fixup_f32 v4, v14, v4, s7
	v_mul_f32_e32 v14, v13, v13
	v_mov_b32_e32 v20, 0xbe2aaa9d
	v_fmac_f32_e32 v18, 0xb94c1982, v14
	v_mov_b32_e32 v22, 0x3d2aabf7
	v_fmac_f32_e32 v20, v14, v18
	v_fmac_f32_e32 v19, 0x37d75334, v14
	v_mov_b32_e32 v23, 0xbf000004
	v_mul_f32_e32 v15, v14, v20
	v_fmac_f32_e32 v22, v14, v19
	v_fmac_f32_e32 v13, v13, v15
	;; [unrolled: 1-line block ×3, first 2 shown]
	v_and_b32_e32 v15, 1, v12
	v_mul_f32_e32 v9, v9, v10
	v_fma_f32 v14, v14, v23, 1.0
	v_cmp_eq_u32_e32 vcc, 0, v15
	v_div_scale_f32 v10, s[4:5], v11, v11, v9
	s_nop 0
	v_cndmask_b32_e64 v13, -v13, v14, vcc
	v_rcp_f32_e32 v14, v10
	s_brev_b32 s6, 1
	v_lshlrev_b32_e32 v12, 30, v12
	v_bitop3_b32 v12, v12, v13, s6 bitop3:0x6c
	v_fma_f32 v13, -v10, v14, 1.0
	v_fmac_f32_e32 v14, v13, v14
	v_div_scale_f32 v13, vcc, v9, v11, v9
	v_mul_f32_e32 v15, v13, v14
	v_fma_f32 v16, -v10, v15, v13
	v_fmac_f32_e32 v15, v16, v14
	v_fma_f32 v10, -v10, v15, v13
	v_div_fmas_f32 v10, v10, v14, v15
	v_cndmask_b32_e64 v12, v17, v12, s[0:1]
	v_div_fixup_f32 v9, v10, v11, v9
	v_add_f32_e32 v8, 1.0, v8
	v_mul_f32_e32 v9, v9, v12
	v_fma_f32 v6, v8, v6, -v9
	v_mul_f32_e32 v6, v4, v6
.LBB17_67:
	s_or_b64 exec, exec, s[18:19]
.LBB17_68:
	s_or_b64 exec, exec, s[16:17]
.LBB17_69:
	s_or_b64 exec, exec, s[14:15]
	v_cmp_neq_f32_e64 s[0:1], |v5|, s24
	s_and_saveexec_b64 s[14:15], s[0:1]
	s_cbranch_execz .LBB17_91
; %bb.70:
	s_mov_b32 s0, 0x42cfc8b4
	v_cmp_nlt_f32_e32 vcc, s0, v5
	v_mov_b32_e32 v7, 0
	s_and_saveexec_b64 s[16:17], vcc
	s_cbranch_execz .LBB17_90
; %bb.71:
	s_mov_b32 s0, 0xc005c28f
	v_cmp_ngt_f32_e32 vcc, s0, v5
	s_and_saveexec_b64 s[0:1], vcc
	s_xor_b64 s[4:5], exec, s[0:1]
	s_cbranch_execz .LBB17_79
; %bb.72:
	s_mov_b32 s0, 0x4005c28f
	v_cmp_nle_f32_e64 s[6:7], s0, v5
	v_cmp_le_f32_e32 vcc, s0, v5
	v_mov_b32_e32 v7, 0
	s_mov_b64 s[0:1], s[6:7]
	s_and_saveexec_b64 s[18:19], vcc
	s_cbranch_execz .LBB17_74
; %bb.73:
	s_mov_b32 s20, 0xf800000
	v_mul_f32_e32 v4, 0x4f800000, v5
	v_cmp_gt_f32_e32 vcc, s20, v5
	v_add_f32_e32 v8, v5, v5
	s_mov_b32 s21, 0x40400000
	v_cndmask_b32_e32 v4, v5, v4, vcc
	v_sqrt_f32_e32 v7, v4
	s_nop 0
	v_add_u32_e32 v9, -1, v7
	v_fma_f32 v10, -v9, v7, v4
	v_cmp_ge_f32_e64 s[0:1], 0, v10
	v_add_u32_e32 v10, 1, v7
	s_nop 0
	v_cndmask_b32_e64 v9, v7, v9, s[0:1]
	v_fma_f32 v7, -v10, v7, v4
	v_cmp_lt_f32_e64 s[0:1], 0, v7
	s_nop 1
	v_cndmask_b32_e64 v7, v9, v10, s[0:1]
	v_mul_f32_e32 v9, 0x37800000, v7
	v_mov_b32_e32 v10, 0x260
	v_cndmask_b32_e32 v7, v7, v9, vcc
	v_cmp_class_f32_e32 vcc, v4, v10
	s_nop 1
	v_cndmask_b32_e32 v7, v7, v4, vcc
	v_mul_f32_e32 v4, v8, v7
	v_div_scale_f32 v8, s[0:1], s21, s21, v4
	v_rcp_f32_e32 v9, v8
	s_nop 0
	v_fma_f32 v11, -v8, v9, 1.0
	v_fmac_f32_e32 v9, v11, v9
	v_div_scale_f32 v11, vcc, v4, s21, v4
	v_mul_f32_e32 v12, v11, v9
	v_fma_f32 v13, -v8, v12, v11
	v_fmac_f32_e32 v12, v13, v9
	v_fma_f32 v8, -v8, v12, v11
	v_div_fmas_f32 v8, v8, v9, v12
	v_div_fixup_f32 v11, v8, s21, v4
	v_div_scale_f32 v4, s[0:1], v11, v11, 1.0
	v_rcp_f32_e32 v8, v4
	s_mov_b32 s0, 0x3eb16d71
	s_mov_b32 s1, 0x3f114de0
	v_fma_f32 v9, -v4, v8, 1.0
	v_fmac_f32_e32 v8, v9, v8
	v_div_scale_f32 v9, vcc, 1.0, v11, 1.0
	v_mul_f32_e32 v12, v9, v8
	v_fma_f32 v13, -v4, v12, v9
	v_fmac_f32_e32 v12, v13, v8
	v_fma_f32 v4, -v4, v12, v9
	v_div_fmas_f32 v4, v4, v8, v12
	v_div_fixup_f32 v4, v4, v11, 1.0
	v_mul_f32_e32 v8, 0, v4
	v_pk_add_f32 v[8:9], v[8:9], s[0:1] op_sel_hi:[0,1]
	s_mov_b32 s0, 0x41401f1c
	s_mov_b32 s1, 0x416c19a0
	v_pk_fma_f32 v[8:9], v[4:5], v[8:9], s[0:1] op_sel_hi:[0,1,1]
	s_mov_b32 s0, 0x42988f28
	s_mov_b32 s1, 0x42a9071e
	v_pk_fma_f32 v[8:9], v[4:5], v[8:9], s[0:1] op_sel_hi:[0,1,1]
	;; [unrolled: 3-line block ×6, first 2 shown]
	v_pk_fma_f32 v[8:9], v[4:5], v[8:9], 1.0 op_sel_hi:[0,1,0]
	v_div_scale_f32 v4, s[0:1], v9, v9, v8
	v_rcp_f32_e32 v12, v4
	v_cmp_gt_f32_e64 s[0:1], s20, v7
	v_fma_f32 v13, -v4, v12, 1.0
	v_fmac_f32_e32 v12, v13, v12
	v_div_scale_f32 v13, vcc, v8, v9, v8
	v_mul_f32_e32 v14, v13, v12
	v_fma_f32 v15, -v4, v14, v13
	v_fmac_f32_e32 v14, v15, v12
	v_fma_f32 v4, -v4, v14, v13
	v_mul_f32_e32 v13, 0x4f800000, v7
	v_cndmask_b32_e64 v7, v7, v13, s[0:1]
	v_sqrt_f32_e32 v13, v7
	v_div_fmas_f32 v4, v4, v12, v14
	v_div_fixup_f32 v8, v4, v9, v8
	v_add_u32_e32 v4, -1, v13
	v_fma_f32 v9, -v4, v13, v7
	v_cmp_ge_f32_e32 vcc, 0, v9
	v_add_u32_e32 v9, 1, v13
	v_fma_f32 v12, -v9, v13, v7
	v_cndmask_b32_e32 v4, v13, v4, vcc
	v_cmp_lt_f32_e32 vcc, 0, v12
	s_nop 1
	v_cndmask_b32_e32 v4, v4, v9, vcc
	v_mul_f32_e32 v9, 0x37800000, v4
	v_cndmask_b32_e64 v4, v4, v9, s[0:1]
	v_cmp_class_f32_e32 vcc, v7, v10
	s_mov_b32 s0, 0x3fb8aa3b
	s_nop 0
	v_cndmask_b32_e32 v9, v4, v7, vcc
	v_mul_f32_e32 v4, 0x3fb8aa3b, v11
	v_fma_f32 v7, v11, s0, -v4
	v_rndne_f32_e32 v10, v4
	v_fmamk_f32 v7, v11, 0x32a5705f, v7
	v_sub_f32_e32 v4, v4, v10
	v_add_f32_e32 v4, v4, v7
	v_exp_f32_e32 v4, v4
	v_cvt_i32_f32_e32 v7, v10
	s_mov_b32 s0, 0x3f106ebb
	s_mov_b32 s1, 2.0
	v_pk_mul_f32 v[8:9], v[8:9], s[0:1]
	s_mov_b32 s0, 0xc2ce8ed0
	v_ldexp_f32 v4, v4, v7
	v_cmp_ngt_f32_e32 vcc, s0, v11
	s_mov_b32 s0, 0x42b17218
	v_mov_b32_e32 v7, 0x7f800000
	v_cndmask_b32_e32 v4, 0, v4, vcc
	v_cmp_nlt_f32_e32 vcc, s0, v11
	s_nop 1
	v_cndmask_b32_e32 v4, v7, v4, vcc
	v_mul_f32_e32 v4, v9, v4
	v_div_scale_f32 v7, s[0:1], v4, v4, v8
	v_rcp_f32_e32 v9, v7
	s_mov_b32 s0, 0x41052018
	v_fma_f32 v10, -v7, v9, 1.0
	v_fmac_f32_e32 v9, v10, v9
	v_div_scale_f32 v10, vcc, v8, v4, v8
	v_mul_f32_e32 v11, v10, v9
	v_fma_f32 v12, -v7, v11, v10
	v_fmac_f32_e32 v11, v12, v9
	v_fma_f32 v7, -v7, v11, v10
	v_div_fmas_f32 v7, v7, v9, v11
	v_cmp_nlt_f32_e32 vcc, s0, v5
	s_andn2_b64 s[0:1], s[6:7], exec
	s_and_b64 s[20:21], vcc, exec
	v_div_fixup_f32 v7, v7, v4, v8
	s_or_b64 s[0:1], s[0:1], s[20:21]
.LBB17_74:
	s_or_b64 exec, exec, s[18:19]
	s_and_saveexec_b64 s[18:19], s[0:1]
	s_cbranch_execz .LBB17_78
; %bb.75:
	v_mul_f32_e32 v4, v5, v5
	v_mul_f32_e32 v8, v5, v4
	v_mov_b32_e32 v9, v8
	s_mov_b64 s[20:21], 0
	v_mov_b32_e32 v12, 1.0
	v_mov_b32_e32 v4, 1.0
	v_mov_b32_e32 v10, 1.0
	s_brev_b32 s22, 44
	v_mov_b32_e32 v11, v5
.LBB17_76:                              ; =>This Inner Loop Header: Depth=1
	v_pk_mul_f32 v[10:11], v[8:9], v[10:11]
	v_add_f32_e32 v13, 1.0, v12
	v_add_f32_e32 v14, 1.0, v13
	v_div_scale_f32 v15, s[0:1], v13, v13, v10
	v_rcp_f32_e32 v17, v15
	v_div_scale_f32 v18, s[0:1], v14, v14, v11
	v_rcp_f32_e32 v20, v18
	v_fma_f32 v21, -v15, v17, 1.0
	v_div_scale_f32 v16, vcc, v10, v13, v10
	v_fmac_f32_e32 v17, v21, v17
	v_fma_f32 v21, -v18, v20, 1.0
	v_div_scale_f32 v19, s[0:1], v11, v14, v11
	v_mul_f32_e32 v22, v16, v17
	v_fmac_f32_e32 v20, v21, v20
	v_fma_f32 v21, -v15, v22, v16
	v_mul_f32_e32 v23, v19, v20
	v_fmac_f32_e32 v22, v21, v17
	v_fma_f32 v21, -v18, v23, v19
	v_fma_f32 v15, -v15, v22, v16
	v_fmac_f32_e32 v23, v21, v20
	v_div_fmas_f32 v15, v15, v17, v22
	v_fma_f32 v16, -v18, v23, v19
	s_mov_b64 vcc, s[0:1]
	v_div_fixup_f32 v10, v15, v13, v10
	v_div_fmas_f32 v13, v16, v20, v23
	v_add_f32_e32 v12, 1.0, v14
	v_div_fixup_f32 v11, v13, v14, v11
	v_div_scale_f32 v13, s[0:1], v14, v14, v10
	v_div_scale_f32 v16, s[24:25], v12, v12, v11
	v_rcp_f32_e32 v18, v13
	v_rcp_f32_e32 v19, v16
	v_div_scale_f32 v15, s[0:1], v10, v14, v10
	v_fma_f32 v20, -v13, v18, 1.0
	v_fma_f32 v21, -v16, v19, 1.0
	v_div_scale_f32 v17, vcc, v11, v12, v11
	v_fmac_f32_e32 v18, v20, v18
	v_fmac_f32_e32 v19, v21, v19
	v_mul_f32_e32 v20, v15, v18
	v_mul_f32_e32 v21, v17, v19
	v_fma_f32 v22, -v13, v20, v15
	v_fma_f32 v23, -v16, v21, v17
	v_fmac_f32_e32 v20, v22, v18
	v_fmac_f32_e32 v21, v23, v19
	v_fma_f32 v13, -v13, v20, v15
	v_fma_f32 v15, -v16, v21, v17
	v_div_fmas_f32 v15, v15, v19, v21
	s_mov_b64 vcc, s[0:1]
	v_div_fmas_f32 v13, v13, v18, v20
	v_div_fixup_f32 v11, v15, v12, v11
	v_div_fixup_f32 v10, v13, v14, v10
	v_pk_add_f32 v[4:5], v[4:5], v[10:11]
	s_nop 0
	v_div_scale_f32 v13, s[0:1], v4, v4, v10
	v_rcp_f32_e32 v14, v13
	v_div_scale_f32 v15, vcc, v10, v4, v10
	v_fma_f32 v16, -v13, v14, 1.0
	v_fmac_f32_e32 v14, v16, v14
	v_mul_f32_e32 v16, v15, v14
	v_fma_f32 v17, -v13, v16, v15
	v_fmac_f32_e32 v16, v17, v14
	v_fma_f32 v13, -v13, v16, v15
	v_div_fmas_f32 v13, v13, v14, v16
	v_div_fixup_f32 v13, v13, v4, v10
	v_cmp_ngt_f32_e64 s[0:1], |v13|, s22
	s_or_b64 s[20:21], s[0:1], s[20:21]
	s_andn2_b64 exec, exec, s[20:21]
	s_cbranch_execnz .LBB17_76
; %bb.77:
	s_or_b64 exec, exec, s[20:21]
	s_mov_b32 s0, 0x3eb5c63d
	s_mov_b32 s1, 0x3e8483fa
	v_pk_mul_f32 v[4:5], v[4:5], s[0:1]
	s_nop 0
	v_sub_f32_e32 v4, v4, v5
	v_cndmask_b32_e64 v7, v7, v4, s[6:7]
.LBB17_78:
	s_or_b64 exec, exec, s[18:19]
                                        ; implicit-def: $vgpr4_vgpr5
.LBB17_79:
	s_andn2_saveexec_b64 s[18:19], s[4:5]
	s_cbranch_execz .LBB17_89
; %bb.80:
	s_mov_b32 s0, 0x8f800000
	v_mul_f32_e32 v4, 0xcf800000, v5
	v_cmp_lt_f32_e32 vcc, s0, v5
	s_mov_b32 s4, 0x40400000
	s_nop 0
	v_cndmask_b32_e64 v4, -v5, v4, vcc
	v_sqrt_f32_e32 v7, v4
	v_mul_f32_e32 v5, -2.0, v5
	v_add_u32_e32 v8, -1, v7
	v_fma_f32 v9, -v8, v7, v4
	v_cmp_ge_f32_e64 s[0:1], 0, v9
	v_add_u32_e32 v9, 1, v7
	s_nop 0
	v_cndmask_b32_e64 v8, v7, v8, s[0:1]
	v_fma_f32 v7, -v9, v7, v4
	v_cmp_lt_f32_e64 s[0:1], 0, v7
	s_nop 1
	v_cndmask_b32_e64 v7, v8, v9, s[0:1]
	v_mul_f32_e32 v8, 0x37800000, v7
	v_cndmask_b32_e32 v7, v7, v8, vcc
	v_mov_b32_e32 v8, 0x260
	v_cmp_class_f32_e32 vcc, v4, v8
	s_nop 1
	v_cndmask_b32_e32 v4, v7, v4, vcc
	v_mul_f32_e32 v5, v5, v4
	v_div_scale_f32 v7, s[0:1], s4, s4, v5
	v_rcp_f32_e32 v8, v7
	s_brev_b32 s0, 18
	v_fma_f32 v9, -v7, v8, 1.0
	v_fmac_f32_e32 v8, v9, v8
	v_div_scale_f32 v9, vcc, v5, s4, v5
	v_mul_f32_e32 v10, v9, v8
	v_fma_f32 v11, -v7, v10, v9
	v_fmac_f32_e32 v10, v11, v8
	v_fma_f32 v7, -v7, v10, v9
	v_div_fmas_f32 v7, v7, v8, v10
	v_div_fixup_f32 v8, v7, s4, v5
	v_add_f32_e32 v5, 0x3f490fdb, v8
	v_and_b32_e32 v7, 0x7fffffff, v5
	v_cmp_nlt_f32_e64 s[20:21], |v5|, s0
	v_lshrrev_b32_e32 v13, 23, v7
                                        ; implicit-def: $vgpr9
                                        ; implicit-def: $vgpr10
	s_and_saveexec_b64 s[0:1], s[20:21]
	s_xor_b64 s[22:23], exec, s[0:1]
	s_cbranch_execz .LBB17_82
; %bb.81:
	v_add_u32_e32 v9, 0xffffff88, v13
	v_not_b32_e32 v10, 63
	v_cmp_lt_u32_e32 vcc, 63, v9
	s_mov_b32 s6, 0xfe5163ab
	v_mov_b32_e32 v15, 0
	v_cndmask_b32_e32 v10, 0, v10, vcc
	v_add_u32_e32 v9, v10, v9
	v_not_b32_e32 v10, 31
	v_cmp_lt_u32_e64 s[0:1], 31, v9
	s_nop 1
	v_cndmask_b32_e64 v11, 0, v10, s[0:1]
	v_add_u32_e32 v9, v11, v9
	v_cmp_lt_u32_e64 s[4:5], 31, v9
	s_nop 1
	v_cndmask_b32_e64 v10, 0, v10, s[4:5]
	v_add_u32_e32 v9, v10, v9
	v_and_b32_e32 v10, 0x7fffff, v7
	v_or_b32_e32 v12, 0x800000, v10
	v_mad_u64_u32 v[10:11], s[6:7], v12, s6, 0
	v_mov_b32_e32 v14, v11
	s_mov_b32 s6, 0x3c439041
	v_mad_u64_u32 v[16:17], s[6:7], v12, s6, v[14:15]
	v_mov_b32_e32 v14, v17
	s_mov_b32 s6, 0xdb629599
	;; [unrolled: 3-line block ×6, first 2 shown]
	v_mad_u64_u32 v[14:15], s[6:7], v12, s6, v[14:15]
	v_cndmask_b32_e32 v11, v24, v20, vcc
	v_cndmask_b32_e32 v12, v14, v22, vcc
	;; [unrolled: 1-line block ×3, first 2 shown]
	v_cndmask_b32_e64 v14, v12, v11, s[0:1]
	v_cndmask_b32_e64 v12, v15, v12, s[0:1]
	v_cndmask_b32_e32 v15, v22, v18, vcc
	v_cndmask_b32_e64 v11, v11, v15, s[0:1]
	v_cndmask_b32_e64 v12, v12, v14, s[4:5]
	;; [unrolled: 1-line block ×3, first 2 shown]
	v_sub_u32_e32 v17, 32, v9
	v_alignbit_b32 v19, v12, v14, v17
	v_cmp_eq_u32_e64 s[6:7], 0, v9
	v_cndmask_b32_e32 v10, v18, v10, vcc
	s_nop 0
	v_cndmask_b32_e64 v9, v19, v12, s[6:7]
	v_cndmask_b32_e32 v12, v20, v16, vcc
	v_cndmask_b32_e64 v15, v15, v12, s[0:1]
	v_cndmask_b32_e64 v11, v11, v15, s[4:5]
	v_alignbit_b32 v16, v14, v11, v17
	v_cndmask_b32_e64 v10, v12, v10, s[0:1]
	v_cndmask_b32_e64 v14, v16, v14, s[6:7]
	v_bfe_u32 v20, v9, 29, 1
	v_cndmask_b32_e64 v10, v15, v10, s[4:5]
	v_alignbit_b32 v16, v9, v14, 30
	v_sub_u32_e32 v21, 0, v20
	v_alignbit_b32 v12, v11, v10, v17
	v_xor_b32_e32 v16, v16, v21
	v_cndmask_b32_e64 v11, v12, v11, s[6:7]
	v_alignbit_b32 v12, v14, v11, 30
	v_ffbh_u32_e32 v14, v16
	v_min_u32_e32 v14, 32, v14
	v_alignbit_b32 v10, v11, v10, 30
	v_xor_b32_e32 v12, v12, v21
	v_sub_u32_e32 v15, 31, v14
	v_xor_b32_e32 v10, v10, v21
	v_alignbit_b32 v16, v16, v12, v15
	v_alignbit_b32 v10, v12, v10, v15
	;; [unrolled: 1-line block ×3, first 2 shown]
	v_ffbh_u32_e32 v12, v11
	v_min_u32_e32 v12, 32, v12
	v_lshrrev_b32_e32 v19, 29, v9
	v_not_b32_e32 v15, v12
	v_alignbit_b32 v10, v11, v10, v15
	v_lshlrev_b32_e32 v11, 31, v19
	v_or_b32_e32 v15, 0x33000000, v11
	v_add_lshl_u32 v12, v12, v14, 23
	v_lshrrev_b32_e32 v10, 9, v10
	v_sub_u32_e32 v12, v15, v12
	v_or_b32_e32 v11, 0.5, v11
	v_lshlrev_b32_e32 v14, 23, v14
	v_or_b32_e32 v10, v12, v10
	v_lshrrev_b32_e32 v12, 9, v16
	v_sub_u32_e32 v11, v11, v14
	v_or_b32_e32 v11, v12, v11
	s_mov_b32 s0, 0x3fc90fda
	v_mul_f32_e32 v12, 0x3fc90fda, v11
	v_fma_f32 v14, v11, s0, -v12
	v_fmamk_f32 v11, v11, 0x33a22168, v14
	v_fmac_f32_e32 v11, 0x3fc90fda, v10
	v_lshrrev_b32_e32 v9, 30, v9
	v_add_f32_e32 v10, v12, v11
	v_add_u32_e32 v9, v20, v9
	s_andn2_saveexec_b64 s[0:1], s[22:23]
	s_cbranch_execz .LBB17_84
	s_branch .LBB17_83
.LBB17_82:
	s_andn2_saveexec_b64 s[0:1], s[22:23]
	s_cbranch_execz .LBB17_84
.LBB17_83:
	s_mov_b32 s4, 0x3f22f983
	v_mul_f32_e64 v9, |v5|, s4
	v_rndne_f32_e32 v10, v9
	s_mov_b32 s4, 0xbfc90fda
	v_cvt_i32_f32_e32 v9, v10
	v_fma_f32 v11, v10, s4, |v5|
	v_fmamk_f32 v11, v10, 0xb3a22168, v11
	v_fmamk_f32 v10, v10, 0xa7c234c4, v11
.LBB17_84:
	s_or_b64 exec, exec, s[0:1]
                                        ; implicit-def: $vgpr11
                                        ; implicit-def: $vgpr12
	s_and_saveexec_b64 s[0:1], s[20:21]
	s_xor_b64 s[20:21], exec, s[0:1]
	s_cbranch_execz .LBB17_86
; %bb.85:
	v_add_u32_e32 v11, 0xffffff88, v13
	v_not_b32_e32 v12, 63
	v_cmp_lt_u32_e32 vcc, 63, v11
	s_mov_b32 s6, 0xfe5163ab
	v_mov_b32_e32 v15, 0
	v_cndmask_b32_e32 v12, 0, v12, vcc
	v_add_u32_e32 v11, v12, v11
	v_not_b32_e32 v12, 31
	v_cmp_lt_u32_e64 s[0:1], 31, v11
	s_nop 1
	v_cndmask_b32_e64 v13, 0, v12, s[0:1]
	v_add_u32_e32 v11, v13, v11
	v_cmp_lt_u32_e64 s[4:5], 31, v11
	s_nop 1
	v_cndmask_b32_e64 v12, 0, v12, s[4:5]
	v_add_u32_e32 v11, v12, v11
	v_and_b32_e32 v12, 0x7fffff, v7
	v_or_b32_e32 v26, 0x800000, v12
	v_mad_u64_u32 v[12:13], s[6:7], v26, s6, 0
	v_mov_b32_e32 v14, v13
	s_mov_b32 s6, 0x3c439041
	v_mad_u64_u32 v[16:17], s[6:7], v26, s6, v[14:15]
	v_mov_b32_e32 v14, v17
	s_mov_b32 s6, 0xdb629599
	;; [unrolled: 3-line block ×6, first 2 shown]
	v_mad_u64_u32 v[14:15], s[6:7], v26, s6, v[14:15]
	v_cndmask_b32_e32 v13, v24, v20, vcc
	v_cndmask_b32_e32 v14, v14, v22, vcc
	v_cndmask_b32_e32 v15, v15, v24, vcc
	v_cndmask_b32_e64 v17, v14, v13, s[0:1]
	v_cndmask_b32_e64 v14, v15, v14, s[0:1]
	v_cndmask_b32_e32 v15, v22, v18, vcc
	v_cndmask_b32_e64 v13, v13, v15, s[0:1]
	v_cndmask_b32_e64 v14, v14, v17, s[4:5]
	;; [unrolled: 1-line block ×3, first 2 shown]
	v_sub_u32_e32 v19, 32, v11
	v_alignbit_b32 v21, v14, v17, v19
	v_cmp_eq_u32_e64 s[6:7], 0, v11
	v_cndmask_b32_e32 v12, v18, v12, vcc
	s_nop 0
	v_cndmask_b32_e64 v11, v21, v14, s[6:7]
	v_cndmask_b32_e32 v14, v20, v16, vcc
	v_cndmask_b32_e64 v15, v15, v14, s[0:1]
	v_cndmask_b32_e64 v13, v13, v15, s[4:5]
	v_alignbit_b32 v16, v17, v13, v19
	v_cndmask_b32_e64 v16, v16, v17, s[6:7]
	v_bfe_u32 v21, v11, 29, 1
	v_cndmask_b32_e64 v12, v14, v12, s[0:1]
	v_alignbit_b32 v17, v11, v16, 30
	v_sub_u32_e32 v22, 0, v21
	v_cndmask_b32_e64 v12, v15, v12, s[4:5]
	v_xor_b32_e32 v17, v17, v22
	v_alignbit_b32 v14, v13, v12, v19
	v_cndmask_b32_e64 v13, v14, v13, s[6:7]
	v_ffbh_u32_e32 v15, v17
	v_alignbit_b32 v14, v16, v13, 30
	v_min_u32_e32 v15, 32, v15
	v_alignbit_b32 v12, v13, v12, 30
	v_xor_b32_e32 v14, v14, v22
	v_sub_u32_e32 v16, 31, v15
	v_xor_b32_e32 v12, v12, v22
	v_alignbit_b32 v17, v17, v14, v16
	v_alignbit_b32 v12, v14, v12, v16
	;; [unrolled: 1-line block ×3, first 2 shown]
	v_ffbh_u32_e32 v14, v13
	v_min_u32_e32 v14, 32, v14
	v_lshrrev_b32_e32 v20, 29, v11
	v_not_b32_e32 v16, v14
	v_alignbit_b32 v12, v13, v12, v16
	v_lshlrev_b32_e32 v13, 31, v20
	v_or_b32_e32 v16, 0x33000000, v13
	v_add_lshl_u32 v14, v14, v15, 23
	v_lshrrev_b32_e32 v12, 9, v12
	v_sub_u32_e32 v14, v16, v14
	v_or_b32_e32 v13, 0.5, v13
	v_lshlrev_b32_e32 v15, 23, v15
	v_or_b32_e32 v12, v14, v12
	v_lshrrev_b32_e32 v14, 9, v17
	v_sub_u32_e32 v13, v13, v15
	v_or_b32_e32 v13, v14, v13
	s_mov_b32 s0, 0x3fc90fda
	v_mul_f32_e32 v14, 0x3fc90fda, v13
	v_fma_f32 v15, v13, s0, -v14
	v_fmamk_f32 v13, v13, 0x33a22168, v15
	v_fmac_f32_e32 v13, 0x3fc90fda, v12
	v_lshrrev_b32_e32 v11, 30, v11
	v_add_f32_e32 v12, v14, v13
	v_add_u32_e32 v11, v21, v11
	s_andn2_saveexec_b64 s[0:1], s[20:21]
	s_cbranch_execnz .LBB17_87
	s_branch .LBB17_88
.LBB17_86:
	s_andn2_saveexec_b64 s[0:1], s[20:21]
	s_cbranch_execz .LBB17_88
.LBB17_87:
	s_mov_b32 s4, 0x3f22f983
	v_mul_f32_e64 v11, |v5|, s4
	v_rndne_f32_e32 v12, v11
	s_mov_b32 s4, 0xbfc90fda
	v_cvt_i32_f32_e32 v11, v12
	v_fma_f32 v13, v12, s4, |v5|
	v_fmamk_f32 v13, v12, 0xb3a22168, v13
	v_fmamk_f32 v12, v12, 0xa7c234c4, v13
.LBB17_88:
	s_or_b64 exec, exec, s[0:1]
	v_div_scale_f32 v13, s[0:1], v8, v8, 1.0
	v_rcp_f32_e32 v14, v13
	v_div_scale_f32 v15, vcc, 1.0, v8, 1.0
	v_xor_b32_e32 v7, v7, v5
	v_fma_f32 v16, -v13, v14, 1.0
	v_fmac_f32_e32 v14, v16, v14
	v_mul_f32_e32 v16, v15, v14
	v_fma_f32 v17, -v13, v16, v15
	v_fmac_f32_e32 v16, v17, v14
	v_fma_f32 v13, -v13, v16, v15
	v_div_fmas_f32 v13, v13, v14, v16
	v_div_fixup_f32 v8, v13, v8, 1.0
	v_mul_f32_e32 v13, v8, v8
	v_mov_b32_e32 v14, 0xbe06db67
	v_mul_f32_e32 v16, v10, v10
	v_mov_b32_e32 v17, 0x3c0881c4
	v_fmac_f32_e32 v14, 0, v13
	v_mov_b32_e32 v15, 0x4155b259
	v_fmamk_f32 v18, v16, 0xb94c1982, v17
	v_fmaak_f32 v14, v13, v14, 0xbf205f75
	v_fmac_f32_e32 v15, 0, v13
	v_fmaak_f32 v18, v16, v18, 0xbe2aaa9d
	v_fmaak_f32 v14, v13, v14, 0xbf3172ce
	;; [unrolled: 1-line block ×3, first 2 shown]
	v_mul_f32_e32 v18, v16, v18
	v_fmaak_f32 v14, v13, v14, 0xbe8f3f52
	v_fmaak_f32 v15, v13, v15, 0x41d5e4c5
	v_fmac_f32_e32 v10, v10, v18
	v_mov_b32_e32 v18, 0xbab64f3b
	v_fmaak_f32 v14, v13, v14, 0xbd497b78
	v_fmaak_f32 v15, v13, v15, 0x4112fe41
	v_fmamk_f32 v20, v16, 0x37d75334, v18
	v_fmaak_f32 v14, v13, v14, 0xbb85200e
	v_fmaak_f32 v15, v13, v15, 0x3fbcd65a
	;; [unrolled: 1-line block ×8, first 2 shown]
	v_fma_f32 v16, v16, v20, 1.0
	v_and_b32_e32 v20, 1, v9
	v_lshlrev_b32_e32 v9, 30, v9
	v_fmaak_f32 v15, v13, v15, 0x389e46bd
	v_fmaak_f32 v14, v13, v14, 0xb29020e8
	v_cmp_eq_u32_e32 vcc, 0, v20
	v_and_b32_e32 v9, 0x80000000, v9
	v_fmaak_f32 v15, v13, v15, 0x34f295ce
	v_cndmask_b32_e32 v10, v16, v10, vcc
	v_xor_b32_e32 v7, v7, v9
	v_mul_f32_e32 v9, v13, v14
	v_xor_b32_e32 v7, v7, v10
	v_div_scale_f32 v10, s[0:1], v15, v15, v9
	v_rcp_f32_e32 v14, v10
	s_movk_i32 s4, 0x1f8
	v_mov_b32_e32 v16, 0x7fc00000
	v_cmp_class_f32_e64 s[0:1], v5, s4
	s_mov_b32 s4, 0xf800000
	s_mov_b32 s7, 0x3f106ebb
	v_cndmask_b32_e64 v5, v16, v7, s[0:1]
	v_fma_f32 v7, -v10, v14, 1.0
	v_fmac_f32_e32 v14, v7, v14
	v_div_scale_f32 v7, vcc, v9, v15, v9
	v_mul_f32_e32 v20, v7, v14
	v_fma_f32 v23, -v10, v20, v7
	v_fmac_f32_e32 v20, v23, v14
	v_fma_f32 v7, -v10, v20, v7
	v_div_fmas_f32 v7, v7, v14, v20
	v_mul_f32_e32 v14, 0x4f800000, v4
	v_cmp_gt_f32_e32 vcc, s4, v4
	v_div_fixup_f32 v7, v7, v15, v9
	v_mov_b32_e32 v9, 0x3ca1a92f
	v_cndmask_b32_e32 v4, v4, v14, vcc
	v_sqrt_f32_e32 v14, v4
	v_fmac_f32_e32 v9, 0, v13
	v_mov_b32_e32 v10, 0x4114f160
	v_fmaak_f32 v9, v13, v9, 0x3ec83ea8
	v_add_u32_e32 v15, -1, v14
	v_fma_f32 v20, -v15, v14, v4
	v_cmp_ge_f32_e64 s[4:5], 0, v20
	v_add_u32_e32 v20, 1, v14
	v_fmac_f32_e32 v10, 0, v13
	v_cndmask_b32_e64 v15, v14, v15, s[4:5]
	v_fma_f32 v14, -v20, v14, v4
	v_cmp_lt_f32_e64 s[4:5], 0, v14
	v_fmaak_f32 v9, v13, v9, 0x3f886c1a
	v_fmaak_f32 v10, v13, v10, 0x419eaeae
	v_cndmask_b32_e64 v14, v15, v20, s[4:5]
	v_mul_f32_e32 v15, 0x37800000, v14
	v_cndmask_b32_e32 v14, v14, v15, vcc
	v_mov_b32_e32 v15, 0x260
	v_fmaak_f32 v9, v13, v9, 0x3f706d65
	v_fmaak_f32 v10, v13, v10, 0x417908dc
	v_cmp_class_f32_e32 vcc, v4, v15
	v_fmaak_f32 v9, v13, v9, 0x3eb3f34e
	v_fmaak_f32 v10, v13, v10, 0x40af4271
	v_cndmask_b32_e32 v4, v14, v4, vcc
	v_fmaak_f32 v9, v13, v9, 0x3d81d209
	v_fmaak_f32 v10, v13, v10, 0x3f744c96
	v_div_scale_f32 v14, s[4:5], v4, v4, s7
	v_fmaak_f32 v9, v13, v9, 0x3bbff4d0
	v_fmaak_f32 v10, v13, v10, 0x3db110ef
	v_rcp_f32_e32 v15, v14
	v_fmaak_f32 v9, v13, v9, 0x39944bb3
	v_fmaak_f32 v10, v13, v10, 0x3b873823
	;; [unrolled: 1-line block ×8, first 2 shown]
	v_fma_f32 v13, -v14, v15, 1.0
	v_fmac_f32_e32 v15, v13, v15
	v_div_scale_f32 v13, vcc, s7, v4, s7
	v_mul_f32_e32 v20, v13, v15
	v_fma_f32 v23, -v14, v20, v13
	v_fmac_f32_e32 v20, v23, v15
	v_fma_f32 v13, -v14, v20, v13
	v_div_fmas_f32 v13, v13, v15, v20
	v_div_fixup_f32 v4, v13, v4, s7
	v_mul_f32_e32 v13, v12, v12
	v_mov_b32_e32 v19, 0xbe2aaa9d
	v_fmac_f32_e32 v17, 0xb94c1982, v13
	v_mov_b32_e32 v21, 0x3d2aabf7
	v_fmac_f32_e32 v19, v13, v17
	v_fmac_f32_e32 v18, 0x37d75334, v13
	v_mov_b32_e32 v22, 0xbf000004
	v_mul_f32_e32 v14, v13, v19
	v_fmac_f32_e32 v21, v13, v18
	v_fmac_f32_e32 v12, v12, v14
	v_fmac_f32_e32 v22, v13, v21
	v_and_b32_e32 v14, 1, v11
	v_mul_f32_e32 v8, v8, v9
	v_fma_f32 v13, v13, v22, 1.0
	v_cmp_eq_u32_e32 vcc, 0, v14
	v_div_scale_f32 v9, s[4:5], v10, v10, v8
	s_nop 0
	v_cndmask_b32_e64 v12, -v12, v13, vcc
	v_rcp_f32_e32 v13, v9
	s_brev_b32 s6, 1
	v_lshlrev_b32_e32 v11, 30, v11
	v_bitop3_b32 v11, v11, v12, s6 bitop3:0x6c
	v_fma_f32 v12, -v9, v13, 1.0
	v_fmac_f32_e32 v13, v12, v13
	v_div_scale_f32 v12, vcc, v8, v10, v8
	v_mul_f32_e32 v14, v12, v13
	v_fma_f32 v15, -v9, v14, v12
	v_fmac_f32_e32 v14, v15, v13
	v_fma_f32 v9, -v9, v14, v12
	v_div_fmas_f32 v9, v9, v13, v14
	v_cndmask_b32_e64 v11, v16, v11, s[0:1]
	v_div_fixup_f32 v8, v9, v10, v8
	v_add_f32_e32 v7, 1.0, v7
	v_mul_f32_e32 v8, v8, v11
	v_fma_f32 v5, v7, v5, -v8
	v_mul_f32_e32 v7, v4, v5
.LBB17_89:
	s_or_b64 exec, exec, s[18:19]
.LBB17_90:
	s_or_b64 exec, exec, s[16:17]
.LBB17_91:
	s_or_b64 exec, exec, s[14:15]
	s_add_u32 s0, s8, s12
	s_addc_u32 s1, s9, s13
	global_store_dwordx2 v1, v[2:3], s[0:1]
	global_store_dwordx2 v1, v[6:7], s[0:1] offset:2048
.LBB17_92:
	s_endpgm
	.section	.rodata,"a",@progbits
	.p2align	6, 0x0
	.amdhsa_kernel _ZN2at6native29vectorized_elementwise_kernelILi2EZZZNS0_12_GLOBAL__N_119airy_ai_kernel_cudaERNS_18TensorIteratorBaseEENKUlvE_clEvENKUlvE0_clEvEUlfE_St5arrayIPcLm2EEEEviT0_T1_
		.amdhsa_group_segment_fixed_size 0
		.amdhsa_private_segment_fixed_size 0
		.amdhsa_kernarg_size 24
		.amdhsa_user_sgpr_count 2
		.amdhsa_user_sgpr_dispatch_ptr 0
		.amdhsa_user_sgpr_queue_ptr 0
		.amdhsa_user_sgpr_kernarg_segment_ptr 1
		.amdhsa_user_sgpr_dispatch_id 0
		.amdhsa_user_sgpr_kernarg_preload_length 0
		.amdhsa_user_sgpr_kernarg_preload_offset 0
		.amdhsa_user_sgpr_private_segment_size 0
		.amdhsa_uses_dynamic_stack 0
		.amdhsa_enable_private_segment 0
		.amdhsa_system_sgpr_workgroup_id_x 1
		.amdhsa_system_sgpr_workgroup_id_y 0
		.amdhsa_system_sgpr_workgroup_id_z 0
		.amdhsa_system_sgpr_workgroup_info 0
		.amdhsa_system_vgpr_workitem_id 0
		.amdhsa_next_free_vgpr 33
		.amdhsa_next_free_sgpr 33
		.amdhsa_accum_offset 36
		.amdhsa_reserve_vcc 1
		.amdhsa_float_round_mode_32 0
		.amdhsa_float_round_mode_16_64 0
		.amdhsa_float_denorm_mode_32 3
		.amdhsa_float_denorm_mode_16_64 3
		.amdhsa_dx10_clamp 1
		.amdhsa_ieee_mode 1
		.amdhsa_fp16_overflow 0
		.amdhsa_tg_split 0
		.amdhsa_exception_fp_ieee_invalid_op 0
		.amdhsa_exception_fp_denorm_src 0
		.amdhsa_exception_fp_ieee_div_zero 0
		.amdhsa_exception_fp_ieee_overflow 0
		.amdhsa_exception_fp_ieee_underflow 0
		.amdhsa_exception_fp_ieee_inexact 0
		.amdhsa_exception_int_div_zero 0
	.end_amdhsa_kernel
	.section	.text._ZN2at6native29vectorized_elementwise_kernelILi2EZZZNS0_12_GLOBAL__N_119airy_ai_kernel_cudaERNS_18TensorIteratorBaseEENKUlvE_clEvENKUlvE0_clEvEUlfE_St5arrayIPcLm2EEEEviT0_T1_,"axG",@progbits,_ZN2at6native29vectorized_elementwise_kernelILi2EZZZNS0_12_GLOBAL__N_119airy_ai_kernel_cudaERNS_18TensorIteratorBaseEENKUlvE_clEvENKUlvE0_clEvEUlfE_St5arrayIPcLm2EEEEviT0_T1_,comdat
.Lfunc_end17:
	.size	_ZN2at6native29vectorized_elementwise_kernelILi2EZZZNS0_12_GLOBAL__N_119airy_ai_kernel_cudaERNS_18TensorIteratorBaseEENKUlvE_clEvENKUlvE0_clEvEUlfE_St5arrayIPcLm2EEEEviT0_T1_, .Lfunc_end17-_ZN2at6native29vectorized_elementwise_kernelILi2EZZZNS0_12_GLOBAL__N_119airy_ai_kernel_cudaERNS_18TensorIteratorBaseEENKUlvE_clEvENKUlvE0_clEvEUlfE_St5arrayIPcLm2EEEEviT0_T1_
                                        ; -- End function
	.set _ZN2at6native29vectorized_elementwise_kernelILi2EZZZNS0_12_GLOBAL__N_119airy_ai_kernel_cudaERNS_18TensorIteratorBaseEENKUlvE_clEvENKUlvE0_clEvEUlfE_St5arrayIPcLm2EEEEviT0_T1_.num_vgpr, max(32, .L_ZN2at6native25elementwise_kernel_helperILb0EZZZNS0_12_GLOBAL__N_119airy_ai_kernel_cudaERNS_18TensorIteratorBaseEENKUlvE_clEvENKUlvE0_clEvEUlfE_NS0_6memory8policies11unroll_baseILi256ESt5arrayIPcLm2EE23TrivialOffsetCalculatorILi1EjESF_NS8_15LoadWithoutCastENS8_16StoreWithoutCastELi4ELi1EEEEEvT0_T1_.num_vgpr)
	.set _ZN2at6native29vectorized_elementwise_kernelILi2EZZZNS0_12_GLOBAL__N_119airy_ai_kernel_cudaERNS_18TensorIteratorBaseEENKUlvE_clEvENKUlvE0_clEvEUlfE_St5arrayIPcLm2EEEEviT0_T1_.num_agpr, max(0, .L_ZN2at6native25elementwise_kernel_helperILb0EZZZNS0_12_GLOBAL__N_119airy_ai_kernel_cudaERNS_18TensorIteratorBaseEENKUlvE_clEvENKUlvE0_clEvEUlfE_NS0_6memory8policies11unroll_baseILi256ESt5arrayIPcLm2EE23TrivialOffsetCalculatorILi1EjESF_NS8_15LoadWithoutCastENS8_16StoreWithoutCastELi4ELi1EEEEEvT0_T1_.num_agpr)
	.set _ZN2at6native29vectorized_elementwise_kernelILi2EZZZNS0_12_GLOBAL__N_119airy_ai_kernel_cudaERNS_18TensorIteratorBaseEENKUlvE_clEvENKUlvE0_clEvEUlfE_St5arrayIPcLm2EEEEviT0_T1_.numbered_sgpr, max(33, .L_ZN2at6native25elementwise_kernel_helperILb0EZZZNS0_12_GLOBAL__N_119airy_ai_kernel_cudaERNS_18TensorIteratorBaseEENKUlvE_clEvENKUlvE0_clEvEUlfE_NS0_6memory8policies11unroll_baseILi256ESt5arrayIPcLm2EE23TrivialOffsetCalculatorILi1EjESF_NS8_15LoadWithoutCastENS8_16StoreWithoutCastELi4ELi1EEEEEvT0_T1_.numbered_sgpr)
	.set _ZN2at6native29vectorized_elementwise_kernelILi2EZZZNS0_12_GLOBAL__N_119airy_ai_kernel_cudaERNS_18TensorIteratorBaseEENKUlvE_clEvENKUlvE0_clEvEUlfE_St5arrayIPcLm2EEEEviT0_T1_.num_named_barrier, max(0, .L_ZN2at6native25elementwise_kernel_helperILb0EZZZNS0_12_GLOBAL__N_119airy_ai_kernel_cudaERNS_18TensorIteratorBaseEENKUlvE_clEvENKUlvE0_clEvEUlfE_NS0_6memory8policies11unroll_baseILi256ESt5arrayIPcLm2EE23TrivialOffsetCalculatorILi1EjESF_NS8_15LoadWithoutCastENS8_16StoreWithoutCastELi4ELi1EEEEEvT0_T1_.num_named_barrier)
	.set _ZN2at6native29vectorized_elementwise_kernelILi2EZZZNS0_12_GLOBAL__N_119airy_ai_kernel_cudaERNS_18TensorIteratorBaseEENKUlvE_clEvENKUlvE0_clEvEUlfE_St5arrayIPcLm2EEEEviT0_T1_.private_seg_size, 0+max(.L_ZN2at6native25elementwise_kernel_helperILb0EZZZNS0_12_GLOBAL__N_119airy_ai_kernel_cudaERNS_18TensorIteratorBaseEENKUlvE_clEvENKUlvE0_clEvEUlfE_NS0_6memory8policies11unroll_baseILi256ESt5arrayIPcLm2EE23TrivialOffsetCalculatorILi1EjESF_NS8_15LoadWithoutCastENS8_16StoreWithoutCastELi4ELi1EEEEEvT0_T1_.private_seg_size)
	.set _ZN2at6native29vectorized_elementwise_kernelILi2EZZZNS0_12_GLOBAL__N_119airy_ai_kernel_cudaERNS_18TensorIteratorBaseEENKUlvE_clEvENKUlvE0_clEvEUlfE_St5arrayIPcLm2EEEEviT0_T1_.uses_vcc, or(1, .L_ZN2at6native25elementwise_kernel_helperILb0EZZZNS0_12_GLOBAL__N_119airy_ai_kernel_cudaERNS_18TensorIteratorBaseEENKUlvE_clEvENKUlvE0_clEvEUlfE_NS0_6memory8policies11unroll_baseILi256ESt5arrayIPcLm2EE23TrivialOffsetCalculatorILi1EjESF_NS8_15LoadWithoutCastENS8_16StoreWithoutCastELi4ELi1EEEEEvT0_T1_.uses_vcc)
	.set _ZN2at6native29vectorized_elementwise_kernelILi2EZZZNS0_12_GLOBAL__N_119airy_ai_kernel_cudaERNS_18TensorIteratorBaseEENKUlvE_clEvENKUlvE0_clEvEUlfE_St5arrayIPcLm2EEEEviT0_T1_.uses_flat_scratch, or(0, .L_ZN2at6native25elementwise_kernel_helperILb0EZZZNS0_12_GLOBAL__N_119airy_ai_kernel_cudaERNS_18TensorIteratorBaseEENKUlvE_clEvENKUlvE0_clEvEUlfE_NS0_6memory8policies11unroll_baseILi256ESt5arrayIPcLm2EE23TrivialOffsetCalculatorILi1EjESF_NS8_15LoadWithoutCastENS8_16StoreWithoutCastELi4ELi1EEEEEvT0_T1_.uses_flat_scratch)
	.set _ZN2at6native29vectorized_elementwise_kernelILi2EZZZNS0_12_GLOBAL__N_119airy_ai_kernel_cudaERNS_18TensorIteratorBaseEENKUlvE_clEvENKUlvE0_clEvEUlfE_St5arrayIPcLm2EEEEviT0_T1_.has_dyn_sized_stack, or(0, .L_ZN2at6native25elementwise_kernel_helperILb0EZZZNS0_12_GLOBAL__N_119airy_ai_kernel_cudaERNS_18TensorIteratorBaseEENKUlvE_clEvENKUlvE0_clEvEUlfE_NS0_6memory8policies11unroll_baseILi256ESt5arrayIPcLm2EE23TrivialOffsetCalculatorILi1EjESF_NS8_15LoadWithoutCastENS8_16StoreWithoutCastELi4ELi1EEEEEvT0_T1_.has_dyn_sized_stack)
	.set _ZN2at6native29vectorized_elementwise_kernelILi2EZZZNS0_12_GLOBAL__N_119airy_ai_kernel_cudaERNS_18TensorIteratorBaseEENKUlvE_clEvENKUlvE0_clEvEUlfE_St5arrayIPcLm2EEEEviT0_T1_.has_recursion, or(0, .L_ZN2at6native25elementwise_kernel_helperILb0EZZZNS0_12_GLOBAL__N_119airy_ai_kernel_cudaERNS_18TensorIteratorBaseEENKUlvE_clEvENKUlvE0_clEvEUlfE_NS0_6memory8policies11unroll_baseILi256ESt5arrayIPcLm2EE23TrivialOffsetCalculatorILi1EjESF_NS8_15LoadWithoutCastENS8_16StoreWithoutCastELi4ELi1EEEEEvT0_T1_.has_recursion)
	.set _ZN2at6native29vectorized_elementwise_kernelILi2EZZZNS0_12_GLOBAL__N_119airy_ai_kernel_cudaERNS_18TensorIteratorBaseEENKUlvE_clEvENKUlvE0_clEvEUlfE_St5arrayIPcLm2EEEEviT0_T1_.has_indirect_call, or(0, .L_ZN2at6native25elementwise_kernel_helperILb0EZZZNS0_12_GLOBAL__N_119airy_ai_kernel_cudaERNS_18TensorIteratorBaseEENKUlvE_clEvENKUlvE0_clEvEUlfE_NS0_6memory8policies11unroll_baseILi256ESt5arrayIPcLm2EE23TrivialOffsetCalculatorILi1EjESF_NS8_15LoadWithoutCastENS8_16StoreWithoutCastELi4ELi1EEEEEvT0_T1_.has_indirect_call)
	.section	.AMDGPU.csdata,"",@progbits
; Kernel info:
; codeLenInByte = 16912
; TotalNumSgprs: 39
; NumVgprs: 33
; NumAgprs: 0
; TotalNumVgprs: 33
; ScratchSize: 0
; MemoryBound: 0
; FloatMode: 240
; IeeeMode: 1
; LDSByteSize: 0 bytes/workgroup (compile time only)
; SGPRBlocks: 4
; VGPRBlocks: 4
; NumSGPRsForWavesPerEU: 39
; NumVGPRsForWavesPerEU: 33
; AccumOffset: 36
; Occupancy: 8
; WaveLimiterHint : 1
; COMPUTE_PGM_RSRC2:SCRATCH_EN: 0
; COMPUTE_PGM_RSRC2:USER_SGPR: 2
; COMPUTE_PGM_RSRC2:TRAP_HANDLER: 0
; COMPUTE_PGM_RSRC2:TGID_X_EN: 1
; COMPUTE_PGM_RSRC2:TGID_Y_EN: 0
; COMPUTE_PGM_RSRC2:TGID_Z_EN: 0
; COMPUTE_PGM_RSRC2:TIDIG_COMP_CNT: 0
; COMPUTE_PGM_RSRC3_GFX90A:ACCUM_OFFSET: 8
; COMPUTE_PGM_RSRC3_GFX90A:TG_SPLIT: 0
	.section	.text._ZN2at6native27unrolled_elementwise_kernelIZZZNS0_12_GLOBAL__N_119airy_ai_kernel_cudaERNS_18TensorIteratorBaseEENKUlvE_clEvENKUlvE0_clEvEUlfE_St5arrayIPcLm2EELi4E23TrivialOffsetCalculatorILi1EjESC_NS0_6memory15LoadWithoutCastENSD_16StoreWithoutCastEEEviT_T0_T2_T3_T4_T5_,"axG",@progbits,_ZN2at6native27unrolled_elementwise_kernelIZZZNS0_12_GLOBAL__N_119airy_ai_kernel_cudaERNS_18TensorIteratorBaseEENKUlvE_clEvENKUlvE0_clEvEUlfE_St5arrayIPcLm2EELi4E23TrivialOffsetCalculatorILi1EjESC_NS0_6memory15LoadWithoutCastENSD_16StoreWithoutCastEEEviT_T0_T2_T3_T4_T5_,comdat
	.globl	_ZN2at6native27unrolled_elementwise_kernelIZZZNS0_12_GLOBAL__N_119airy_ai_kernel_cudaERNS_18TensorIteratorBaseEENKUlvE_clEvENKUlvE0_clEvEUlfE_St5arrayIPcLm2EELi4E23TrivialOffsetCalculatorILi1EjESC_NS0_6memory15LoadWithoutCastENSD_16StoreWithoutCastEEEviT_T0_T2_T3_T4_T5_ ; -- Begin function _ZN2at6native27unrolled_elementwise_kernelIZZZNS0_12_GLOBAL__N_119airy_ai_kernel_cudaERNS_18TensorIteratorBaseEENKUlvE_clEvENKUlvE0_clEvEUlfE_St5arrayIPcLm2EELi4E23TrivialOffsetCalculatorILi1EjESC_NS0_6memory15LoadWithoutCastENSD_16StoreWithoutCastEEEviT_T0_T2_T3_T4_T5_
	.p2align	8
	.type	_ZN2at6native27unrolled_elementwise_kernelIZZZNS0_12_GLOBAL__N_119airy_ai_kernel_cudaERNS_18TensorIteratorBaseEENKUlvE_clEvENKUlvE0_clEvEUlfE_St5arrayIPcLm2EELi4E23TrivialOffsetCalculatorILi1EjESC_NS0_6memory15LoadWithoutCastENSD_16StoreWithoutCastEEEviT_T0_T2_T3_T4_T5_,@function
_ZN2at6native27unrolled_elementwise_kernelIZZZNS0_12_GLOBAL__N_119airy_ai_kernel_cudaERNS_18TensorIteratorBaseEENKUlvE_clEvENKUlvE0_clEvEUlfE_St5arrayIPcLm2EELi4E23TrivialOffsetCalculatorILi1EjESC_NS0_6memory15LoadWithoutCastENSD_16StoreWithoutCastEEEviT_T0_T2_T3_T4_T5_: ; @_ZN2at6native27unrolled_elementwise_kernelIZZZNS0_12_GLOBAL__N_119airy_ai_kernel_cudaERNS_18TensorIteratorBaseEENKUlvE_clEvENKUlvE0_clEvEUlfE_St5arrayIPcLm2EELi4E23TrivialOffsetCalculatorILi1EjESC_NS0_6memory15LoadWithoutCastENSD_16StoreWithoutCastEEEviT_T0_T2_T3_T4_T5_
; %bb.0:
	s_load_dword s3, s[0:1], 0x0
	s_load_dwordx4 s[4:7], s[0:1], 0x8
	s_lshl_b32 s0, s2, 10
	s_mov_b32 s12, s2
	v_mov_b32_e32 v31, v0
	s_waitcnt lgkmcnt(0)
	s_sub_i32 s3, s3, s0
	s_getpc_b64 s[0:1]
	s_add_u32 s0, s0, _ZN2at6native25elementwise_kernel_helperILb0EZZZNS0_12_GLOBAL__N_119airy_ai_kernel_cudaERNS_18TensorIteratorBaseEENKUlvE_clEvENKUlvE0_clEvEUlfE_NS0_6memory8policies11unroll_baseILi256ESt5arrayIPcLm2EE23TrivialOffsetCalculatorILi1EjESF_NS8_15LoadWithoutCastENS8_16StoreWithoutCastELi4ELi1EEEEEvT0_T1_@rel32@lo+4
	s_addc_u32 s1, s1, _ZN2at6native25elementwise_kernel_helperILb0EZZZNS0_12_GLOBAL__N_119airy_ai_kernel_cudaERNS_18TensorIteratorBaseEENKUlvE_clEvENKUlvE0_clEvEUlfE_NS0_6memory8policies11unroll_baseILi256ESt5arrayIPcLm2EE23TrivialOffsetCalculatorILi1EjESF_NS8_15LoadWithoutCastENS8_16StoreWithoutCastELi4ELi1EEEEEvT0_T1_@rel32@hi+12
	v_mov_b32_e32 v0, s4
	v_mov_b32_e32 v1, s5
	;; [unrolled: 1-line block ×5, first 2 shown]
	s_mov_b32 s32, 0
	s_swappc_b64 s[30:31], s[0:1]
	s_endpgm
	.section	.rodata,"a",@progbits
	.p2align	6, 0x0
	.amdhsa_kernel _ZN2at6native27unrolled_elementwise_kernelIZZZNS0_12_GLOBAL__N_119airy_ai_kernel_cudaERNS_18TensorIteratorBaseEENKUlvE_clEvENKUlvE0_clEvEUlfE_St5arrayIPcLm2EELi4E23TrivialOffsetCalculatorILi1EjESC_NS0_6memory15LoadWithoutCastENSD_16StoreWithoutCastEEEviT_T0_T2_T3_T4_T5_
		.amdhsa_group_segment_fixed_size 0
		.amdhsa_private_segment_fixed_size 0
		.amdhsa_kernarg_size 28
		.amdhsa_user_sgpr_count 2
		.amdhsa_user_sgpr_dispatch_ptr 0
		.amdhsa_user_sgpr_queue_ptr 0
		.amdhsa_user_sgpr_kernarg_segment_ptr 1
		.amdhsa_user_sgpr_dispatch_id 0
		.amdhsa_user_sgpr_kernarg_preload_length 0
		.amdhsa_user_sgpr_kernarg_preload_offset 0
		.amdhsa_user_sgpr_private_segment_size 0
		.amdhsa_uses_dynamic_stack 0
		.amdhsa_enable_private_segment 0
		.amdhsa_system_sgpr_workgroup_id_x 1
		.amdhsa_system_sgpr_workgroup_id_y 0
		.amdhsa_system_sgpr_workgroup_id_z 0
		.amdhsa_system_sgpr_workgroup_info 0
		.amdhsa_system_vgpr_workitem_id 0
		.amdhsa_next_free_vgpr 33
		.amdhsa_next_free_sgpr 33
		.amdhsa_accum_offset 36
		.amdhsa_reserve_vcc 1
		.amdhsa_float_round_mode_32 0
		.amdhsa_float_round_mode_16_64 0
		.amdhsa_float_denorm_mode_32 3
		.amdhsa_float_denorm_mode_16_64 3
		.amdhsa_dx10_clamp 1
		.amdhsa_ieee_mode 1
		.amdhsa_fp16_overflow 0
		.amdhsa_tg_split 0
		.amdhsa_exception_fp_ieee_invalid_op 0
		.amdhsa_exception_fp_denorm_src 0
		.amdhsa_exception_fp_ieee_div_zero 0
		.amdhsa_exception_fp_ieee_overflow 0
		.amdhsa_exception_fp_ieee_underflow 0
		.amdhsa_exception_fp_ieee_inexact 0
		.amdhsa_exception_int_div_zero 0
	.end_amdhsa_kernel
	.section	.text._ZN2at6native27unrolled_elementwise_kernelIZZZNS0_12_GLOBAL__N_119airy_ai_kernel_cudaERNS_18TensorIteratorBaseEENKUlvE_clEvENKUlvE0_clEvEUlfE_St5arrayIPcLm2EELi4E23TrivialOffsetCalculatorILi1EjESC_NS0_6memory15LoadWithoutCastENSD_16StoreWithoutCastEEEviT_T0_T2_T3_T4_T5_,"axG",@progbits,_ZN2at6native27unrolled_elementwise_kernelIZZZNS0_12_GLOBAL__N_119airy_ai_kernel_cudaERNS_18TensorIteratorBaseEENKUlvE_clEvENKUlvE0_clEvEUlfE_St5arrayIPcLm2EELi4E23TrivialOffsetCalculatorILi1EjESC_NS0_6memory15LoadWithoutCastENSD_16StoreWithoutCastEEEviT_T0_T2_T3_T4_T5_,comdat
.Lfunc_end18:
	.size	_ZN2at6native27unrolled_elementwise_kernelIZZZNS0_12_GLOBAL__N_119airy_ai_kernel_cudaERNS_18TensorIteratorBaseEENKUlvE_clEvENKUlvE0_clEvEUlfE_St5arrayIPcLm2EELi4E23TrivialOffsetCalculatorILi1EjESC_NS0_6memory15LoadWithoutCastENSD_16StoreWithoutCastEEEviT_T0_T2_T3_T4_T5_, .Lfunc_end18-_ZN2at6native27unrolled_elementwise_kernelIZZZNS0_12_GLOBAL__N_119airy_ai_kernel_cudaERNS_18TensorIteratorBaseEENKUlvE_clEvENKUlvE0_clEvEUlfE_St5arrayIPcLm2EELi4E23TrivialOffsetCalculatorILi1EjESC_NS0_6memory15LoadWithoutCastENSD_16StoreWithoutCastEEEviT_T0_T2_T3_T4_T5_
                                        ; -- End function
	.set _ZN2at6native27unrolled_elementwise_kernelIZZZNS0_12_GLOBAL__N_119airy_ai_kernel_cudaERNS_18TensorIteratorBaseEENKUlvE_clEvENKUlvE0_clEvEUlfE_St5arrayIPcLm2EELi4E23TrivialOffsetCalculatorILi1EjESC_NS0_6memory15LoadWithoutCastENSD_16StoreWithoutCastEEEviT_T0_T2_T3_T4_T5_.num_vgpr, max(32, .L_ZN2at6native25elementwise_kernel_helperILb0EZZZNS0_12_GLOBAL__N_119airy_ai_kernel_cudaERNS_18TensorIteratorBaseEENKUlvE_clEvENKUlvE0_clEvEUlfE_NS0_6memory8policies11unroll_baseILi256ESt5arrayIPcLm2EE23TrivialOffsetCalculatorILi1EjESF_NS8_15LoadWithoutCastENS8_16StoreWithoutCastELi4ELi1EEEEEvT0_T1_.num_vgpr)
	.set _ZN2at6native27unrolled_elementwise_kernelIZZZNS0_12_GLOBAL__N_119airy_ai_kernel_cudaERNS_18TensorIteratorBaseEENKUlvE_clEvENKUlvE0_clEvEUlfE_St5arrayIPcLm2EELi4E23TrivialOffsetCalculatorILi1EjESC_NS0_6memory15LoadWithoutCastENSD_16StoreWithoutCastEEEviT_T0_T2_T3_T4_T5_.num_agpr, max(0, .L_ZN2at6native25elementwise_kernel_helperILb0EZZZNS0_12_GLOBAL__N_119airy_ai_kernel_cudaERNS_18TensorIteratorBaseEENKUlvE_clEvENKUlvE0_clEvEUlfE_NS0_6memory8policies11unroll_baseILi256ESt5arrayIPcLm2EE23TrivialOffsetCalculatorILi1EjESF_NS8_15LoadWithoutCastENS8_16StoreWithoutCastELi4ELi1EEEEEvT0_T1_.num_agpr)
	.set _ZN2at6native27unrolled_elementwise_kernelIZZZNS0_12_GLOBAL__N_119airy_ai_kernel_cudaERNS_18TensorIteratorBaseEENKUlvE_clEvENKUlvE0_clEvEUlfE_St5arrayIPcLm2EELi4E23TrivialOffsetCalculatorILi1EjESC_NS0_6memory15LoadWithoutCastENSD_16StoreWithoutCastEEEviT_T0_T2_T3_T4_T5_.numbered_sgpr, max(33, .L_ZN2at6native25elementwise_kernel_helperILb0EZZZNS0_12_GLOBAL__N_119airy_ai_kernel_cudaERNS_18TensorIteratorBaseEENKUlvE_clEvENKUlvE0_clEvEUlfE_NS0_6memory8policies11unroll_baseILi256ESt5arrayIPcLm2EE23TrivialOffsetCalculatorILi1EjESF_NS8_15LoadWithoutCastENS8_16StoreWithoutCastELi4ELi1EEEEEvT0_T1_.numbered_sgpr)
	.set _ZN2at6native27unrolled_elementwise_kernelIZZZNS0_12_GLOBAL__N_119airy_ai_kernel_cudaERNS_18TensorIteratorBaseEENKUlvE_clEvENKUlvE0_clEvEUlfE_St5arrayIPcLm2EELi4E23TrivialOffsetCalculatorILi1EjESC_NS0_6memory15LoadWithoutCastENSD_16StoreWithoutCastEEEviT_T0_T2_T3_T4_T5_.num_named_barrier, max(0, .L_ZN2at6native25elementwise_kernel_helperILb0EZZZNS0_12_GLOBAL__N_119airy_ai_kernel_cudaERNS_18TensorIteratorBaseEENKUlvE_clEvENKUlvE0_clEvEUlfE_NS0_6memory8policies11unroll_baseILi256ESt5arrayIPcLm2EE23TrivialOffsetCalculatorILi1EjESF_NS8_15LoadWithoutCastENS8_16StoreWithoutCastELi4ELi1EEEEEvT0_T1_.num_named_barrier)
	.set _ZN2at6native27unrolled_elementwise_kernelIZZZNS0_12_GLOBAL__N_119airy_ai_kernel_cudaERNS_18TensorIteratorBaseEENKUlvE_clEvENKUlvE0_clEvEUlfE_St5arrayIPcLm2EELi4E23TrivialOffsetCalculatorILi1EjESC_NS0_6memory15LoadWithoutCastENSD_16StoreWithoutCastEEEviT_T0_T2_T3_T4_T5_.private_seg_size, 0+max(.L_ZN2at6native25elementwise_kernel_helperILb0EZZZNS0_12_GLOBAL__N_119airy_ai_kernel_cudaERNS_18TensorIteratorBaseEENKUlvE_clEvENKUlvE0_clEvEUlfE_NS0_6memory8policies11unroll_baseILi256ESt5arrayIPcLm2EE23TrivialOffsetCalculatorILi1EjESF_NS8_15LoadWithoutCastENS8_16StoreWithoutCastELi4ELi1EEEEEvT0_T1_.private_seg_size)
	.set _ZN2at6native27unrolled_elementwise_kernelIZZZNS0_12_GLOBAL__N_119airy_ai_kernel_cudaERNS_18TensorIteratorBaseEENKUlvE_clEvENKUlvE0_clEvEUlfE_St5arrayIPcLm2EELi4E23TrivialOffsetCalculatorILi1EjESC_NS0_6memory15LoadWithoutCastENSD_16StoreWithoutCastEEEviT_T0_T2_T3_T4_T5_.uses_vcc, or(1, .L_ZN2at6native25elementwise_kernel_helperILb0EZZZNS0_12_GLOBAL__N_119airy_ai_kernel_cudaERNS_18TensorIteratorBaseEENKUlvE_clEvENKUlvE0_clEvEUlfE_NS0_6memory8policies11unroll_baseILi256ESt5arrayIPcLm2EE23TrivialOffsetCalculatorILi1EjESF_NS8_15LoadWithoutCastENS8_16StoreWithoutCastELi4ELi1EEEEEvT0_T1_.uses_vcc)
	.set _ZN2at6native27unrolled_elementwise_kernelIZZZNS0_12_GLOBAL__N_119airy_ai_kernel_cudaERNS_18TensorIteratorBaseEENKUlvE_clEvENKUlvE0_clEvEUlfE_St5arrayIPcLm2EELi4E23TrivialOffsetCalculatorILi1EjESC_NS0_6memory15LoadWithoutCastENSD_16StoreWithoutCastEEEviT_T0_T2_T3_T4_T5_.uses_flat_scratch, or(0, .L_ZN2at6native25elementwise_kernel_helperILb0EZZZNS0_12_GLOBAL__N_119airy_ai_kernel_cudaERNS_18TensorIteratorBaseEENKUlvE_clEvENKUlvE0_clEvEUlfE_NS0_6memory8policies11unroll_baseILi256ESt5arrayIPcLm2EE23TrivialOffsetCalculatorILi1EjESF_NS8_15LoadWithoutCastENS8_16StoreWithoutCastELi4ELi1EEEEEvT0_T1_.uses_flat_scratch)
	.set _ZN2at6native27unrolled_elementwise_kernelIZZZNS0_12_GLOBAL__N_119airy_ai_kernel_cudaERNS_18TensorIteratorBaseEENKUlvE_clEvENKUlvE0_clEvEUlfE_St5arrayIPcLm2EELi4E23TrivialOffsetCalculatorILi1EjESC_NS0_6memory15LoadWithoutCastENSD_16StoreWithoutCastEEEviT_T0_T2_T3_T4_T5_.has_dyn_sized_stack, or(0, .L_ZN2at6native25elementwise_kernel_helperILb0EZZZNS0_12_GLOBAL__N_119airy_ai_kernel_cudaERNS_18TensorIteratorBaseEENKUlvE_clEvENKUlvE0_clEvEUlfE_NS0_6memory8policies11unroll_baseILi256ESt5arrayIPcLm2EE23TrivialOffsetCalculatorILi1EjESF_NS8_15LoadWithoutCastENS8_16StoreWithoutCastELi4ELi1EEEEEvT0_T1_.has_dyn_sized_stack)
	.set _ZN2at6native27unrolled_elementwise_kernelIZZZNS0_12_GLOBAL__N_119airy_ai_kernel_cudaERNS_18TensorIteratorBaseEENKUlvE_clEvENKUlvE0_clEvEUlfE_St5arrayIPcLm2EELi4E23TrivialOffsetCalculatorILi1EjESC_NS0_6memory15LoadWithoutCastENSD_16StoreWithoutCastEEEviT_T0_T2_T3_T4_T5_.has_recursion, or(0, .L_ZN2at6native25elementwise_kernel_helperILb0EZZZNS0_12_GLOBAL__N_119airy_ai_kernel_cudaERNS_18TensorIteratorBaseEENKUlvE_clEvENKUlvE0_clEvEUlfE_NS0_6memory8policies11unroll_baseILi256ESt5arrayIPcLm2EE23TrivialOffsetCalculatorILi1EjESF_NS8_15LoadWithoutCastENS8_16StoreWithoutCastELi4ELi1EEEEEvT0_T1_.has_recursion)
	.set _ZN2at6native27unrolled_elementwise_kernelIZZZNS0_12_GLOBAL__N_119airy_ai_kernel_cudaERNS_18TensorIteratorBaseEENKUlvE_clEvENKUlvE0_clEvEUlfE_St5arrayIPcLm2EELi4E23TrivialOffsetCalculatorILi1EjESC_NS0_6memory15LoadWithoutCastENSD_16StoreWithoutCastEEEviT_T0_T2_T3_T4_T5_.has_indirect_call, or(0, .L_ZN2at6native25elementwise_kernel_helperILb0EZZZNS0_12_GLOBAL__N_119airy_ai_kernel_cudaERNS_18TensorIteratorBaseEENKUlvE_clEvENKUlvE0_clEvEUlfE_NS0_6memory8policies11unroll_baseILi256ESt5arrayIPcLm2EE23TrivialOffsetCalculatorILi1EjESF_NS8_15LoadWithoutCastENS8_16StoreWithoutCastELi4ELi1EEEEEvT0_T1_.has_indirect_call)
	.section	.AMDGPU.csdata,"",@progbits
; Kernel info:
; codeLenInByte = 88
; TotalNumSgprs: 39
; NumVgprs: 33
; NumAgprs: 0
; TotalNumVgprs: 33
; ScratchSize: 0
; MemoryBound: 0
; FloatMode: 240
; IeeeMode: 1
; LDSByteSize: 0 bytes/workgroup (compile time only)
; SGPRBlocks: 4
; VGPRBlocks: 4
; NumSGPRsForWavesPerEU: 39
; NumVGPRsForWavesPerEU: 33
; AccumOffset: 36
; Occupancy: 8
; WaveLimiterHint : 0
; COMPUTE_PGM_RSRC2:SCRATCH_EN: 0
; COMPUTE_PGM_RSRC2:USER_SGPR: 2
; COMPUTE_PGM_RSRC2:TRAP_HANDLER: 0
; COMPUTE_PGM_RSRC2:TGID_X_EN: 1
; COMPUTE_PGM_RSRC2:TGID_Y_EN: 0
; COMPUTE_PGM_RSRC2:TGID_Z_EN: 0
; COMPUTE_PGM_RSRC2:TIDIG_COMP_CNT: 0
; COMPUTE_PGM_RSRC3_GFX90A:ACCUM_OFFSET: 8
; COMPUTE_PGM_RSRC3_GFX90A:TG_SPLIT: 0
	.section	.text._ZN2at6native32elementwise_kernel_manual_unrollILi128ELi4EZNS0_22gpu_kernel_impl_nocastIZZZNS0_12_GLOBAL__N_119airy_ai_kernel_cudaERNS_18TensorIteratorBaseEENKUlvE_clEvENKUlvE0_clEvEUlfE_EEvS5_RKT_EUlibE_EEviT1_,"axG",@progbits,_ZN2at6native32elementwise_kernel_manual_unrollILi128ELi4EZNS0_22gpu_kernel_impl_nocastIZZZNS0_12_GLOBAL__N_119airy_ai_kernel_cudaERNS_18TensorIteratorBaseEENKUlvE_clEvENKUlvE0_clEvEUlfE_EEvS5_RKT_EUlibE_EEviT1_,comdat
	.globl	_ZN2at6native32elementwise_kernel_manual_unrollILi128ELi4EZNS0_22gpu_kernel_impl_nocastIZZZNS0_12_GLOBAL__N_119airy_ai_kernel_cudaERNS_18TensorIteratorBaseEENKUlvE_clEvENKUlvE0_clEvEUlfE_EEvS5_RKT_EUlibE_EEviT1_ ; -- Begin function _ZN2at6native32elementwise_kernel_manual_unrollILi128ELi4EZNS0_22gpu_kernel_impl_nocastIZZZNS0_12_GLOBAL__N_119airy_ai_kernel_cudaERNS_18TensorIteratorBaseEENKUlvE_clEvENKUlvE0_clEvEUlfE_EEvS5_RKT_EUlibE_EEviT1_
	.p2align	8
	.type	_ZN2at6native32elementwise_kernel_manual_unrollILi128ELi4EZNS0_22gpu_kernel_impl_nocastIZZZNS0_12_GLOBAL__N_119airy_ai_kernel_cudaERNS_18TensorIteratorBaseEENKUlvE_clEvENKUlvE0_clEvEUlfE_EEvS5_RKT_EUlibE_EEviT1_,@function
_ZN2at6native32elementwise_kernel_manual_unrollILi128ELi4EZNS0_22gpu_kernel_impl_nocastIZZZNS0_12_GLOBAL__N_119airy_ai_kernel_cudaERNS_18TensorIteratorBaseEENKUlvE_clEvENKUlvE0_clEvEUlfE_EEvS5_RKT_EUlibE_EEviT1_: ; @_ZN2at6native32elementwise_kernel_manual_unrollILi128ELi4EZNS0_22gpu_kernel_impl_nocastIZZZNS0_12_GLOBAL__N_119airy_ai_kernel_cudaERNS_18TensorIteratorBaseEENKUlvE_clEvENKUlvE0_clEvEUlfE_EEvS5_RKT_EUlibE_EEviT1_
; %bb.0:
	s_load_dword s55, s[0:1], 0x0
	s_load_dword s33, s[0:1], 0x8
	s_add_u32 s34, s0, 8
	s_addc_u32 s35, s1, 0
	v_lshl_or_b32 v8, s2, 9, v0
	v_or_b32_e32 v16, 0x180, v8
	s_waitcnt lgkmcnt(0)
	s_add_i32 s54, s33, -1
	s_cmp_gt_u32 s54, 1
	v_cmp_le_i32_e32 vcc, s55, v16
	s_cselect_b64 s[36:37], -1, 0
	s_and_saveexec_b64 s[0:1], vcc
	s_xor_b64 s[38:39], exec, s[0:1]
	s_cbranch_execz .LBB19_8
; %bb.1:
	s_load_dwordx4 s[24:27], s[34:35], 0x4
	s_load_dwordx2 s[40:41], s[34:35], 0x14
	s_load_dwordx4 s[20:23], s[34:35], 0xc4
	s_load_dwordx4 s[16:19], s[34:35], 0x148
	s_cmp_lg_u32 s33, 0
	s_cselect_b64 s[46:47], -1, 0
	s_add_u32 s44, s34, 0xc4
	s_addc_u32 s45, s35, 0
	s_min_u32 s56, s54, 15
	s_cmp_gt_u32 s33, 1
	s_cselect_b64 s[42:43], -1, 0
	v_cmp_gt_i32_e32 vcc, s55, v8
	s_and_saveexec_b64 s[48:49], vcc
	s_cbranch_execz .LBB19_15
; %bb.2:
	s_andn2_b64 vcc, exec, s[36:37]
	s_cbranch_vccnz .LBB19_23
; %bb.3:
	s_andn2_b64 vcc, exec, s[46:47]
	s_cbranch_vccnz .LBB19_163
; %bb.4:
	s_add_i32 s58, s56, 1
	s_cmp_eq_u32 s54, 2
	s_cbranch_scc1 .LBB19_165
; %bb.5:
	s_and_b32 s57, s58, 28
	s_mov_b32 s59, 0
	v_mov_b32_e32 v0, 0
	v_mov_b32_e32 v2, 0
	s_mov_b64 s[50:51], s[34:35]
	s_mov_b64 s[52:53], s[44:45]
	v_mov_b32_e32 v4, v8
.LBB19_6:                               ; =>This Inner Loop Header: Depth=1
	s_load_dwordx8 s[8:15], s[50:51], 0x4
	s_load_dwordx4 s[28:31], s[50:51], 0x24
	s_load_dwordx8 s[0:7], s[52:53], 0x0
	s_add_u32 s50, s50, 48
	s_addc_u32 s51, s51, 0
	s_waitcnt lgkmcnt(0)
	v_mul_hi_u32 v1, s9, v4
	v_add_u32_e32 v1, v4, v1
	v_lshrrev_b32_e32 v1, s10, v1
	v_mul_lo_u32 v3, v1, s8
	v_mul_hi_u32 v5, s12, v1
	v_sub_u32_e32 v3, v4, v3
	v_add_u32_e32 v4, v1, v5
	v_lshrrev_b32_e32 v4, s13, v4
	v_mul_lo_u32 v6, v4, s11
	v_mul_hi_u32 v7, s15, v4
	v_sub_u32_e32 v1, v1, v6
	v_add_u32_e32 v6, v4, v7
	v_mul_lo_u32 v5, v3, s1
	v_mul_lo_u32 v3, v3, s0
	;; [unrolled: 1-line block ×4, first 2 shown]
	v_lshrrev_b32_e32 v6, s28, v6
	v_add3_u32 v0, v3, v0, v1
	v_mul_hi_u32 v3, s30, v6
	v_add3_u32 v1, v5, v2, v7
	v_mul_lo_u32 v2, v6, s14
	v_add_u32_e32 v3, v6, v3
	v_sub_u32_e32 v2, v4, v2
	v_lshrrev_b32_e32 v4, s31, v3
	s_add_i32 s59, s59, 4
	v_mul_lo_u32 v3, v4, s29
	s_add_u32 s52, s52, 32
	v_sub_u32_e32 v3, v6, v3
	s_addc_u32 s53, s53, 0
	v_mul_lo_u32 v5, v2, s4
	v_mul_lo_u32 v2, v2, s5
	v_mul_lo_u32 v6, v3, s6
	v_mul_lo_u32 v3, v3, s7
	s_cmp_lg_u32 s57, s59
	v_add3_u32 v2, v2, v1, v3
	v_add3_u32 v0, v5, v0, v6
	s_cbranch_scc1 .LBB19_6
; %bb.7:
	v_mov_b32_e32 v1, v2
	s_branch .LBB19_166
.LBB19_8:
	s_andn2_saveexec_b64 s[0:1], s[38:39]
	s_cbranch_execz .LBB19_256
.LBB19_9:
	v_cndmask_b32_e64 v0, 0, 1, s[36:37]
	v_cmp_ne_u32_e64 s[0:1], 1, v0
	s_andn2_b64 vcc, exec, s[36:37]
	s_cbranch_vccnz .LBB19_22
; %bb.10:
	s_cmp_lg_u32 s33, 0
	s_waitcnt lgkmcnt(0)
	s_mov_b32 s26, 0
	s_cbranch_scc0 .LBB19_25
; %bb.11:
	s_min_u32 s27, s54, 15
	s_add_i32 s27, s27, 1
	s_cmp_eq_u32 s54, 2
	s_cbranch_scc1 .LBB19_26
; %bb.12:
	s_and_b32 s26, s27, 28
	s_add_u32 s2, s34, 0xc4
	s_addc_u32 s3, s35, 0
	s_mov_b32 s28, 0
	v_mov_b32_e32 v0, 0
	v_mov_b32_e32 v14, 0
	s_mov_b64 s[24:25], s[34:35]
	v_mov_b32_e32 v2, v8
.LBB19_13:                              ; =>This Inner Loop Header: Depth=1
	s_load_dwordx8 s[12:19], s[24:25], 0x4
	s_load_dwordx4 s[20:23], s[24:25], 0x24
	s_load_dwordx8 s[4:11], s[2:3], 0x0
	s_add_u32 s24, s24, 48
	s_addc_u32 s25, s25, 0
	s_waitcnt lgkmcnt(0)
	v_mul_hi_u32 v1, s13, v2
	v_add_u32_e32 v1, v2, v1
	v_lshrrev_b32_e32 v1, s14, v1
	v_mul_lo_u32 v3, v1, s12
	v_mul_hi_u32 v4, s16, v1
	v_sub_u32_e32 v2, v2, v3
	v_add_u32_e32 v3, v1, v4
	v_lshrrev_b32_e32 v3, s17, v3
	v_mul_lo_u32 v5, v3, s15
	v_mul_hi_u32 v6, s19, v3
	v_sub_u32_e32 v1, v1, v5
	v_add_u32_e32 v5, v3, v6
	v_mul_lo_u32 v4, v2, s5
	v_mul_lo_u32 v2, v2, s4
	;; [unrolled: 1-line block ×4, first 2 shown]
	v_lshrrev_b32_e32 v5, s20, v5
	v_add3_u32 v0, v2, v0, v1
	v_add3_u32 v1, v4, v14, v6
	v_mul_lo_u32 v2, v5, s18
	v_mul_hi_u32 v4, s22, v5
	v_sub_u32_e32 v2, v3, v2
	v_add_u32_e32 v3, v5, v4
	v_mul_lo_u32 v4, v2, s8
	v_mul_lo_u32 v6, v2, s9
	v_lshrrev_b32_e32 v2, s23, v3
	s_add_i32 s28, s28, 4
	v_mul_lo_u32 v3, v2, s21
	s_add_u32 s2, s2, 32
	v_sub_u32_e32 v3, v5, v3
	s_addc_u32 s3, s3, 0
	v_mul_lo_u32 v5, v3, s10
	v_mul_lo_u32 v3, v3, s11
	s_cmp_lg_u32 s26, s28
	v_add3_u32 v14, v6, v1, v3
	v_add3_u32 v0, v4, v0, v5
	s_cbranch_scc1 .LBB19_13
; %bb.14:
	v_mov_b32_e32 v1, v14
	s_and_b32 s6, s27, 3
	s_cmp_eq_u32 s6, 0
	s_cbranch_scc0 .LBB19_27
	s_branch .LBB19_29
.LBB19_15:
	s_or_b64 exec, exec, s[48:49]
	v_cmp_gt_i32_e32 vcc, s55, v8
	s_and_saveexec_b64 s[48:49], vcc
	s_cbranch_execz .LBB19_219
.LBB19_16:
	s_andn2_b64 vcc, exec, s[36:37]
	s_cbranch_vccnz .LBB19_24
; %bb.17:
	s_andn2_b64 vcc, exec, s[46:47]
	s_cbranch_vccnz .LBB19_164
; %bb.18:
	s_add_i32 s58, s56, 1
	s_cmp_eq_u32 s54, 2
	s_cbranch_scc1 .LBB19_185
; %bb.19:
	s_and_b32 s57, s58, 28
	s_mov_b32 s59, 0
	v_mov_b32_e32 v0, 0
	v_mov_b32_e32 v2, 0
	s_mov_b64 s[50:51], s[34:35]
	s_mov_b64 s[52:53], s[44:45]
	v_mov_b32_e32 v4, v8
.LBB19_20:                              ; =>This Inner Loop Header: Depth=1
	s_load_dwordx8 s[8:15], s[50:51], 0x4
	s_load_dwordx4 s[28:31], s[50:51], 0x24
	s_load_dwordx8 s[0:7], s[52:53], 0x0
	s_add_u32 s50, s50, 48
	s_addc_u32 s51, s51, 0
	s_waitcnt lgkmcnt(0)
	v_mul_hi_u32 v1, s9, v4
	v_add_u32_e32 v1, v4, v1
	v_lshrrev_b32_e32 v1, s10, v1
	v_mul_lo_u32 v3, v1, s8
	v_mul_hi_u32 v5, s12, v1
	v_sub_u32_e32 v3, v4, v3
	v_add_u32_e32 v4, v1, v5
	v_lshrrev_b32_e32 v4, s13, v4
	v_mul_lo_u32 v6, v4, s11
	v_mul_hi_u32 v7, s15, v4
	v_sub_u32_e32 v1, v1, v6
	v_add_u32_e32 v6, v4, v7
	v_mul_lo_u32 v5, v3, s1
	v_mul_lo_u32 v3, v3, s0
	;; [unrolled: 1-line block ×4, first 2 shown]
	v_lshrrev_b32_e32 v6, s28, v6
	v_add3_u32 v0, v3, v0, v1
	v_mul_hi_u32 v3, s30, v6
	v_add3_u32 v1, v5, v2, v7
	v_mul_lo_u32 v2, v6, s14
	v_add_u32_e32 v3, v6, v3
	v_sub_u32_e32 v2, v4, v2
	v_lshrrev_b32_e32 v4, s31, v3
	s_add_i32 s59, s59, 4
	v_mul_lo_u32 v3, v4, s29
	s_add_u32 s52, s52, 32
	v_sub_u32_e32 v3, v6, v3
	s_addc_u32 s53, s53, 0
	v_mul_lo_u32 v5, v2, s4
	v_mul_lo_u32 v2, v2, s5
	;; [unrolled: 1-line block ×4, first 2 shown]
	s_cmp_eq_u32 s57, s59
	v_add3_u32 v2, v2, v1, v3
	v_add3_u32 v0, v5, v0, v6
	s_cbranch_scc0 .LBB19_20
; %bb.21:
	v_mov_b32_e32 v1, v2
	s_branch .LBB19_186
.LBB19_22:
                                        ; implicit-def: $vgpr14
                                        ; implicit-def: $vgpr0
	s_branch .LBB19_30
.LBB19_23:
                                        ; implicit-def: $vgpr2
                                        ; implicit-def: $vgpr0
	s_branch .LBB19_170
.LBB19_24:
                                        ; implicit-def: $vgpr2
                                        ; implicit-def: $vgpr0
	s_branch .LBB19_190
.LBB19_25:
	v_mov_b32_e32 v14, 0
	v_mov_b32_e32 v0, 0
	s_branch .LBB19_29
.LBB19_26:
	v_mov_b32_e32 v0, 0
                                        ; implicit-def: $vgpr14
	v_mov_b32_e32 v1, v0
	v_mov_b32_e32 v2, v8
	s_and_b32 s6, s27, 3
	s_cmp_eq_u32 s6, 0
	s_cbranch_scc1 .LBB19_29
.LBB19_27:
	s_lshl_b32 s2, s26, 3
	s_add_u32 s2, s34, s2
	s_addc_u32 s3, s35, 0
	s_add_u32 s2, s2, 0xc4
	s_addc_u32 s3, s3, 0
	s_mul_i32 s4, s26, 12
	s_add_u32 s4, s34, s4
	s_addc_u32 s5, s35, 0
.LBB19_28:                              ; =>This Inner Loop Header: Depth=1
	s_load_dwordx2 s[8:9], s[4:5], 0x4
	s_load_dword s7, s[4:5], 0xc
	s_load_dwordx2 s[10:11], s[2:3], 0x0
	v_mov_b32_e32 v4, v1
	s_add_u32 s4, s4, 12
	s_waitcnt lgkmcnt(0)
	v_mul_hi_u32 v1, s9, v2
	v_add_u32_e32 v1, v2, v1
	v_lshrrev_b32_e32 v1, s7, v1
	s_addc_u32 s5, s5, 0
	v_mul_lo_u32 v3, v1, s8
	s_add_u32 s2, s2, 8
	v_sub_u32_e32 v3, v2, v3
	s_addc_u32 s3, s3, 0
	s_add_i32 s6, s6, -1
	v_mov_b32_e32 v2, v1
	v_mad_u64_u32 v[14:15], s[8:9], v3, s11, v[4:5]
	v_mad_u64_u32 v[0:1], s[8:9], v3, s10, v[0:1]
	s_cmp_lg_u32 s6, 0
	v_mov_b32_e32 v1, v14
	s_cbranch_scc1 .LBB19_28
.LBB19_29:
	s_cbranch_execnz .LBB19_32
.LBB19_30:
	s_load_dwordx4 s[4:7], s[34:35], 0x4
	s_load_dwordx2 s[2:3], s[34:35], 0xc4
	s_cmp_lt_u32 s33, 2
	s_waitcnt lgkmcnt(0)
	v_mul_hi_u32 v0, s5, v8
	v_add_u32_e32 v0, v8, v0
	v_lshrrev_b32_e32 v1, s6, v0
	v_mul_lo_u32 v0, v1, s4
	v_sub_u32_e32 v0, v8, v0
	v_mul_lo_u32 v14, v0, s3
	v_mul_lo_u32 v0, v0, s2
	s_cbranch_scc1 .LBB19_32
; %bb.31:
	s_load_dwordx4 s[4:7], s[34:35], 0x10
	s_load_dwordx2 s[2:3], s[34:35], 0xcc
	s_waitcnt lgkmcnt(0)
	v_mul_hi_u32 v2, s5, v1
	v_add_u32_e32 v2, v1, v2
	v_lshrrev_b32_e32 v2, s6, v2
	v_mul_lo_u32 v2, v2, s4
	v_sub_u32_e32 v2, v1, v2
	v_mad_u64_u32 v[0:1], s[4:5], v2, s2, v[0:1]
	v_mad_u64_u32 v[14:15], s[2:3], v2, s3, v[14:15]
.LBB19_32:
	s_and_b64 vcc, exec, s[0:1]
	v_add_u32_e32 v4, 0x80, v8
	s_cbranch_vccnz .LBB19_38
; %bb.33:
	s_cmp_lg_u32 s33, 0
	s_waitcnt lgkmcnt(0)
	s_mov_b32 s26, 0
	s_cbranch_scc0 .LBB19_39
; %bb.34:
	s_min_u32 s27, s54, 15
	s_add_i32 s27, s27, 1
	s_cmp_eq_u32 s54, 2
	s_cbranch_scc1 .LBB19_40
; %bb.35:
	s_and_b32 s26, s27, 28
	s_add_u32 s2, s34, 0xc4
	s_addc_u32 s3, s35, 0
	s_mov_b32 s28, 0
	v_mov_b32_e32 v2, 0
	v_mov_b32_e32 v12, 0
	s_mov_b64 s[24:25], s[34:35]
	v_mov_b32_e32 v5, v4
.LBB19_36:                              ; =>This Inner Loop Header: Depth=1
	s_load_dwordx8 s[12:19], s[24:25], 0x4
	s_load_dwordx4 s[20:23], s[24:25], 0x24
	s_load_dwordx8 s[4:11], s[2:3], 0x0
	s_add_u32 s24, s24, 48
	s_addc_u32 s25, s25, 0
	s_waitcnt lgkmcnt(0)
	v_mul_hi_u32 v1, s13, v5
	v_add_u32_e32 v1, v5, v1
	v_lshrrev_b32_e32 v1, s14, v1
	v_mul_lo_u32 v3, v1, s12
	v_mul_hi_u32 v6, s16, v1
	v_sub_u32_e32 v3, v5, v3
	v_add_u32_e32 v5, v1, v6
	v_lshrrev_b32_e32 v5, s17, v5
	v_mul_lo_u32 v7, v5, s15
	v_mul_hi_u32 v9, s19, v5
	v_sub_u32_e32 v1, v1, v7
	v_add_u32_e32 v7, v5, v9
	v_mul_lo_u32 v6, v3, s5
	v_mul_lo_u32 v3, v3, s4
	;; [unrolled: 1-line block ×4, first 2 shown]
	v_lshrrev_b32_e32 v7, s20, v7
	v_add3_u32 v1, v3, v2, v1
	v_add3_u32 v2, v6, v12, v9
	v_mul_lo_u32 v3, v7, s18
	v_mul_hi_u32 v6, s22, v7
	v_sub_u32_e32 v3, v5, v3
	v_add_u32_e32 v5, v7, v6
	v_lshrrev_b32_e32 v5, s23, v5
	s_add_i32 s28, s28, 4
	v_mul_lo_u32 v9, v5, s21
	s_add_u32 s2, s2, 32
	v_sub_u32_e32 v7, v7, v9
	s_addc_u32 s3, s3, 0
	v_mul_lo_u32 v6, v3, s8
	v_mul_lo_u32 v3, v3, s9
	;; [unrolled: 1-line block ×4, first 2 shown]
	s_cmp_lg_u32 s26, s28
	v_add3_u32 v12, v3, v2, v7
	v_add3_u32 v2, v6, v1, v9
	s_cbranch_scc1 .LBB19_36
; %bb.37:
	v_mov_b32_e32 v1, v12
	s_and_b32 s6, s27, 3
	s_cmp_eq_u32 s6, 0
	s_cbranch_scc0 .LBB19_41
	s_branch .LBB19_43
.LBB19_38:
                                        ; implicit-def: $vgpr12
                                        ; implicit-def: $vgpr2
	s_branch .LBB19_44
.LBB19_39:
	v_mov_b32_e32 v12, 0
	v_mov_b32_e32 v2, 0
	s_branch .LBB19_43
.LBB19_40:
	v_mov_b32_e32 v2, 0
                                        ; implicit-def: $vgpr12
	v_mov_b32_e32 v1, v2
	v_mov_b32_e32 v5, v4
	s_and_b32 s6, s27, 3
	s_cmp_eq_u32 s6, 0
	s_cbranch_scc1 .LBB19_43
.LBB19_41:
	s_lshl_b32 s2, s26, 3
	s_add_u32 s2, s34, s2
	s_addc_u32 s3, s35, 0
	s_add_u32 s2, s2, 0xc4
	s_addc_u32 s3, s3, 0
	s_mul_i32 s4, s26, 12
	s_add_u32 s4, s34, s4
	s_addc_u32 s5, s35, 0
.LBB19_42:                              ; =>This Inner Loop Header: Depth=1
	s_load_dwordx2 s[8:9], s[4:5], 0x4
	s_load_dword s7, s[4:5], 0xc
	s_load_dwordx2 s[10:11], s[2:3], 0x0
	v_mov_b32_e32 v6, v1
	s_add_u32 s4, s4, 12
	s_waitcnt lgkmcnt(0)
	v_mul_hi_u32 v1, s9, v5
	v_add_u32_e32 v1, v5, v1
	v_lshrrev_b32_e32 v1, s7, v1
	s_addc_u32 s5, s5, 0
	v_mul_lo_u32 v3, v1, s8
	s_add_u32 s2, s2, 8
	v_sub_u32_e32 v3, v5, v3
	s_addc_u32 s3, s3, 0
	s_add_i32 s6, s6, -1
	v_mad_u64_u32 v[12:13], s[8:9], v3, s11, v[6:7]
	s_cmp_lg_u32 s6, 0
	v_mov_b32_e32 v5, v1
	v_mad_u64_u32 v[2:3], s[8:9], v3, s10, v[2:3]
	v_mov_b32_e32 v1, v12
	s_cbranch_scc1 .LBB19_42
.LBB19_43:
	s_cbranch_execnz .LBB19_46
.LBB19_44:
	s_load_dwordx4 s[4:7], s[34:35], 0x4
	s_load_dwordx2 s[2:3], s[34:35], 0xc4
	s_cmp_lt_u32 s33, 2
	s_waitcnt lgkmcnt(0)
	v_mul_hi_u32 v1, s5, v4
	v_add_u32_e32 v1, v4, v1
	v_lshrrev_b32_e32 v1, s6, v1
	v_mul_lo_u32 v2, v1, s4
	v_sub_u32_e32 v2, v4, v2
	v_mul_lo_u32 v12, v2, s3
	v_mul_lo_u32 v2, v2, s2
	s_cbranch_scc1 .LBB19_46
; %bb.45:
	s_load_dwordx4 s[4:7], s[34:35], 0x10
	s_load_dwordx2 s[2:3], s[34:35], 0xcc
	s_waitcnt lgkmcnt(0)
	v_mul_hi_u32 v3, s5, v1
	v_add_u32_e32 v3, v1, v3
	v_lshrrev_b32_e32 v3, s6, v3
	v_mul_lo_u32 v3, v3, s4
	v_sub_u32_e32 v1, v1, v3
	v_mad_u64_u32 v[2:3], s[4:5], v1, s2, v[2:3]
	v_mad_u64_u32 v[12:13], s[2:3], v1, s3, v[12:13]
.LBB19_46:
	s_and_b64 vcc, exec, s[0:1]
	v_add_u32_e32 v3, 0x100, v8
	s_cbranch_vccnz .LBB19_52
; %bb.47:
	s_cmp_lg_u32 s33, 0
	s_waitcnt lgkmcnt(0)
	s_mov_b32 s26, 0
	s_cbranch_scc0 .LBB19_53
; %bb.48:
	s_min_u32 s27, s54, 15
	s_add_i32 s27, s27, 1
	s_cmp_eq_u32 s54, 2
	s_cbranch_scc1 .LBB19_54
; %bb.49:
	s_and_b32 s26, s27, 28
	s_add_u32 s2, s34, 0xc4
	s_addc_u32 s3, s35, 0
	s_mov_b32 s28, 0
	v_mov_b32_e32 v4, 0
	v_mov_b32_e32 v10, 0
	s_mov_b64 s[24:25], s[34:35]
	v_mov_b32_e32 v6, v3
.LBB19_50:                              ; =>This Inner Loop Header: Depth=1
	s_load_dwordx8 s[12:19], s[24:25], 0x4
	s_load_dwordx4 s[20:23], s[24:25], 0x24
	s_load_dwordx8 s[4:11], s[2:3], 0x0
	s_add_u32 s24, s24, 48
	s_addc_u32 s25, s25, 0
	s_waitcnt lgkmcnt(0)
	v_mul_hi_u32 v1, s13, v6
	v_add_u32_e32 v1, v6, v1
	v_lshrrev_b32_e32 v1, s14, v1
	v_mul_lo_u32 v5, v1, s12
	v_mul_hi_u32 v7, s16, v1
	v_sub_u32_e32 v5, v6, v5
	v_add_u32_e32 v6, v1, v7
	v_lshrrev_b32_e32 v6, s17, v6
	v_mul_lo_u32 v8, v6, s15
	v_mul_hi_u32 v9, s19, v6
	v_sub_u32_e32 v1, v1, v8
	v_add_u32_e32 v8, v6, v9
	v_mul_lo_u32 v7, v5, s5
	v_mul_lo_u32 v5, v5, s4
	;; [unrolled: 1-line block ×4, first 2 shown]
	v_lshrrev_b32_e32 v8, s20, v8
	v_add3_u32 v1, v5, v4, v1
	v_add3_u32 v4, v7, v10, v9
	v_mul_lo_u32 v5, v8, s18
	v_mul_hi_u32 v7, s22, v8
	v_sub_u32_e32 v5, v6, v5
	v_add_u32_e32 v6, v8, v7
	v_lshrrev_b32_e32 v6, s23, v6
	s_add_i32 s28, s28, 4
	v_mul_lo_u32 v9, v6, s21
	s_add_u32 s2, s2, 32
	v_sub_u32_e32 v8, v8, v9
	s_addc_u32 s3, s3, 0
	v_mul_lo_u32 v7, v5, s8
	v_mul_lo_u32 v5, v5, s9
	;; [unrolled: 1-line block ×4, first 2 shown]
	s_cmp_lg_u32 s26, s28
	v_add3_u32 v10, v5, v4, v8
	v_add3_u32 v4, v7, v1, v9
	s_cbranch_scc1 .LBB19_50
; %bb.51:
	v_mov_b32_e32 v1, v10
	s_and_b32 s6, s27, 3
	s_cmp_eq_u32 s6, 0
	s_cbranch_scc0 .LBB19_55
	s_branch .LBB19_57
.LBB19_52:
                                        ; implicit-def: $vgpr10
                                        ; implicit-def: $vgpr4
	s_branch .LBB19_58
.LBB19_53:
	v_mov_b32_e32 v10, 0
	v_mov_b32_e32 v4, 0
	s_branch .LBB19_57
.LBB19_54:
	v_mov_b32_e32 v4, 0
                                        ; implicit-def: $vgpr10
	v_mov_b32_e32 v1, v4
	v_mov_b32_e32 v6, v3
	s_and_b32 s6, s27, 3
	s_cmp_eq_u32 s6, 0
	s_cbranch_scc1 .LBB19_57
.LBB19_55:
	s_lshl_b32 s2, s26, 3
	s_add_u32 s2, s34, s2
	s_addc_u32 s3, s35, 0
	s_add_u32 s2, s2, 0xc4
	s_addc_u32 s3, s3, 0
	s_mul_i32 s4, s26, 12
	s_add_u32 s4, s34, s4
	s_addc_u32 s5, s35, 0
.LBB19_56:                              ; =>This Inner Loop Header: Depth=1
	s_load_dwordx2 s[8:9], s[4:5], 0x4
	s_load_dword s7, s[4:5], 0xc
	s_load_dwordx2 s[10:11], s[2:3], 0x0
	v_mov_b32_e32 v8, v1
	s_add_u32 s4, s4, 12
	s_waitcnt lgkmcnt(0)
	v_mul_hi_u32 v1, s9, v6
	v_add_u32_e32 v1, v6, v1
	v_lshrrev_b32_e32 v1, s7, v1
	s_addc_u32 s5, s5, 0
	v_mul_lo_u32 v5, v1, s8
	s_add_u32 s2, s2, 8
	v_sub_u32_e32 v5, v6, v5
	s_addc_u32 s3, s3, 0
	s_add_i32 s6, s6, -1
	v_mad_u64_u32 v[10:11], s[8:9], v5, s11, v[8:9]
	s_cmp_lg_u32 s6, 0
	v_mov_b32_e32 v6, v1
	v_mad_u64_u32 v[4:5], s[8:9], v5, s10, v[4:5]
	v_mov_b32_e32 v1, v10
	s_cbranch_scc1 .LBB19_56
.LBB19_57:
	s_cbranch_execnz .LBB19_60
.LBB19_58:
	s_load_dwordx4 s[4:7], s[34:35], 0x4
	s_load_dwordx2 s[2:3], s[34:35], 0xc4
	s_cmp_lt_u32 s33, 2
	s_waitcnt lgkmcnt(0)
	v_mul_hi_u32 v1, s5, v3
	v_add_u32_e32 v1, v3, v1
	v_lshrrev_b32_e32 v1, s6, v1
	v_mul_lo_u32 v4, v1, s4
	v_sub_u32_e32 v3, v3, v4
	v_mul_lo_u32 v10, v3, s3
	v_mul_lo_u32 v4, v3, s2
	s_cbranch_scc1 .LBB19_60
; %bb.59:
	s_load_dwordx4 s[4:7], s[34:35], 0x10
	s_load_dwordx2 s[2:3], s[34:35], 0xcc
	s_waitcnt lgkmcnt(0)
	v_mul_hi_u32 v3, s5, v1
	v_add_u32_e32 v3, v1, v3
	v_lshrrev_b32_e32 v3, s6, v3
	v_mul_lo_u32 v3, v3, s4
	v_sub_u32_e32 v1, v1, v3
	v_mad_u64_u32 v[4:5], s[4:5], v1, s2, v[4:5]
	v_mad_u64_u32 v[10:11], s[2:3], v1, s3, v[10:11]
.LBB19_60:
	s_and_b64 vcc, exec, s[0:1]
	s_cbranch_vccnz .LBB19_66
; %bb.61:
	s_cmp_lg_u32 s33, 0
	s_waitcnt lgkmcnt(0)
	s_mov_b32 s24, 0
	s_cbranch_scc0 .LBB19_67
; %bb.62:
	s_min_u32 s25, s54, 15
	s_add_i32 s25, s25, 1
	s_cmp_eq_u32 s54, 2
	s_cbranch_scc1 .LBB19_68
; %bb.63:
	s_and_b32 s24, s25, 28
	s_add_u32 s20, s34, 0xc4
	s_addc_u32 s21, s35, 0
	s_mov_b32 s26, 0
	v_mov_b32_e32 v6, 0
	v_mov_b32_e32 v8, 0
	s_mov_b64 s[22:23], s[34:35]
	v_mov_b32_e32 v3, v16
.LBB19_64:                              ; =>This Inner Loop Header: Depth=1
	s_load_dwordx8 s[8:15], s[22:23], 0x4
	s_load_dwordx4 s[16:19], s[22:23], 0x24
	s_load_dwordx8 s[0:7], s[20:21], 0x0
	s_add_u32 s22, s22, 48
	s_addc_u32 s23, s23, 0
	s_waitcnt lgkmcnt(0)
	v_mul_hi_u32 v1, s9, v3
	v_add_u32_e32 v1, v3, v1
	v_lshrrev_b32_e32 v1, s10, v1
	v_mul_lo_u32 v5, v1, s8
	v_mul_hi_u32 v7, s12, v1
	v_sub_u32_e32 v3, v3, v5
	v_add_u32_e32 v5, v1, v7
	v_lshrrev_b32_e32 v5, s13, v5
	v_mul_lo_u32 v9, v5, s11
	v_mul_hi_u32 v11, s15, v5
	v_sub_u32_e32 v1, v1, v9
	v_add_u32_e32 v9, v5, v11
	v_mul_lo_u32 v7, v3, s1
	v_mul_lo_u32 v3, v3, s0
	;; [unrolled: 1-line block ×4, first 2 shown]
	v_lshrrev_b32_e32 v9, s16, v9
	v_add3_u32 v1, v3, v6, v1
	v_add3_u32 v6, v7, v8, v11
	v_mul_lo_u32 v3, v9, s14
	v_mul_hi_u32 v7, s18, v9
	v_sub_u32_e32 v3, v5, v3
	v_add_u32_e32 v5, v9, v7
	v_mul_lo_u32 v7, v3, s4
	v_mul_lo_u32 v8, v3, s5
	v_lshrrev_b32_e32 v3, s19, v5
	s_add_i32 s26, s26, 4
	v_mul_lo_u32 v5, v3, s17
	s_add_u32 s20, s20, 32
	v_sub_u32_e32 v5, v9, v5
	s_addc_u32 s21, s21, 0
	v_mul_lo_u32 v9, v5, s6
	v_mul_lo_u32 v5, v5, s7
	s_cmp_lg_u32 s24, s26
	v_add3_u32 v8, v8, v6, v5
	v_add3_u32 v6, v7, v1, v9
	s_cbranch_scc1 .LBB19_64
; %bb.65:
	v_mov_b32_e32 v1, v8
	s_and_b32 s4, s25, 3
	s_cmp_eq_u32 s4, 0
	s_cbranch_scc0 .LBB19_69
	s_branch .LBB19_71
.LBB19_66:
                                        ; implicit-def: $vgpr8
                                        ; implicit-def: $vgpr6
	s_branch .LBB19_72
.LBB19_67:
	v_mov_b32_e32 v8, 0
	v_mov_b32_e32 v6, 0
	s_branch .LBB19_71
.LBB19_68:
	v_mov_b32_e32 v6, 0
                                        ; implicit-def: $vgpr8
	v_mov_b32_e32 v1, v6
	v_mov_b32_e32 v3, v16
	s_and_b32 s4, s25, 3
	s_cmp_eq_u32 s4, 0
	s_cbranch_scc1 .LBB19_71
.LBB19_69:
	s_lshl_b32 s0, s24, 3
	s_add_u32 s0, s34, s0
	s_addc_u32 s1, s35, 0
	s_add_u32 s0, s0, 0xc4
	s_addc_u32 s1, s1, 0
	s_mul_i32 s2, s24, 12
	s_add_u32 s2, s34, s2
	s_addc_u32 s3, s35, 0
.LBB19_70:                              ; =>This Inner Loop Header: Depth=1
	s_load_dwordx2 s[6:7], s[2:3], 0x4
	s_load_dword s5, s[2:3], 0xc
	s_load_dwordx2 s[8:9], s[0:1], 0x0
	v_mov_b32_e32 v8, v1
	s_add_u32 s2, s2, 12
	s_waitcnt lgkmcnt(0)
	v_mul_hi_u32 v1, s7, v3
	v_add_u32_e32 v1, v3, v1
	v_lshrrev_b32_e32 v1, s5, v1
	s_addc_u32 s3, s3, 0
	v_mul_lo_u32 v5, v1, s6
	s_add_u32 s0, s0, 8
	v_sub_u32_e32 v5, v3, v5
	s_addc_u32 s1, s1, 0
	s_add_i32 s4, s4, -1
	v_mad_u64_u32 v[8:9], s[6:7], v5, s9, v[8:9]
	s_cmp_lg_u32 s4, 0
	v_mov_b32_e32 v3, v1
	v_mad_u64_u32 v[6:7], s[6:7], v5, s8, v[6:7]
	v_mov_b32_e32 v1, v8
	s_cbranch_scc1 .LBB19_70
.LBB19_71:
	s_cbranch_execnz .LBB19_74
.LBB19_72:
	s_load_dwordx4 s[0:3], s[34:35], 0x4
	s_load_dwordx2 s[4:5], s[34:35], 0xc4
	s_cmp_lt_u32 s33, 2
	s_waitcnt lgkmcnt(0)
	v_mul_hi_u32 v1, s1, v16
	v_add_u32_e32 v1, v16, v1
	v_lshrrev_b32_e32 v1, s2, v1
	v_mul_lo_u32 v3, v1, s0
	v_sub_u32_e32 v3, v16, v3
	v_mul_lo_u32 v8, v3, s5
	v_mul_lo_u32 v6, v3, s4
	s_cbranch_scc1 .LBB19_74
; %bb.73:
	s_load_dwordx4 s[0:3], s[34:35], 0x10
	s_load_dwordx2 s[4:5], s[34:35], 0xcc
	s_waitcnt lgkmcnt(0)
	v_mul_hi_u32 v3, s1, v1
	v_add_u32_e32 v3, v1, v3
	v_lshrrev_b32_e32 v3, s2, v3
	v_mul_lo_u32 v3, v3, s0
	v_sub_u32_e32 v1, v1, v3
	v_mad_u64_u32 v[6:7], s[0:1], v1, s4, v[6:7]
	v_mad_u64_u32 v[8:9], s[0:1], v1, s5, v[8:9]
.LBB19_74:
	s_load_dwordx4 s[8:11], s[34:35], 0x148
	s_waitcnt lgkmcnt(0)
	s_mov_b32 s20, 0x7f800000
	v_mov_b32_e32 v1, 0x7fc00000
	v_mov_b32_e32 v3, 0x7fc00000
	global_load_dword v15, v14, s[10:11]
	s_waitcnt vmcnt(0)
	v_cmp_neq_f32_e64 s[0:1], |v15|, s20
	s_and_saveexec_b64 s[6:7], s[0:1]
	s_cbranch_execz .LBB19_96
; %bb.75:
	s_mov_b32 s0, 0x42cfc8b4
	v_cmp_nlt_f32_e32 vcc, s0, v15
	v_mov_b32_e32 v3, 0
	s_and_saveexec_b64 s[12:13], vcc
	s_cbranch_execz .LBB19_95
; %bb.76:
	s_mov_b32 s0, 0xc005c28f
	v_cmp_ngt_f32_e32 vcc, s0, v15
                                        ; implicit-def: $vgpr3
	s_and_saveexec_b64 s[0:1], vcc
	s_xor_b64 s[2:3], exec, s[0:1]
	s_cbranch_execz .LBB19_84
; %bb.77:
	s_mov_b32 s0, 0x4005c28f
	v_cmp_nle_f32_e64 s[4:5], s0, v15
	v_cmp_le_f32_e32 vcc, s0, v15
	v_mov_b32_e32 v3, 0
	s_mov_b64 s[0:1], s[4:5]
	s_and_saveexec_b64 s[14:15], vcc
	s_cbranch_execz .LBB19_79
; %bb.78:
	s_mov_b32 s16, 0xf800000
	v_mul_f32_e32 v3, 0x4f800000, v15
	v_cmp_gt_f32_e32 vcc, s16, v15
	v_add_f32_e32 v7, v15, v15
	s_mov_b32 s17, 0x40400000
	v_cndmask_b32_e32 v3, v15, v3, vcc
	v_sqrt_f32_e32 v5, v3
	s_nop 0
	v_add_u32_e32 v9, -1, v5
	v_fma_f32 v11, -v9, v5, v3
	v_cmp_ge_f32_e64 s[0:1], 0, v11
	v_add_u32_e32 v11, 1, v5
	s_nop 0
	v_cndmask_b32_e64 v9, v5, v9, s[0:1]
	v_fma_f32 v5, -v11, v5, v3
	v_cmp_lt_f32_e64 s[0:1], 0, v5
	s_nop 1
	v_cndmask_b32_e64 v5, v9, v11, s[0:1]
	v_mul_f32_e32 v9, 0x37800000, v5
	v_cndmask_b32_e32 v5, v5, v9, vcc
	v_mov_b32_e32 v9, 0x260
	v_cmp_class_f32_e32 vcc, v3, v9
	s_nop 1
	v_cndmask_b32_e32 v3, v5, v3, vcc
	v_mul_f32_e32 v5, v7, v3
	v_div_scale_f32 v7, s[0:1], s17, s17, v5
	v_rcp_f32_e32 v11, v7
	s_nop 0
	v_fma_f32 v13, -v7, v11, 1.0
	v_fmac_f32_e32 v11, v13, v11
	v_div_scale_f32 v13, vcc, v5, s17, v5
	v_mul_f32_e32 v14, v13, v11
	v_fma_f32 v16, -v7, v14, v13
	v_fmac_f32_e32 v14, v16, v11
	v_fma_f32 v7, -v7, v14, v13
	v_div_fmas_f32 v7, v7, v11, v14
	v_div_fixup_f32 v5, v7, s17, v5
	v_div_scale_f32 v7, s[0:1], v5, v5, 1.0
	v_rcp_f32_e32 v11, v7
	s_mov_b32 s0, 0x3eb16d71
	s_mov_b32 s1, 0x3f114de0
	v_fma_f32 v13, -v7, v11, 1.0
	v_fmac_f32_e32 v11, v13, v11
	v_div_scale_f32 v13, vcc, 1.0, v5, 1.0
	v_mul_f32_e32 v14, v13, v11
	v_fma_f32 v16, -v7, v14, v13
	v_fmac_f32_e32 v14, v16, v11
	v_fma_f32 v7, -v7, v14, v13
	v_div_fmas_f32 v7, v7, v11, v14
	v_div_fixup_f32 v14, v7, v5, 1.0
	v_mul_f32_e32 v16, 0, v14
	v_pk_add_f32 v[16:17], v[16:17], s[0:1] op_sel_hi:[0,1]
	s_mov_b32 s0, 0x41401f1c
	s_mov_b32 s1, 0x416c19a0
	v_pk_fma_f32 v[16:17], v[14:15], v[16:17], s[0:1] op_sel_hi:[0,1,1]
	s_mov_b32 s0, 0x42988f28
	s_mov_b32 s1, 0x42a9071e
	v_pk_fma_f32 v[16:17], v[14:15], v[16:17], s[0:1] op_sel_hi:[0,1,1]
	;; [unrolled: 3-line block ×6, first 2 shown]
	v_pk_fma_f32 v[16:17], v[14:15], v[16:17], 1.0 op_sel_hi:[0,1,0]
	v_div_scale_f32 v7, s[0:1], v17, v17, v16
	v_rcp_f32_e32 v11, v7
	v_cmp_gt_f32_e64 s[0:1], s16, v3
	v_fma_f32 v13, -v7, v11, 1.0
	v_fmac_f32_e32 v11, v13, v11
	v_div_scale_f32 v13, vcc, v16, v17, v16
	v_mul_f32_e32 v14, v13, v11
	v_fma_f32 v18, -v7, v14, v13
	v_fmac_f32_e32 v14, v18, v11
	v_fma_f32 v7, -v7, v14, v13
	v_mul_f32_e32 v13, 0x4f800000, v3
	v_cndmask_b32_e64 v3, v3, v13, s[0:1]
	v_sqrt_f32_e32 v13, v3
	v_div_fmas_f32 v7, v7, v11, v14
	v_div_fixup_f32 v16, v7, v17, v16
	v_add_u32_e32 v7, -1, v13
	v_fma_f32 v11, -v7, v13, v3
	v_cmp_ge_f32_e32 vcc, 0, v11
	v_add_u32_e32 v11, 1, v13
	s_nop 0
	v_cndmask_b32_e32 v7, v13, v7, vcc
	v_fma_f32 v13, -v11, v13, v3
	v_cmp_lt_f32_e32 vcc, 0, v13
	s_nop 1
	v_cndmask_b32_e32 v7, v7, v11, vcc
	v_mul_f32_e32 v11, 0x37800000, v7
	v_cndmask_b32_e64 v7, v7, v11, s[0:1]
	v_cmp_class_f32_e32 vcc, v3, v9
	s_mov_b32 s0, 0x3fb8aa3b
	s_nop 0
	v_cndmask_b32_e32 v17, v7, v3, vcc
	v_mul_f32_e32 v3, 0x3fb8aa3b, v5
	v_fma_f32 v7, v5, s0, -v3
	v_rndne_f32_e32 v9, v3
	v_fmamk_f32 v7, v5, 0x32a5705f, v7
	v_sub_f32_e32 v3, v3, v9
	v_add_f32_e32 v3, v3, v7
	v_exp_f32_e32 v3, v3
	v_cvt_i32_f32_e32 v7, v9
	s_mov_b32 s0, 0x3f106ebb
	s_mov_b32 s1, 2.0
	v_pk_mul_f32 v[16:17], v[16:17], s[0:1]
	s_mov_b32 s0, 0xc2ce8ed0
	v_ldexp_f32 v3, v3, v7
	v_cmp_ngt_f32_e32 vcc, s0, v5
	s_mov_b32 s0, 0x42b17218
	v_mov_b32_e32 v7, 0x7f800000
	v_cndmask_b32_e32 v3, 0, v3, vcc
	v_cmp_nlt_f32_e32 vcc, s0, v5
	s_nop 1
	v_cndmask_b32_e32 v3, v7, v3, vcc
	v_mul_f32_e32 v3, v17, v3
	v_div_scale_f32 v5, s[0:1], v3, v3, v16
	v_rcp_f32_e32 v7, v5
	s_mov_b32 s0, 0x41052018
	v_fma_f32 v9, -v5, v7, 1.0
	v_fmac_f32_e32 v7, v9, v7
	v_div_scale_f32 v9, vcc, v16, v3, v16
	v_mul_f32_e32 v11, v9, v7
	v_fma_f32 v13, -v5, v11, v9
	v_fmac_f32_e32 v11, v13, v7
	v_fma_f32 v5, -v5, v11, v9
	v_div_fmas_f32 v5, v5, v7, v11
	v_cmp_nlt_f32_e32 vcc, s0, v15
	s_andn2_b64 s[0:1], s[4:5], exec
	s_and_b64 s[16:17], vcc, exec
	v_div_fixup_f32 v3, v5, v3, v16
	s_or_b64 s[0:1], s[0:1], s[16:17]
.LBB19_79:
	s_or_b64 exec, exec, s[14:15]
	s_and_saveexec_b64 s[14:15], s[0:1]
	s_cbranch_execz .LBB19_83
; %bb.80:
	v_mul_f32_e32 v5, v15, v15
	v_mul_f32_e32 v16, v15, v5
	v_mov_b32_e32 v17, v16
	s_mov_b64 s[16:17], 0
	v_mov_b32_e32 v5, 1.0
	v_mov_b32_e32 v14, 1.0
	;; [unrolled: 1-line block ×3, first 2 shown]
	s_brev_b32 s18, 44
	v_mov_b32_e32 v19, v15
.LBB19_81:                              ; =>This Inner Loop Header: Depth=1
	v_pk_mul_f32 v[18:19], v[16:17], v[18:19]
	v_add_f32_e32 v7, 1.0, v5
	v_add_f32_e32 v9, 1.0, v7
	v_div_scale_f32 v11, s[0:1], v7, v7, v18
	v_rcp_f32_e32 v20, v11
	v_div_scale_f32 v21, s[0:1], v9, v9, v19
	v_rcp_f32_e32 v23, v21
	v_fma_f32 v24, -v11, v20, 1.0
	v_div_scale_f32 v13, vcc, v18, v7, v18
	v_fmac_f32_e32 v20, v24, v20
	v_fma_f32 v24, -v21, v23, 1.0
	v_div_scale_f32 v22, s[0:1], v19, v9, v19
	v_mul_f32_e32 v25, v13, v20
	v_fmac_f32_e32 v23, v24, v23
	v_fma_f32 v24, -v11, v25, v13
	v_mul_f32_e32 v26, v22, v23
	v_fmac_f32_e32 v25, v24, v20
	v_fma_f32 v24, -v21, v26, v22
	v_fma_f32 v11, -v11, v25, v13
	v_fmac_f32_e32 v26, v24, v23
	v_div_fmas_f32 v11, v11, v20, v25
	v_fma_f32 v13, -v21, v26, v22
	s_mov_b64 vcc, s[0:1]
	v_div_fixup_f32 v7, v11, v7, v18
	v_div_fmas_f32 v11, v13, v23, v26
	v_add_f32_e32 v5, 1.0, v9
	v_div_fixup_f32 v11, v11, v9, v19
	v_div_scale_f32 v13, s[0:1], v9, v9, v7
	v_div_scale_f32 v19, s[22:23], v5, v5, v11
	v_rcp_f32_e32 v21, v13
	v_rcp_f32_e32 v22, v19
	v_div_scale_f32 v18, s[0:1], v7, v9, v7
	v_fma_f32 v23, -v13, v21, 1.0
	v_fma_f32 v24, -v19, v22, 1.0
	v_div_scale_f32 v20, vcc, v11, v5, v11
	v_fmac_f32_e32 v21, v23, v21
	v_fmac_f32_e32 v22, v24, v22
	v_mul_f32_e32 v23, v18, v21
	v_mul_f32_e32 v24, v20, v22
	v_fma_f32 v25, -v13, v23, v18
	v_fma_f32 v26, -v19, v24, v20
	v_fmac_f32_e32 v23, v25, v21
	v_fmac_f32_e32 v24, v26, v22
	v_fma_f32 v13, -v13, v23, v18
	v_fma_f32 v18, -v19, v24, v20
	v_div_fmas_f32 v18, v18, v22, v24
	s_mov_b64 vcc, s[0:1]
	v_div_fixup_f32 v19, v18, v5, v11
	v_div_fmas_f32 v11, v13, v21, v23
	v_div_fixup_f32 v18, v11, v9, v7
	v_pk_add_f32 v[14:15], v[14:15], v[18:19]
	s_nop 0
	v_div_scale_f32 v7, s[0:1], v14, v14, v18
	v_rcp_f32_e32 v9, v7
	v_div_scale_f32 v11, vcc, v18, v14, v18
	v_fma_f32 v13, -v7, v9, 1.0
	v_fmac_f32_e32 v9, v13, v9
	v_mul_f32_e32 v13, v11, v9
	v_fma_f32 v20, -v7, v13, v11
	v_fmac_f32_e32 v13, v20, v9
	v_fma_f32 v7, -v7, v13, v11
	v_div_fmas_f32 v7, v7, v9, v13
	v_div_fixup_f32 v7, v7, v14, v18
	v_cmp_ngt_f32_e64 s[0:1], |v7|, s18
	s_or_b64 s[16:17], s[0:1], s[16:17]
	s_andn2_b64 exec, exec, s[16:17]
	s_cbranch_execnz .LBB19_81
; %bb.82:
	s_or_b64 exec, exec, s[16:17]
	s_mov_b32 s0, 0x3eb5c63d
	s_mov_b32 s1, 0x3e8483fa
	v_pk_mul_f32 v[14:15], v[14:15], s[0:1]
	s_nop 0
	v_sub_f32_e32 v5, v14, v15
	v_cndmask_b32_e64 v3, v3, v5, s[4:5]
.LBB19_83:
	s_or_b64 exec, exec, s[14:15]
                                        ; implicit-def: $vgpr15
.LBB19_84:
	s_andn2_saveexec_b64 s[14:15], s[2:3]
	s_cbranch_execz .LBB19_94
; %bb.85:
	s_mov_b32 s0, 0x8f800000
	v_mul_f32_e32 v3, 0xcf800000, v15
	v_cmp_lt_f32_e32 vcc, s0, v15
	v_mul_f32_e32 v7, -2.0, v15
	s_mov_b32 s2, 0x40400000
	v_cndmask_b32_e64 v3, -v15, v3, vcc
	v_sqrt_f32_e32 v5, v3
	s_nop 0
	v_add_u32_e32 v9, -1, v5
	v_fma_f32 v11, -v9, v5, v3
	v_cmp_ge_f32_e64 s[0:1], 0, v11
	v_add_u32_e32 v11, 1, v5
	s_nop 0
	v_cndmask_b32_e64 v9, v5, v9, s[0:1]
	v_fma_f32 v5, -v11, v5, v3
	v_cmp_lt_f32_e64 s[0:1], 0, v5
	s_nop 1
	v_cndmask_b32_e64 v5, v9, v11, s[0:1]
	v_mul_f32_e32 v9, 0x37800000, v5
	v_cndmask_b32_e32 v5, v5, v9, vcc
	v_mov_b32_e32 v9, 0x260
	v_cmp_class_f32_e32 vcc, v3, v9
	s_nop 1
	v_cndmask_b32_e32 v3, v5, v3, vcc
	v_mul_f32_e32 v5, v7, v3
	v_div_scale_f32 v7, s[0:1], s2, s2, v5
	v_rcp_f32_e32 v9, v7
	s_brev_b32 s0, 18
	v_fma_f32 v11, -v7, v9, 1.0
	v_fmac_f32_e32 v9, v11, v9
	v_div_scale_f32 v11, vcc, v5, s2, v5
	v_mul_f32_e32 v13, v11, v9
	v_fma_f32 v14, -v7, v13, v11
	v_fmac_f32_e32 v13, v14, v9
	v_fma_f32 v7, -v7, v13, v11
	v_div_fmas_f32 v7, v7, v9, v13
	v_div_fixup_f32 v9, v7, s2, v5
	v_add_f32_e32 v5, 0x3f490fdb, v9
	v_and_b32_e32 v7, 0x7fffffff, v5
	v_cmp_nlt_f32_e64 s[16:17], |v5|, s0
                                        ; implicit-def: $vgpr11
                                        ; implicit-def: $vgpr13
	s_and_saveexec_b64 s[0:1], s[16:17]
	s_xor_b64 s[18:19], exec, s[0:1]
	s_cbranch_execz .LBB19_87
; %bb.86:
	v_lshrrev_b32_e32 v11, 23, v7
	v_add_u32_e32 v11, 0xffffff88, v11
	v_not_b32_e32 v13, 63
	v_cmp_lt_u32_e32 vcc, 63, v11
	s_mov_b32 s4, 0xfe5163ab
	v_mov_b32_e32 v17, 0
	v_cndmask_b32_e32 v13, 0, v13, vcc
	v_add_u32_e32 v11, v13, v11
	v_not_b32_e32 v13, 31
	v_cmp_lt_u32_e64 s[0:1], 31, v11
	s_nop 1
	v_cndmask_b32_e64 v14, 0, v13, s[0:1]
	v_add_u32_e32 v11, v14, v11
	v_cmp_lt_u32_e64 s[2:3], 31, v11
	s_nop 1
	v_cndmask_b32_e64 v13, 0, v13, s[2:3]
	v_add_u32_e32 v11, v13, v11
	v_and_b32_e32 v13, 0x7fffff, v7
	v_or_b32_e32 v13, 0x800000, v13
	v_mad_u64_u32 v[14:15], s[4:5], v13, s4, 0
	v_mov_b32_e32 v16, v15
	s_mov_b32 s4, 0x3c439041
	v_mad_u64_u32 v[18:19], s[4:5], v13, s4, v[16:17]
	v_mov_b32_e32 v16, v19
	s_mov_b32 s4, 0xdb629599
	;; [unrolled: 3-line block ×6, first 2 shown]
	v_mad_u64_u32 v[16:17], s[4:5], v13, s4, v[16:17]
	v_cndmask_b32_e32 v15, v26, v22, vcc
	v_cndmask_b32_e32 v13, v16, v24, vcc
	;; [unrolled: 1-line block ×3, first 2 shown]
	v_cndmask_b32_e64 v16, v13, v15, s[0:1]
	v_cndmask_b32_e64 v13, v17, v13, s[0:1]
	v_cndmask_b32_e32 v17, v24, v20, vcc
	v_cndmask_b32_e64 v15, v15, v17, s[0:1]
	v_cndmask_b32_e64 v13, v13, v16, s[2:3]
	;; [unrolled: 1-line block ×3, first 2 shown]
	v_sub_u32_e32 v19, 32, v11
	v_alignbit_b32 v21, v13, v16, v19
	v_cmp_eq_u32_e64 s[4:5], 0, v11
	v_cndmask_b32_e32 v14, v20, v14, vcc
	s_nop 0
	v_cndmask_b32_e64 v11, v21, v13, s[4:5]
	v_cndmask_b32_e32 v13, v22, v18, vcc
	v_cndmask_b32_e64 v17, v17, v13, s[0:1]
	v_cndmask_b32_e64 v15, v15, v17, s[2:3]
	v_alignbit_b32 v18, v16, v15, v19
	v_cndmask_b32_e64 v13, v13, v14, s[0:1]
	v_cndmask_b32_e64 v16, v18, v16, s[4:5]
	v_bfe_u32 v22, v11, 29, 1
	v_cndmask_b32_e64 v13, v17, v13, s[2:3]
	v_alignbit_b32 v18, v11, v16, 30
	v_sub_u32_e32 v23, 0, v22
	v_alignbit_b32 v14, v15, v13, v19
	v_xor_b32_e32 v18, v18, v23
	v_cndmask_b32_e64 v14, v14, v15, s[4:5]
	v_alignbit_b32 v15, v16, v14, 30
	v_ffbh_u32_e32 v16, v18
	v_min_u32_e32 v16, 32, v16
	v_alignbit_b32 v13, v14, v13, 30
	v_xor_b32_e32 v15, v15, v23
	v_sub_u32_e32 v17, 31, v16
	v_xor_b32_e32 v13, v13, v23
	v_alignbit_b32 v18, v18, v15, v17
	v_alignbit_b32 v13, v15, v13, v17
	;; [unrolled: 1-line block ×3, first 2 shown]
	v_ffbh_u32_e32 v15, v14
	v_min_u32_e32 v15, 32, v15
	v_lshrrev_b32_e32 v21, 29, v11
	v_not_b32_e32 v17, v15
	v_alignbit_b32 v13, v14, v13, v17
	v_lshlrev_b32_e32 v14, 31, v21
	v_or_b32_e32 v17, 0x33000000, v14
	v_add_lshl_u32 v15, v15, v16, 23
	v_lshrrev_b32_e32 v13, 9, v13
	v_sub_u32_e32 v15, v17, v15
	v_or_b32_e32 v14, 0.5, v14
	v_lshlrev_b32_e32 v16, 23, v16
	v_or_b32_e32 v13, v15, v13
	v_lshrrev_b32_e32 v15, 9, v18
	v_sub_u32_e32 v14, v14, v16
	v_or_b32_e32 v14, v15, v14
	s_mov_b32 s0, 0x3fc90fda
	v_mul_f32_e32 v15, 0x3fc90fda, v14
	v_fma_f32 v16, v14, s0, -v15
	v_fmamk_f32 v14, v14, 0x33a22168, v16
	v_fmac_f32_e32 v14, 0x3fc90fda, v13
	v_lshrrev_b32_e32 v11, 30, v11
	v_add_f32_e32 v13, v15, v14
	v_add_u32_e32 v11, v22, v11
	s_andn2_saveexec_b64 s[0:1], s[18:19]
	s_cbranch_execz .LBB19_89
	s_branch .LBB19_88
.LBB19_87:
	s_andn2_saveexec_b64 s[0:1], s[18:19]
	s_cbranch_execz .LBB19_89
.LBB19_88:
	s_mov_b32 s2, 0x3f22f983
	v_mul_f32_e64 v11, |v5|, s2
	v_rndne_f32_e32 v13, v11
	s_mov_b32 s2, 0xbfc90fda
	v_cvt_i32_f32_e32 v11, v13
	v_fma_f32 v14, v13, s2, |v5|
	v_fmamk_f32 v14, v13, 0xb3a22168, v14
	v_fmamk_f32 v13, v13, 0xa7c234c4, v14
.LBB19_89:
	s_or_b64 exec, exec, s[0:1]
                                        ; implicit-def: $vgpr14
                                        ; implicit-def: $vgpr15
	s_and_saveexec_b64 s[0:1], s[16:17]
	s_xor_b64 s[16:17], exec, s[0:1]
	s_cbranch_execz .LBB19_91
; %bb.90:
	v_lshrrev_b32_e32 v14, 23, v7
	v_add_u32_e32 v14, 0xffffff88, v14
	v_not_b32_e32 v15, 63
	v_cmp_lt_u32_e32 vcc, 63, v14
	s_mov_b32 s4, 0xfe5163ab
	v_mov_b32_e32 v17, 0
	v_cndmask_b32_e32 v15, 0, v15, vcc
	v_add_u32_e32 v14, v15, v14
	v_not_b32_e32 v15, 31
	v_cmp_lt_u32_e64 s[0:1], 31, v14
	s_nop 1
	v_cndmask_b32_e64 v16, 0, v15, s[0:1]
	v_add_u32_e32 v14, v16, v14
	v_cmp_lt_u32_e64 s[2:3], 31, v14
	s_nop 1
	v_cndmask_b32_e64 v15, 0, v15, s[2:3]
	v_add_u32_e32 v28, v15, v14
	v_and_b32_e32 v14, 0x7fffff, v7
	v_or_b32_e32 v29, 0x800000, v14
	v_mad_u64_u32 v[14:15], s[4:5], v29, s4, 0
	v_mov_b32_e32 v16, v15
	s_mov_b32 s4, 0x3c439041
	v_mad_u64_u32 v[18:19], s[4:5], v29, s4, v[16:17]
	v_mov_b32_e32 v16, v19
	s_mov_b32 s4, 0xdb629599
	v_mad_u64_u32 v[20:21], s[4:5], v29, s4, v[16:17]
	v_mov_b32_e32 v16, v21
	s_mov_b32 s4, 0xf534ddc0
	v_mad_u64_u32 v[22:23], s[4:5], v29, s4, v[16:17]
	v_mov_b32_e32 v16, v23
	s_mov_b32 s4, 0xfc2757d1
	v_mad_u64_u32 v[24:25], s[4:5], v29, s4, v[16:17]
	v_mov_b32_e32 v16, v25
	s_mov_b32 s4, 0x4e441529
	v_mad_u64_u32 v[26:27], s[4:5], v29, s4, v[16:17]
	v_mov_b32_e32 v16, v27
	s_mov_b32 s4, 0xa2f9836e
	v_mad_u64_u32 v[16:17], s[4:5], v29, s4, v[16:17]
	v_cndmask_b32_e32 v15, v26, v22, vcc
	v_cndmask_b32_e32 v16, v16, v24, vcc
	;; [unrolled: 1-line block ×3, first 2 shown]
	v_cndmask_b32_e64 v19, v16, v15, s[0:1]
	v_cndmask_b32_e64 v16, v17, v16, s[0:1]
	v_cndmask_b32_e32 v17, v24, v20, vcc
	v_cndmask_b32_e64 v15, v15, v17, s[0:1]
	v_cndmask_b32_e32 v18, v22, v18, vcc
	v_cndmask_b32_e64 v16, v16, v19, s[2:3]
	v_cndmask_b32_e64 v19, v19, v15, s[2:3]
	v_sub_u32_e32 v21, 32, v28
	v_cndmask_b32_e64 v17, v17, v18, s[0:1]
	v_alignbit_b32 v23, v16, v19, v21
	v_cmp_eq_u32_e64 s[4:5], 0, v28
	v_cndmask_b32_e64 v15, v15, v17, s[2:3]
	v_alignbit_b32 v22, v19, v15, v21
	v_cndmask_b32_e64 v16, v23, v16, s[4:5]
	v_cndmask_b32_e32 v14, v20, v14, vcc
	v_cndmask_b32_e64 v19, v22, v19, s[4:5]
	v_bfe_u32 v24, v16, 29, 1
	v_cndmask_b32_e64 v14, v18, v14, s[0:1]
	v_alignbit_b32 v22, v16, v19, 30
	v_sub_u32_e32 v25, 0, v24
	v_cndmask_b32_e64 v14, v17, v14, s[2:3]
	v_xor_b32_e32 v22, v22, v25
	v_alignbit_b32 v17, v15, v14, v21
	v_cndmask_b32_e64 v15, v17, v15, s[4:5]
	v_ffbh_u32_e32 v18, v22
	v_alignbit_b32 v17, v19, v15, 30
	v_min_u32_e32 v18, 32, v18
	v_alignbit_b32 v14, v15, v14, 30
	v_xor_b32_e32 v17, v17, v25
	v_sub_u32_e32 v19, 31, v18
	v_xor_b32_e32 v14, v14, v25
	v_alignbit_b32 v20, v22, v17, v19
	v_alignbit_b32 v14, v17, v14, v19
	v_alignbit_b32 v15, v20, v14, 9
	v_ffbh_u32_e32 v17, v15
	v_min_u32_e32 v17, 32, v17
	v_lshrrev_b32_e32 v23, 29, v16
	v_not_b32_e32 v19, v17
	v_alignbit_b32 v14, v15, v14, v19
	v_lshlrev_b32_e32 v15, 31, v23
	v_or_b32_e32 v19, 0x33000000, v15
	v_add_lshl_u32 v17, v17, v18, 23
	v_lshrrev_b32_e32 v14, 9, v14
	v_sub_u32_e32 v17, v19, v17
	v_or_b32_e32 v15, 0.5, v15
	v_lshlrev_b32_e32 v18, 23, v18
	v_or_b32_e32 v14, v17, v14
	v_lshrrev_b32_e32 v17, 9, v20
	v_sub_u32_e32 v15, v15, v18
	v_or_b32_e32 v15, v17, v15
	s_mov_b32 s0, 0x3fc90fda
	v_mul_f32_e32 v17, 0x3fc90fda, v15
	v_fma_f32 v18, v15, s0, -v17
	v_fmamk_f32 v15, v15, 0x33a22168, v18
	v_fmac_f32_e32 v15, 0x3fc90fda, v14
	v_lshrrev_b32_e32 v14, 30, v16
	v_add_f32_e32 v15, v17, v15
	v_add_u32_e32 v14, v24, v14
	s_andn2_saveexec_b64 s[0:1], s[16:17]
	s_cbranch_execnz .LBB19_92
	s_branch .LBB19_93
.LBB19_91:
	s_andn2_saveexec_b64 s[0:1], s[16:17]
	s_cbranch_execz .LBB19_93
.LBB19_92:
	s_mov_b32 s2, 0x3f22f983
	v_mul_f32_e64 v14, |v5|, s2
	v_rndne_f32_e32 v15, v14
	s_mov_b32 s2, 0xbfc90fda
	v_cvt_i32_f32_e32 v14, v15
	v_fma_f32 v16, v15, s2, |v5|
	v_fmamk_f32 v16, v15, 0xb3a22168, v16
	v_fmamk_f32 v15, v15, 0xa7c234c4, v16
.LBB19_93:
	s_or_b64 exec, exec, s[0:1]
	v_div_scale_f32 v16, s[0:1], v9, v9, 1.0
	v_rcp_f32_e32 v17, v16
	v_div_scale_f32 v18, vcc, 1.0, v9, 1.0
	v_xor_b32_e32 v7, v7, v5
	v_fma_f32 v19, -v16, v17, 1.0
	v_fmac_f32_e32 v17, v19, v17
	v_mul_f32_e32 v19, v18, v17
	v_fma_f32 v20, -v16, v19, v18
	v_fmac_f32_e32 v19, v20, v17
	v_fma_f32 v16, -v16, v19, v18
	v_div_fmas_f32 v16, v16, v17, v19
	v_div_fixup_f32 v9, v16, v9, 1.0
	v_mul_f32_e32 v16, v9, v9
	v_mov_b32_e32 v17, 0xbe06db67
	v_mul_f32_e32 v19, v13, v13
	v_mov_b32_e32 v20, 0x3c0881c4
	v_fmac_f32_e32 v17, 0, v16
	v_mov_b32_e32 v18, 0x4155b259
	v_fmamk_f32 v21, v19, 0xb94c1982, v20
	v_fmaak_f32 v17, v16, v17, 0xbf205f75
	v_fmac_f32_e32 v18, 0, v16
	v_fmaak_f32 v21, v19, v21, 0xbe2aaa9d
	v_fmaak_f32 v17, v16, v17, 0xbf3172ce
	v_fmaak_f32 v18, v16, v18, 0x4202bae2
	v_mul_f32_e32 v21, v19, v21
	v_fmaak_f32 v17, v16, v17, 0xbe8f3f52
	v_fmaak_f32 v18, v16, v18, 0x41d5e4c5
	v_fmac_f32_e32 v13, v13, v21
	v_mov_b32_e32 v21, 0xbab64f3b
	v_fmaak_f32 v17, v16, v17, 0xbd497b78
	v_fmaak_f32 v18, v16, v18, 0x4112fe41
	v_fmamk_f32 v23, v19, 0x37d75334, v21
	v_fmaak_f32 v17, v16, v17, 0xbb85200e
	v_fmaak_f32 v18, v16, v18, 0x3fbcd65a
	;; [unrolled: 1-line block ×8, first 2 shown]
	v_fma_f32 v19, v19, v23, 1.0
	v_and_b32_e32 v23, 1, v11
	v_lshlrev_b32_e32 v11, 30, v11
	v_fmaak_f32 v18, v16, v18, 0x389e46bd
	v_fmaak_f32 v17, v16, v17, 0xb29020e8
	v_cmp_eq_u32_e32 vcc, 0, v23
	v_and_b32_e32 v11, 0x80000000, v11
	v_fmaak_f32 v18, v16, v18, 0x34f295ce
	v_cndmask_b32_e32 v13, v19, v13, vcc
	v_xor_b32_e32 v7, v7, v11
	v_mul_f32_e32 v11, v16, v17
	v_xor_b32_e32 v7, v7, v13
	v_div_scale_f32 v13, s[0:1], v18, v18, v11
	v_rcp_f32_e32 v17, v13
	s_movk_i32 s2, 0x1f8
	v_mov_b32_e32 v19, 0x7fc00000
	v_cmp_class_f32_e64 s[0:1], v5, s2
	s_mov_b32 s2, 0xf800000
	s_mov_b32 s5, 0x3f106ebb
	v_cndmask_b32_e64 v5, v19, v7, s[0:1]
	v_fma_f32 v7, -v13, v17, 1.0
	v_fmac_f32_e32 v17, v7, v17
	v_div_scale_f32 v7, vcc, v11, v18, v11
	v_mul_f32_e32 v23, v7, v17
	v_fma_f32 v26, -v13, v23, v7
	v_fmac_f32_e32 v23, v26, v17
	v_fma_f32 v7, -v13, v23, v7
	v_div_fmas_f32 v7, v7, v17, v23
	v_mul_f32_e32 v17, 0x4f800000, v3
	v_cmp_gt_f32_e32 vcc, s2, v3
	v_div_fixup_f32 v7, v7, v18, v11
	v_mov_b32_e32 v11, 0x3ca1a92f
	v_cndmask_b32_e32 v3, v3, v17, vcc
	v_sqrt_f32_e32 v17, v3
	v_fmac_f32_e32 v11, 0, v16
	v_mov_b32_e32 v13, 0x4114f160
	v_fmaak_f32 v11, v16, v11, 0x3ec83ea8
	v_add_u32_e32 v18, -1, v17
	v_fma_f32 v23, -v18, v17, v3
	v_cmp_ge_f32_e64 s[2:3], 0, v23
	v_add_u32_e32 v23, 1, v17
	v_fmac_f32_e32 v13, 0, v16
	v_cndmask_b32_e64 v18, v17, v18, s[2:3]
	v_fma_f32 v17, -v23, v17, v3
	v_cmp_lt_f32_e64 s[2:3], 0, v17
	v_fmaak_f32 v11, v16, v11, 0x3f886c1a
	v_fmaak_f32 v13, v16, v13, 0x419eaeae
	v_cndmask_b32_e64 v17, v18, v23, s[2:3]
	v_mul_f32_e32 v18, 0x37800000, v17
	v_cndmask_b32_e32 v17, v17, v18, vcc
	v_mov_b32_e32 v18, 0x260
	v_fmaak_f32 v11, v16, v11, 0x3f706d65
	v_fmaak_f32 v13, v16, v13, 0x417908dc
	v_cmp_class_f32_e32 vcc, v3, v18
	v_fmaak_f32 v11, v16, v11, 0x3eb3f34e
	v_fmaak_f32 v13, v16, v13, 0x40af4271
	v_cndmask_b32_e32 v3, v17, v3, vcc
	v_fmaak_f32 v11, v16, v11, 0x3d81d209
	v_fmaak_f32 v13, v16, v13, 0x3f744c96
	v_div_scale_f32 v17, s[2:3], v3, v3, s5
	v_fmaak_f32 v11, v16, v11, 0x3bbff4d0
	v_fmaak_f32 v13, v16, v13, 0x3db110ef
	v_rcp_f32_e32 v18, v17
	v_fmaak_f32 v11, v16, v11, 0x39944bb3
	v_fmaak_f32 v13, v16, v13, 0x3b873823
	;; [unrolled: 1-line block ×8, first 2 shown]
	v_fma_f32 v16, -v17, v18, 1.0
	v_fmac_f32_e32 v18, v16, v18
	v_div_scale_f32 v16, vcc, s5, v3, s5
	v_mul_f32_e32 v23, v16, v18
	v_fma_f32 v26, -v17, v23, v16
	v_fmac_f32_e32 v23, v26, v18
	v_fma_f32 v16, -v17, v23, v16
	v_div_fmas_f32 v16, v16, v18, v23
	v_div_fixup_f32 v3, v16, v3, s5
	v_mul_f32_e32 v16, v15, v15
	v_mov_b32_e32 v22, 0xbe2aaa9d
	v_fmac_f32_e32 v20, 0xb94c1982, v16
	v_mov_b32_e32 v24, 0x3d2aabf7
	v_fmac_f32_e32 v22, v16, v20
	v_fmac_f32_e32 v21, 0x37d75334, v16
	v_mov_b32_e32 v25, 0xbf000004
	v_mul_f32_e32 v17, v16, v22
	v_fmac_f32_e32 v24, v16, v21
	v_fmac_f32_e32 v15, v15, v17
	;; [unrolled: 1-line block ×3, first 2 shown]
	v_and_b32_e32 v17, 1, v14
	v_mul_f32_e32 v9, v9, v11
	v_fma_f32 v16, v16, v25, 1.0
	v_cmp_eq_u32_e32 vcc, 0, v17
	v_div_scale_f32 v11, s[2:3], v13, v13, v9
	s_nop 0
	v_cndmask_b32_e64 v15, -v15, v16, vcc
	v_rcp_f32_e32 v16, v11
	s_brev_b32 s4, 1
	v_lshlrev_b32_e32 v14, 30, v14
	v_bitop3_b32 v14, v14, v15, s4 bitop3:0x6c
	v_fma_f32 v15, -v11, v16, 1.0
	v_fmac_f32_e32 v16, v15, v16
	v_div_scale_f32 v15, vcc, v9, v13, v9
	v_mul_f32_e32 v17, v15, v16
	v_fma_f32 v18, -v11, v17, v15
	v_fmac_f32_e32 v17, v18, v16
	v_fma_f32 v11, -v11, v17, v15
	v_div_fmas_f32 v11, v11, v16, v17
	v_cndmask_b32_e64 v14, v19, v14, s[0:1]
	v_div_fixup_f32 v9, v11, v13, v9
	v_add_f32_e32 v7, 1.0, v7
	v_mul_f32_e32 v9, v9, v14
	v_fma_f32 v5, v7, v5, -v9
	v_mul_f32_e32 v3, v3, v5
.LBB19_94:
	s_or_b64 exec, exec, s[14:15]
.LBB19_95:
	s_or_b64 exec, exec, s[12:13]
.LBB19_96:
	s_or_b64 exec, exec, s[6:7]
	global_load_dword v13, v12, s[10:11]
	s_waitcnt vmcnt(0)
	v_cmp_neq_f32_e64 s[0:1], |v13|, s20
	s_and_saveexec_b64 s[6:7], s[0:1]
	s_cbranch_execz .LBB19_118
; %bb.97:
	s_mov_b32 s0, 0x42cfc8b4
	v_cmp_nlt_f32_e32 vcc, s0, v13
	v_mov_b32_e32 v1, 0
	s_and_saveexec_b64 s[12:13], vcc
	s_cbranch_execz .LBB19_117
; %bb.98:
	s_mov_b32 s0, 0xc005c28f
	v_cmp_ngt_f32_e32 vcc, s0, v13
                                        ; implicit-def: $vgpr1
	s_and_saveexec_b64 s[0:1], vcc
	s_xor_b64 s[2:3], exec, s[0:1]
	s_cbranch_execz .LBB19_106
; %bb.99:
	s_mov_b32 s0, 0x4005c28f
	v_cmp_nle_f32_e64 s[4:5], s0, v13
	v_cmp_le_f32_e32 vcc, s0, v13
	v_mov_b32_e32 v1, 0
	s_mov_b64 s[0:1], s[4:5]
	s_and_saveexec_b64 s[14:15], vcc
	s_cbranch_execz .LBB19_101
; %bb.100:
	s_mov_b32 s16, 0xf800000
	v_mul_f32_e32 v1, 0x4f800000, v13
	v_cmp_gt_f32_e32 vcc, s16, v13
	v_add_f32_e32 v7, v13, v13
	s_mov_b32 s17, 0x40400000
	v_cndmask_b32_e32 v1, v13, v1, vcc
	v_sqrt_f32_e32 v5, v1
	s_nop 0
	v_add_u32_e32 v9, -1, v5
	v_fma_f32 v11, -v9, v5, v1
	v_cmp_ge_f32_e64 s[0:1], 0, v11
	v_add_u32_e32 v11, 1, v5
	s_nop 0
	v_cndmask_b32_e64 v9, v5, v9, s[0:1]
	v_fma_f32 v5, -v11, v5, v1
	v_cmp_lt_f32_e64 s[0:1], 0, v5
	s_nop 1
	v_cndmask_b32_e64 v5, v9, v11, s[0:1]
	v_mul_f32_e32 v9, 0x37800000, v5
	v_cndmask_b32_e32 v5, v5, v9, vcc
	v_mov_b32_e32 v9, 0x260
	v_cmp_class_f32_e32 vcc, v1, v9
	s_nop 1
	v_cndmask_b32_e32 v1, v5, v1, vcc
	v_mul_f32_e32 v5, v7, v1
	v_div_scale_f32 v7, s[0:1], s17, s17, v5
	v_rcp_f32_e32 v11, v7
	s_nop 0
	v_fma_f32 v12, -v7, v11, 1.0
	v_fmac_f32_e32 v11, v12, v11
	v_div_scale_f32 v12, vcc, v5, s17, v5
	v_mul_f32_e32 v14, v12, v11
	v_fma_f32 v15, -v7, v14, v12
	v_fmac_f32_e32 v14, v15, v11
	v_fma_f32 v7, -v7, v14, v12
	v_div_fmas_f32 v7, v7, v11, v14
	v_div_fixup_f32 v5, v7, s17, v5
	v_div_scale_f32 v7, s[0:1], v5, v5, 1.0
	v_rcp_f32_e32 v11, v7
	s_mov_b32 s0, 0x3eb16d71
	s_mov_b32 s1, 0x3f114de0
	v_fma_f32 v12, -v7, v11, 1.0
	v_fmac_f32_e32 v11, v12, v11
	v_div_scale_f32 v12, vcc, 1.0, v5, 1.0
	v_mul_f32_e32 v14, v12, v11
	v_fma_f32 v15, -v7, v14, v12
	v_fmac_f32_e32 v14, v15, v11
	v_fma_f32 v7, -v7, v14, v12
	v_div_fmas_f32 v7, v7, v11, v14
	v_div_fixup_f32 v12, v7, v5, 1.0
	v_mul_f32_e32 v14, 0, v12
	v_pk_add_f32 v[14:15], v[14:15], s[0:1] op_sel_hi:[0,1]
	s_mov_b32 s0, 0x41401f1c
	s_mov_b32 s1, 0x416c19a0
	v_pk_fma_f32 v[14:15], v[12:13], v[14:15], s[0:1] op_sel_hi:[0,1,1]
	s_mov_b32 s0, 0x42988f28
	s_mov_b32 s1, 0x42a9071e
	v_pk_fma_f32 v[14:15], v[12:13], v[14:15], s[0:1] op_sel_hi:[0,1,1]
	;; [unrolled: 3-line block ×6, first 2 shown]
	v_pk_fma_f32 v[14:15], v[12:13], v[14:15], 1.0 op_sel_hi:[0,1,0]
	v_div_scale_f32 v7, s[0:1], v15, v15, v14
	v_rcp_f32_e32 v11, v7
	v_cmp_gt_f32_e64 s[0:1], s16, v1
	v_fma_f32 v12, -v7, v11, 1.0
	v_fmac_f32_e32 v11, v12, v11
	v_div_scale_f32 v12, vcc, v14, v15, v14
	v_mul_f32_e32 v16, v12, v11
	v_fma_f32 v17, -v7, v16, v12
	v_fmac_f32_e32 v16, v17, v11
	v_fma_f32 v7, -v7, v16, v12
	v_mul_f32_e32 v12, 0x4f800000, v1
	v_cndmask_b32_e64 v1, v1, v12, s[0:1]
	v_sqrt_f32_e32 v12, v1
	v_div_fmas_f32 v7, v7, v11, v16
	v_div_fixup_f32 v14, v7, v15, v14
	v_add_u32_e32 v7, -1, v12
	v_fma_f32 v11, -v7, v12, v1
	v_cmp_ge_f32_e32 vcc, 0, v11
	v_add_u32_e32 v11, 1, v12
	s_nop 0
	v_cndmask_b32_e32 v7, v12, v7, vcc
	v_fma_f32 v12, -v11, v12, v1
	v_cmp_lt_f32_e32 vcc, 0, v12
	s_nop 1
	v_cndmask_b32_e32 v7, v7, v11, vcc
	v_mul_f32_e32 v11, 0x37800000, v7
	v_cndmask_b32_e64 v7, v7, v11, s[0:1]
	v_cmp_class_f32_e32 vcc, v1, v9
	s_mov_b32 s0, 0x3fb8aa3b
	s_nop 0
	v_cndmask_b32_e32 v15, v7, v1, vcc
	v_mul_f32_e32 v1, 0x3fb8aa3b, v5
	v_fma_f32 v7, v5, s0, -v1
	v_rndne_f32_e32 v9, v1
	v_fmamk_f32 v7, v5, 0x32a5705f, v7
	v_sub_f32_e32 v1, v1, v9
	v_add_f32_e32 v1, v1, v7
	v_exp_f32_e32 v1, v1
	v_cvt_i32_f32_e32 v7, v9
	s_mov_b32 s0, 0x3f106ebb
	s_mov_b32 s1, 2.0
	v_pk_mul_f32 v[14:15], v[14:15], s[0:1]
	s_mov_b32 s0, 0xc2ce8ed0
	v_ldexp_f32 v1, v1, v7
	v_cmp_ngt_f32_e32 vcc, s0, v5
	s_mov_b32 s0, 0x42b17218
	v_mov_b32_e32 v7, 0x7f800000
	v_cndmask_b32_e32 v1, 0, v1, vcc
	v_cmp_nlt_f32_e32 vcc, s0, v5
	s_nop 1
	v_cndmask_b32_e32 v1, v7, v1, vcc
	v_mul_f32_e32 v1, v15, v1
	v_div_scale_f32 v5, s[0:1], v1, v1, v14
	v_rcp_f32_e32 v7, v5
	s_mov_b32 s0, 0x41052018
	v_fma_f32 v9, -v5, v7, 1.0
	v_fmac_f32_e32 v7, v9, v7
	v_div_scale_f32 v9, vcc, v14, v1, v14
	v_mul_f32_e32 v11, v9, v7
	v_fma_f32 v12, -v5, v11, v9
	v_fmac_f32_e32 v11, v12, v7
	v_fma_f32 v5, -v5, v11, v9
	v_div_fmas_f32 v5, v5, v7, v11
	v_cmp_nlt_f32_e32 vcc, s0, v13
	s_andn2_b64 s[0:1], s[4:5], exec
	s_and_b64 s[16:17], vcc, exec
	v_div_fixup_f32 v1, v5, v1, v14
	s_or_b64 s[0:1], s[0:1], s[16:17]
.LBB19_101:
	s_or_b64 exec, exec, s[14:15]
	s_and_saveexec_b64 s[14:15], s[0:1]
	s_cbranch_execz .LBB19_105
; %bb.102:
	v_mul_f32_e32 v5, v13, v13
	v_mul_f32_e32 v14, v13, v5
	v_mov_b32_e32 v15, v14
	s_mov_b64 s[16:17], 0
	v_mov_b32_e32 v5, 1.0
	v_mov_b32_e32 v12, 1.0
	;; [unrolled: 1-line block ×3, first 2 shown]
	s_brev_b32 s18, 44
	v_mov_b32_e32 v17, v13
.LBB19_103:                             ; =>This Inner Loop Header: Depth=1
	v_pk_mul_f32 v[16:17], v[14:15], v[16:17]
	v_add_f32_e32 v7, 1.0, v5
	v_add_f32_e32 v9, 1.0, v7
	v_div_scale_f32 v11, s[0:1], v7, v7, v16
	v_rcp_f32_e32 v19, v11
	v_div_scale_f32 v20, s[0:1], v9, v9, v17
	v_rcp_f32_e32 v22, v20
	v_fma_f32 v23, -v11, v19, 1.0
	v_div_scale_f32 v18, vcc, v16, v7, v16
	v_fmac_f32_e32 v19, v23, v19
	v_fma_f32 v23, -v20, v22, 1.0
	v_div_scale_f32 v21, s[0:1], v17, v9, v17
	v_mul_f32_e32 v24, v18, v19
	v_fmac_f32_e32 v22, v23, v22
	v_fma_f32 v23, -v11, v24, v18
	v_mul_f32_e32 v25, v21, v22
	v_fmac_f32_e32 v24, v23, v19
	v_fma_f32 v23, -v20, v25, v21
	v_fma_f32 v11, -v11, v24, v18
	v_fmac_f32_e32 v25, v23, v22
	v_div_fmas_f32 v11, v11, v19, v24
	v_fma_f32 v18, -v20, v25, v21
	s_mov_b64 vcc, s[0:1]
	v_div_fixup_f32 v7, v11, v7, v16
	v_div_fmas_f32 v11, v18, v22, v25
	v_add_f32_e32 v5, 1.0, v9
	v_div_fixup_f32 v11, v11, v9, v17
	v_div_scale_f32 v16, s[0:1], v9, v9, v7
	v_div_scale_f32 v18, s[20:21], v5, v5, v11
	v_rcp_f32_e32 v20, v16
	v_rcp_f32_e32 v21, v18
	v_div_scale_f32 v17, s[0:1], v7, v9, v7
	v_fma_f32 v22, -v16, v20, 1.0
	v_fma_f32 v23, -v18, v21, 1.0
	v_div_scale_f32 v19, vcc, v11, v5, v11
	v_fmac_f32_e32 v20, v22, v20
	v_fmac_f32_e32 v21, v23, v21
	v_mul_f32_e32 v22, v17, v20
	v_mul_f32_e32 v23, v19, v21
	v_fma_f32 v24, -v16, v22, v17
	v_fma_f32 v25, -v18, v23, v19
	v_fmac_f32_e32 v22, v24, v20
	v_fmac_f32_e32 v23, v25, v21
	v_fma_f32 v16, -v16, v22, v17
	v_fma_f32 v17, -v18, v23, v19
	v_div_fmas_f32 v17, v17, v21, v23
	s_mov_b64 vcc, s[0:1]
	v_div_fixup_f32 v17, v17, v5, v11
	v_div_fmas_f32 v11, v16, v20, v22
	v_div_fixup_f32 v16, v11, v9, v7
	v_pk_add_f32 v[12:13], v[12:13], v[16:17]
	s_nop 0
	v_div_scale_f32 v7, s[0:1], v12, v12, v16
	v_rcp_f32_e32 v9, v7
	v_div_scale_f32 v11, vcc, v16, v12, v16
	v_fma_f32 v18, -v7, v9, 1.0
	v_fmac_f32_e32 v9, v18, v9
	v_mul_f32_e32 v18, v11, v9
	v_fma_f32 v19, -v7, v18, v11
	v_fmac_f32_e32 v18, v19, v9
	v_fma_f32 v7, -v7, v18, v11
	v_div_fmas_f32 v7, v7, v9, v18
	v_div_fixup_f32 v7, v7, v12, v16
	v_cmp_ngt_f32_e64 s[0:1], |v7|, s18
	s_or_b64 s[16:17], s[0:1], s[16:17]
	s_andn2_b64 exec, exec, s[16:17]
	s_cbranch_execnz .LBB19_103
; %bb.104:
	s_or_b64 exec, exec, s[16:17]
	s_mov_b32 s0, 0x3eb5c63d
	s_mov_b32 s1, 0x3e8483fa
	v_pk_mul_f32 v[12:13], v[12:13], s[0:1]
	s_nop 0
	v_sub_f32_e32 v5, v12, v13
	v_cndmask_b32_e64 v1, v1, v5, s[4:5]
.LBB19_105:
	s_or_b64 exec, exec, s[14:15]
                                        ; implicit-def: $vgpr13
.LBB19_106:
	s_andn2_saveexec_b64 s[14:15], s[2:3]
	s_cbranch_execz .LBB19_116
; %bb.107:
	s_mov_b32 s0, 0x8f800000
	v_mul_f32_e32 v1, 0xcf800000, v13
	v_cmp_lt_f32_e32 vcc, s0, v13
	v_mul_f32_e32 v7, -2.0, v13
	s_mov_b32 s2, 0x40400000
	v_cndmask_b32_e64 v1, -v13, v1, vcc
	v_sqrt_f32_e32 v5, v1
	s_nop 0
	v_add_u32_e32 v9, -1, v5
	v_fma_f32 v11, -v9, v5, v1
	v_cmp_ge_f32_e64 s[0:1], 0, v11
	v_add_u32_e32 v11, 1, v5
	s_nop 0
	v_cndmask_b32_e64 v9, v5, v9, s[0:1]
	v_fma_f32 v5, -v11, v5, v1
	v_cmp_lt_f32_e64 s[0:1], 0, v5
	s_nop 1
	v_cndmask_b32_e64 v5, v9, v11, s[0:1]
	v_mul_f32_e32 v9, 0x37800000, v5
	v_cndmask_b32_e32 v5, v5, v9, vcc
	v_mov_b32_e32 v9, 0x260
	v_cmp_class_f32_e32 vcc, v1, v9
	s_nop 1
	v_cndmask_b32_e32 v1, v5, v1, vcc
	v_mul_f32_e32 v5, v7, v1
	v_div_scale_f32 v7, s[0:1], s2, s2, v5
	v_rcp_f32_e32 v9, v7
	s_brev_b32 s0, 18
	v_fma_f32 v11, -v7, v9, 1.0
	v_fmac_f32_e32 v9, v11, v9
	v_div_scale_f32 v11, vcc, v5, s2, v5
	v_mul_f32_e32 v12, v11, v9
	v_fma_f32 v13, -v7, v12, v11
	v_fmac_f32_e32 v12, v13, v9
	v_fma_f32 v7, -v7, v12, v11
	v_div_fmas_f32 v7, v7, v9, v12
	v_div_fixup_f32 v9, v7, s2, v5
	v_add_f32_e32 v5, 0x3f490fdb, v9
	v_and_b32_e32 v7, 0x7fffffff, v5
	v_cmp_nlt_f32_e64 s[16:17], |v5|, s0
                                        ; implicit-def: $vgpr11
                                        ; implicit-def: $vgpr12
	s_and_saveexec_b64 s[0:1], s[16:17]
	s_xor_b64 s[18:19], exec, s[0:1]
	s_cbranch_execz .LBB19_109
; %bb.108:
	v_lshrrev_b32_e32 v11, 23, v7
	v_add_u32_e32 v11, 0xffffff88, v11
	v_not_b32_e32 v12, 63
	v_cmp_lt_u32_e32 vcc, 63, v11
	s_mov_b32 s4, 0xfe5163ab
	v_mov_b32_e32 v15, 0
	v_cndmask_b32_e32 v12, 0, v12, vcc
	v_add_u32_e32 v11, v12, v11
	v_not_b32_e32 v12, 31
	v_cmp_lt_u32_e64 s[0:1], 31, v11
	s_nop 1
	v_cndmask_b32_e64 v13, 0, v12, s[0:1]
	v_add_u32_e32 v11, v13, v11
	v_cmp_lt_u32_e64 s[2:3], 31, v11
	s_nop 1
	v_cndmask_b32_e64 v12, 0, v12, s[2:3]
	v_add_u32_e32 v11, v12, v11
	v_and_b32_e32 v12, 0x7fffff, v7
	v_or_b32_e32 v26, 0x800000, v12
	v_mad_u64_u32 v[12:13], s[4:5], v26, s4, 0
	v_mov_b32_e32 v14, v13
	s_mov_b32 s4, 0x3c439041
	v_mad_u64_u32 v[16:17], s[4:5], v26, s4, v[14:15]
	v_mov_b32_e32 v14, v17
	s_mov_b32 s4, 0xdb629599
	;; [unrolled: 3-line block ×6, first 2 shown]
	v_mad_u64_u32 v[14:15], s[4:5], v26, s4, v[14:15]
	v_cndmask_b32_e32 v13, v24, v20, vcc
	v_cndmask_b32_e32 v14, v14, v22, vcc
	;; [unrolled: 1-line block ×3, first 2 shown]
	v_cndmask_b32_e64 v17, v14, v13, s[0:1]
	v_cndmask_b32_e64 v14, v15, v14, s[0:1]
	v_cndmask_b32_e32 v15, v22, v18, vcc
	v_cndmask_b32_e64 v13, v13, v15, s[0:1]
	v_cndmask_b32_e64 v14, v14, v17, s[2:3]
	;; [unrolled: 1-line block ×3, first 2 shown]
	v_sub_u32_e32 v19, 32, v11
	v_alignbit_b32 v21, v14, v17, v19
	v_cmp_eq_u32_e64 s[4:5], 0, v11
	v_cndmask_b32_e32 v12, v18, v12, vcc
	s_nop 0
	v_cndmask_b32_e64 v11, v21, v14, s[4:5]
	v_cndmask_b32_e32 v14, v20, v16, vcc
	v_cndmask_b32_e64 v15, v15, v14, s[0:1]
	v_cndmask_b32_e64 v13, v13, v15, s[2:3]
	v_alignbit_b32 v16, v17, v13, v19
	v_cndmask_b32_e64 v16, v16, v17, s[4:5]
	v_bfe_u32 v21, v11, 29, 1
	v_cndmask_b32_e64 v12, v14, v12, s[0:1]
	v_alignbit_b32 v17, v11, v16, 30
	v_sub_u32_e32 v22, 0, v21
	v_cndmask_b32_e64 v12, v15, v12, s[2:3]
	v_xor_b32_e32 v17, v17, v22
	v_alignbit_b32 v14, v13, v12, v19
	v_cndmask_b32_e64 v13, v14, v13, s[4:5]
	v_ffbh_u32_e32 v15, v17
	v_alignbit_b32 v14, v16, v13, 30
	v_min_u32_e32 v15, 32, v15
	v_alignbit_b32 v12, v13, v12, 30
	v_xor_b32_e32 v14, v14, v22
	v_sub_u32_e32 v16, 31, v15
	v_xor_b32_e32 v12, v12, v22
	v_alignbit_b32 v17, v17, v14, v16
	v_alignbit_b32 v12, v14, v12, v16
	;; [unrolled: 1-line block ×3, first 2 shown]
	v_ffbh_u32_e32 v14, v13
	v_min_u32_e32 v14, 32, v14
	v_lshrrev_b32_e32 v20, 29, v11
	v_not_b32_e32 v16, v14
	v_alignbit_b32 v12, v13, v12, v16
	v_lshlrev_b32_e32 v13, 31, v20
	v_or_b32_e32 v16, 0x33000000, v13
	v_add_lshl_u32 v14, v14, v15, 23
	v_lshrrev_b32_e32 v12, 9, v12
	v_sub_u32_e32 v14, v16, v14
	v_or_b32_e32 v13, 0.5, v13
	v_lshlrev_b32_e32 v15, 23, v15
	v_or_b32_e32 v12, v14, v12
	v_lshrrev_b32_e32 v14, 9, v17
	v_sub_u32_e32 v13, v13, v15
	v_or_b32_e32 v13, v14, v13
	s_mov_b32 s0, 0x3fc90fda
	v_mul_f32_e32 v14, 0x3fc90fda, v13
	v_fma_f32 v15, v13, s0, -v14
	v_fmamk_f32 v13, v13, 0x33a22168, v15
	v_fmac_f32_e32 v13, 0x3fc90fda, v12
	v_lshrrev_b32_e32 v11, 30, v11
	v_add_f32_e32 v12, v14, v13
	v_add_u32_e32 v11, v21, v11
	s_andn2_saveexec_b64 s[0:1], s[18:19]
	s_cbranch_execz .LBB19_111
	s_branch .LBB19_110
.LBB19_109:
	s_andn2_saveexec_b64 s[0:1], s[18:19]
	s_cbranch_execz .LBB19_111
.LBB19_110:
	s_mov_b32 s2, 0x3f22f983
	v_mul_f32_e64 v11, |v5|, s2
	v_rndne_f32_e32 v12, v11
	s_mov_b32 s2, 0xbfc90fda
	v_cvt_i32_f32_e32 v11, v12
	v_fma_f32 v13, v12, s2, |v5|
	v_fmamk_f32 v13, v12, 0xb3a22168, v13
	v_fmamk_f32 v12, v12, 0xa7c234c4, v13
.LBB19_111:
	s_or_b64 exec, exec, s[0:1]
                                        ; implicit-def: $vgpr13
                                        ; implicit-def: $vgpr14
	s_and_saveexec_b64 s[0:1], s[16:17]
	s_xor_b64 s[16:17], exec, s[0:1]
	s_cbranch_execz .LBB19_113
; %bb.112:
	v_lshrrev_b32_e32 v13, 23, v7
	v_add_u32_e32 v13, 0xffffff88, v13
	v_not_b32_e32 v14, 63
	v_cmp_lt_u32_e32 vcc, 63, v13
	s_mov_b32 s4, 0xfe5163ab
	v_mov_b32_e32 v17, 0
	v_cndmask_b32_e32 v14, 0, v14, vcc
	v_add_u32_e32 v13, v14, v13
	v_not_b32_e32 v14, 31
	v_cmp_lt_u32_e64 s[0:1], 31, v13
	s_nop 1
	v_cndmask_b32_e64 v15, 0, v14, s[0:1]
	v_add_u32_e32 v13, v15, v13
	v_cmp_lt_u32_e64 s[2:3], 31, v13
	s_nop 1
	v_cndmask_b32_e64 v14, 0, v14, s[2:3]
	v_add_u32_e32 v13, v14, v13
	v_and_b32_e32 v14, 0x7fffff, v7
	v_or_b32_e32 v28, 0x800000, v14
	v_mad_u64_u32 v[14:15], s[4:5], v28, s4, 0
	v_mov_b32_e32 v16, v15
	s_mov_b32 s4, 0x3c439041
	v_mad_u64_u32 v[18:19], s[4:5], v28, s4, v[16:17]
	v_mov_b32_e32 v16, v19
	s_mov_b32 s4, 0xdb629599
	;; [unrolled: 3-line block ×6, first 2 shown]
	v_mad_u64_u32 v[16:17], s[4:5], v28, s4, v[16:17]
	v_cndmask_b32_e32 v15, v26, v22, vcc
	v_cndmask_b32_e32 v16, v16, v24, vcc
	;; [unrolled: 1-line block ×3, first 2 shown]
	v_cndmask_b32_e64 v19, v16, v15, s[0:1]
	v_cndmask_b32_e64 v16, v17, v16, s[0:1]
	v_cndmask_b32_e32 v17, v24, v20, vcc
	v_cndmask_b32_e64 v15, v15, v17, s[0:1]
	v_cndmask_b32_e64 v16, v16, v19, s[2:3]
	;; [unrolled: 1-line block ×3, first 2 shown]
	v_sub_u32_e32 v21, 32, v13
	v_alignbit_b32 v23, v16, v19, v21
	v_cmp_eq_u32_e64 s[4:5], 0, v13
	v_cndmask_b32_e32 v14, v20, v14, vcc
	s_nop 0
	v_cndmask_b32_e64 v13, v23, v16, s[4:5]
	v_cndmask_b32_e32 v16, v22, v18, vcc
	v_cndmask_b32_e64 v17, v17, v16, s[0:1]
	v_cndmask_b32_e64 v15, v15, v17, s[2:3]
	v_alignbit_b32 v18, v19, v15, v21
	v_cndmask_b32_e64 v18, v18, v19, s[4:5]
	v_bfe_u32 v23, v13, 29, 1
	v_cndmask_b32_e64 v14, v16, v14, s[0:1]
	v_alignbit_b32 v19, v13, v18, 30
	v_sub_u32_e32 v24, 0, v23
	v_cndmask_b32_e64 v14, v17, v14, s[2:3]
	v_xor_b32_e32 v19, v19, v24
	v_alignbit_b32 v16, v15, v14, v21
	v_cndmask_b32_e64 v15, v16, v15, s[4:5]
	v_ffbh_u32_e32 v17, v19
	v_alignbit_b32 v16, v18, v15, 30
	v_min_u32_e32 v17, 32, v17
	v_alignbit_b32 v14, v15, v14, 30
	v_xor_b32_e32 v16, v16, v24
	v_sub_u32_e32 v18, 31, v17
	v_xor_b32_e32 v14, v14, v24
	v_alignbit_b32 v19, v19, v16, v18
	v_alignbit_b32 v14, v16, v14, v18
	;; [unrolled: 1-line block ×3, first 2 shown]
	v_ffbh_u32_e32 v16, v15
	v_min_u32_e32 v16, 32, v16
	v_lshrrev_b32_e32 v22, 29, v13
	v_not_b32_e32 v18, v16
	v_alignbit_b32 v14, v15, v14, v18
	v_lshlrev_b32_e32 v15, 31, v22
	v_or_b32_e32 v18, 0x33000000, v15
	v_add_lshl_u32 v16, v16, v17, 23
	v_lshrrev_b32_e32 v14, 9, v14
	v_sub_u32_e32 v16, v18, v16
	v_or_b32_e32 v15, 0.5, v15
	v_lshlrev_b32_e32 v17, 23, v17
	v_or_b32_e32 v14, v16, v14
	v_lshrrev_b32_e32 v16, 9, v19
	v_sub_u32_e32 v15, v15, v17
	v_or_b32_e32 v15, v16, v15
	s_mov_b32 s0, 0x3fc90fda
	v_mul_f32_e32 v16, 0x3fc90fda, v15
	v_fma_f32 v17, v15, s0, -v16
	v_fmamk_f32 v15, v15, 0x33a22168, v17
	v_fmac_f32_e32 v15, 0x3fc90fda, v14
	v_lshrrev_b32_e32 v13, 30, v13
	v_add_f32_e32 v14, v16, v15
	v_add_u32_e32 v13, v23, v13
	s_andn2_saveexec_b64 s[0:1], s[16:17]
	s_cbranch_execnz .LBB19_114
	s_branch .LBB19_115
.LBB19_113:
	s_andn2_saveexec_b64 s[0:1], s[16:17]
	s_cbranch_execz .LBB19_115
.LBB19_114:
	s_mov_b32 s2, 0x3f22f983
	v_mul_f32_e64 v13, |v5|, s2
	v_rndne_f32_e32 v14, v13
	s_mov_b32 s2, 0xbfc90fda
	v_cvt_i32_f32_e32 v13, v14
	v_fma_f32 v15, v14, s2, |v5|
	v_fmamk_f32 v15, v14, 0xb3a22168, v15
	v_fmamk_f32 v14, v14, 0xa7c234c4, v15
.LBB19_115:
	s_or_b64 exec, exec, s[0:1]
	v_div_scale_f32 v15, s[0:1], v9, v9, 1.0
	v_rcp_f32_e32 v16, v15
	v_div_scale_f32 v17, vcc, 1.0, v9, 1.0
	v_xor_b32_e32 v7, v7, v5
	v_fma_f32 v18, -v15, v16, 1.0
	v_fmac_f32_e32 v16, v18, v16
	v_mul_f32_e32 v18, v17, v16
	v_fma_f32 v19, -v15, v18, v17
	v_fmac_f32_e32 v18, v19, v16
	v_fma_f32 v15, -v15, v18, v17
	v_div_fmas_f32 v15, v15, v16, v18
	v_div_fixup_f32 v9, v15, v9, 1.0
	v_mul_f32_e32 v15, v9, v9
	v_mov_b32_e32 v16, 0xbe06db67
	v_mul_f32_e32 v18, v12, v12
	v_mov_b32_e32 v19, 0x3c0881c4
	v_fmac_f32_e32 v16, 0, v15
	v_mov_b32_e32 v17, 0x4155b259
	v_fmamk_f32 v20, v18, 0xb94c1982, v19
	v_fmaak_f32 v16, v15, v16, 0xbf205f75
	v_fmac_f32_e32 v17, 0, v15
	v_fmaak_f32 v20, v18, v20, 0xbe2aaa9d
	v_fmaak_f32 v16, v15, v16, 0xbf3172ce
	;; [unrolled: 1-line block ×3, first 2 shown]
	v_mul_f32_e32 v20, v18, v20
	v_fmaak_f32 v16, v15, v16, 0xbe8f3f52
	v_fmaak_f32 v17, v15, v17, 0x41d5e4c5
	v_fmac_f32_e32 v12, v12, v20
	v_mov_b32_e32 v20, 0xbab64f3b
	v_fmaak_f32 v16, v15, v16, 0xbd497b78
	v_fmaak_f32 v17, v15, v17, 0x4112fe41
	v_fmamk_f32 v22, v18, 0x37d75334, v20
	v_fmaak_f32 v16, v15, v16, 0xbb85200e
	v_fmaak_f32 v17, v15, v17, 0x3fbcd65a
	;; [unrolled: 1-line block ×8, first 2 shown]
	v_fma_f32 v18, v18, v22, 1.0
	v_and_b32_e32 v22, 1, v11
	v_lshlrev_b32_e32 v11, 30, v11
	v_fmaak_f32 v17, v15, v17, 0x389e46bd
	v_fmaak_f32 v16, v15, v16, 0xb29020e8
	v_cmp_eq_u32_e32 vcc, 0, v22
	v_and_b32_e32 v11, 0x80000000, v11
	v_fmaak_f32 v17, v15, v17, 0x34f295ce
	v_cndmask_b32_e32 v12, v18, v12, vcc
	v_xor_b32_e32 v7, v7, v11
	v_mul_f32_e32 v11, v15, v16
	v_xor_b32_e32 v7, v7, v12
	v_div_scale_f32 v12, s[0:1], v17, v17, v11
	v_rcp_f32_e32 v16, v12
	s_movk_i32 s2, 0x1f8
	v_mov_b32_e32 v18, 0x7fc00000
	v_cmp_class_f32_e64 s[0:1], v5, s2
	s_mov_b32 s2, 0xf800000
	s_mov_b32 s5, 0x3f106ebb
	v_cndmask_b32_e64 v5, v18, v7, s[0:1]
	v_fma_f32 v7, -v12, v16, 1.0
	v_fmac_f32_e32 v16, v7, v16
	v_div_scale_f32 v7, vcc, v11, v17, v11
	v_mul_f32_e32 v22, v7, v16
	v_fma_f32 v25, -v12, v22, v7
	v_fmac_f32_e32 v22, v25, v16
	v_fma_f32 v7, -v12, v22, v7
	v_div_fmas_f32 v7, v7, v16, v22
	v_mul_f32_e32 v16, 0x4f800000, v1
	v_cmp_gt_f32_e32 vcc, s2, v1
	v_div_fixup_f32 v7, v7, v17, v11
	v_mov_b32_e32 v11, 0x3ca1a92f
	v_cndmask_b32_e32 v1, v1, v16, vcc
	v_sqrt_f32_e32 v16, v1
	v_fmac_f32_e32 v11, 0, v15
	v_mov_b32_e32 v12, 0x4114f160
	v_fmaak_f32 v11, v15, v11, 0x3ec83ea8
	v_add_u32_e32 v17, -1, v16
	v_fma_f32 v22, -v17, v16, v1
	v_cmp_ge_f32_e64 s[2:3], 0, v22
	v_add_u32_e32 v22, 1, v16
	v_fmac_f32_e32 v12, 0, v15
	v_cndmask_b32_e64 v17, v16, v17, s[2:3]
	v_fma_f32 v16, -v22, v16, v1
	v_cmp_lt_f32_e64 s[2:3], 0, v16
	v_fmaak_f32 v11, v15, v11, 0x3f886c1a
	v_fmaak_f32 v12, v15, v12, 0x419eaeae
	v_cndmask_b32_e64 v16, v17, v22, s[2:3]
	v_mul_f32_e32 v17, 0x37800000, v16
	v_cndmask_b32_e32 v16, v16, v17, vcc
	v_mov_b32_e32 v17, 0x260
	v_fmaak_f32 v11, v15, v11, 0x3f706d65
	v_fmaak_f32 v12, v15, v12, 0x417908dc
	v_cmp_class_f32_e32 vcc, v1, v17
	v_fmaak_f32 v11, v15, v11, 0x3eb3f34e
	v_fmaak_f32 v12, v15, v12, 0x40af4271
	v_cndmask_b32_e32 v1, v16, v1, vcc
	v_fmaak_f32 v11, v15, v11, 0x3d81d209
	v_fmaak_f32 v12, v15, v12, 0x3f744c96
	v_div_scale_f32 v16, s[2:3], v1, v1, s5
	v_fmaak_f32 v11, v15, v11, 0x3bbff4d0
	v_fmaak_f32 v12, v15, v12, 0x3db110ef
	v_rcp_f32_e32 v17, v16
	v_fmaak_f32 v11, v15, v11, 0x39944bb3
	v_fmaak_f32 v12, v15, v12, 0x3b873823
	;; [unrolled: 1-line block ×8, first 2 shown]
	v_fma_f32 v15, -v16, v17, 1.0
	v_fmac_f32_e32 v17, v15, v17
	v_div_scale_f32 v15, vcc, s5, v1, s5
	v_mul_f32_e32 v22, v15, v17
	v_fma_f32 v25, -v16, v22, v15
	v_fmac_f32_e32 v22, v25, v17
	v_fma_f32 v15, -v16, v22, v15
	v_div_fmas_f32 v15, v15, v17, v22
	v_div_fixup_f32 v1, v15, v1, s5
	v_mul_f32_e32 v15, v14, v14
	v_mov_b32_e32 v21, 0xbe2aaa9d
	v_fmac_f32_e32 v19, 0xb94c1982, v15
	v_mov_b32_e32 v23, 0x3d2aabf7
	v_fmac_f32_e32 v21, v15, v19
	v_fmac_f32_e32 v20, 0x37d75334, v15
	v_mov_b32_e32 v24, 0xbf000004
	v_mul_f32_e32 v16, v15, v21
	v_fmac_f32_e32 v23, v15, v20
	v_fmac_f32_e32 v14, v14, v16
	;; [unrolled: 1-line block ×3, first 2 shown]
	v_and_b32_e32 v16, 1, v13
	v_mul_f32_e32 v9, v9, v11
	v_fma_f32 v15, v15, v24, 1.0
	v_cmp_eq_u32_e32 vcc, 0, v16
	v_div_scale_f32 v11, s[2:3], v12, v12, v9
	s_nop 0
	v_cndmask_b32_e64 v14, -v14, v15, vcc
	v_rcp_f32_e32 v15, v11
	s_brev_b32 s4, 1
	v_lshlrev_b32_e32 v13, 30, v13
	v_bitop3_b32 v13, v13, v14, s4 bitop3:0x6c
	v_fma_f32 v14, -v11, v15, 1.0
	v_fmac_f32_e32 v15, v14, v15
	v_div_scale_f32 v14, vcc, v9, v12, v9
	v_mul_f32_e32 v16, v14, v15
	v_fma_f32 v17, -v11, v16, v14
	v_fmac_f32_e32 v16, v17, v15
	v_fma_f32 v11, -v11, v16, v14
	v_div_fmas_f32 v11, v11, v15, v16
	v_cndmask_b32_e64 v13, v18, v13, s[0:1]
	v_div_fixup_f32 v9, v11, v12, v9
	v_add_f32_e32 v7, 1.0, v7
	v_mul_f32_e32 v9, v9, v13
	v_fma_f32 v5, v7, v5, -v9
	v_mul_f32_e32 v1, v1, v5
.LBB19_116:
	s_or_b64 exec, exec, s[14:15]
.LBB19_117:
	s_or_b64 exec, exec, s[12:13]
.LBB19_118:
	s_or_b64 exec, exec, s[6:7]
	global_load_dword v11, v10, s[10:11]
	s_mov_b32 s20, 0x7f800000
	v_mov_b32_e32 v5, 0x7fc00000
	v_mov_b32_e32 v7, 0x7fc00000
	s_waitcnt vmcnt(0)
	v_cmp_neq_f32_e64 s[0:1], |v11|, s20
	s_and_saveexec_b64 s[6:7], s[0:1]
	s_cbranch_execz .LBB19_140
; %bb.119:
	s_mov_b32 s0, 0x42cfc8b4
	v_cmp_nlt_f32_e32 vcc, s0, v11
	v_mov_b32_e32 v7, 0
	s_and_saveexec_b64 s[12:13], vcc
	s_cbranch_execz .LBB19_139
; %bb.120:
	s_mov_b32 s0, 0xc005c28f
	v_cmp_ngt_f32_e32 vcc, s0, v11
                                        ; implicit-def: $vgpr7
	s_and_saveexec_b64 s[0:1], vcc
	s_xor_b64 s[2:3], exec, s[0:1]
	s_cbranch_execz .LBB19_128
; %bb.121:
	s_mov_b32 s0, 0x4005c28f
	v_cmp_nle_f32_e64 s[4:5], s0, v11
	v_cmp_le_f32_e32 vcc, s0, v11
	v_mov_b32_e32 v7, 0
	s_mov_b64 s[0:1], s[4:5]
	s_and_saveexec_b64 s[14:15], vcc
	s_cbranch_execz .LBB19_123
; %bb.122:
	s_mov_b32 s16, 0xf800000
	v_mul_f32_e32 v7, 0x4f800000, v11
	v_cmp_gt_f32_e32 vcc, s16, v11
	v_mov_b32_e32 v14, 0x260
	v_add_f32_e32 v10, v11, v11
	v_cndmask_b32_e32 v7, v11, v7, vcc
	v_sqrt_f32_e32 v9, v7
	s_mov_b32 s17, 0x40400000
	v_add_u32_e32 v12, -1, v9
	v_fma_f32 v13, -v12, v9, v7
	v_cmp_ge_f32_e64 s[0:1], 0, v13
	v_add_u32_e32 v13, 1, v9
	s_nop 0
	v_cndmask_b32_e64 v12, v9, v12, s[0:1]
	v_fma_f32 v9, -v13, v9, v7
	v_cmp_lt_f32_e64 s[0:1], 0, v9
	s_nop 1
	v_cndmask_b32_e64 v9, v12, v13, s[0:1]
	v_mul_f32_e32 v12, 0x37800000, v9
	v_cndmask_b32_e32 v9, v9, v12, vcc
	v_cmp_class_f32_e32 vcc, v7, v14
	s_nop 1
	v_cndmask_b32_e32 v7, v9, v7, vcc
	v_mul_f32_e32 v9, v10, v7
	v_div_scale_f32 v10, s[0:1], s17, s17, v9
	v_rcp_f32_e32 v12, v10
	s_nop 0
	v_fma_f32 v13, -v10, v12, 1.0
	v_fmac_f32_e32 v12, v13, v12
	v_div_scale_f32 v13, vcc, v9, s17, v9
	v_mul_f32_e32 v15, v13, v12
	v_fma_f32 v16, -v10, v15, v13
	v_fmac_f32_e32 v15, v16, v12
	v_fma_f32 v10, -v10, v15, v13
	v_div_fmas_f32 v10, v10, v12, v15
	v_div_fixup_f32 v9, v10, s17, v9
	v_div_scale_f32 v10, s[0:1], v9, v9, 1.0
	v_rcp_f32_e32 v12, v10
	s_mov_b32 s0, 0x3eb16d71
	s_mov_b32 s1, 0x3f114de0
	v_fma_f32 v13, -v10, v12, 1.0
	v_fmac_f32_e32 v12, v13, v12
	v_div_scale_f32 v13, vcc, 1.0, v9, 1.0
	v_mul_f32_e32 v15, v13, v12
	v_fma_f32 v16, -v10, v15, v13
	v_fmac_f32_e32 v15, v16, v12
	v_fma_f32 v10, -v10, v15, v13
	v_div_fmas_f32 v10, v10, v12, v15
	v_div_fixup_f32 v10, v10, v9, 1.0
	v_mul_f32_e32 v12, 0, v10
	v_pk_add_f32 v[12:13], v[12:13], s[0:1] op_sel_hi:[0,1]
	s_mov_b32 s0, 0x41401f1c
	s_mov_b32 s1, 0x416c19a0
	v_pk_fma_f32 v[12:13], v[10:11], v[12:13], s[0:1] op_sel_hi:[0,1,1]
	s_mov_b32 s0, 0x42988f28
	s_mov_b32 s1, 0x42a9071e
	v_pk_fma_f32 v[12:13], v[10:11], v[12:13], s[0:1] op_sel_hi:[0,1,1]
	;; [unrolled: 3-line block ×6, first 2 shown]
	v_pk_fma_f32 v[12:13], v[10:11], v[12:13], 1.0 op_sel_hi:[0,1,0]
	v_div_scale_f32 v10, s[0:1], v13, v13, v12
	v_rcp_f32_e32 v15, v10
	v_cmp_gt_f32_e64 s[0:1], s16, v7
	v_fma_f32 v16, -v10, v15, 1.0
	v_fmac_f32_e32 v15, v16, v15
	v_div_scale_f32 v16, vcc, v12, v13, v12
	v_mul_f32_e32 v17, v16, v15
	v_fma_f32 v18, -v10, v17, v16
	v_fmac_f32_e32 v17, v18, v15
	v_fma_f32 v10, -v10, v17, v16
	v_mul_f32_e32 v16, 0x4f800000, v7
	v_cndmask_b32_e64 v7, v7, v16, s[0:1]
	v_sqrt_f32_e32 v16, v7
	v_div_fmas_f32 v10, v10, v15, v17
	v_div_fixup_f32 v12, v10, v13, v12
	v_add_u32_e32 v10, -1, v16
	v_fma_f32 v13, -v10, v16, v7
	v_cmp_ge_f32_e32 vcc, 0, v13
	v_add_u32_e32 v13, 1, v16
	v_fma_f32 v15, -v13, v16, v7
	v_cndmask_b32_e32 v10, v16, v10, vcc
	v_cmp_lt_f32_e32 vcc, 0, v15
	s_nop 1
	v_cndmask_b32_e32 v10, v10, v13, vcc
	v_mul_f32_e32 v13, 0x37800000, v10
	v_cndmask_b32_e64 v10, v10, v13, s[0:1]
	v_cmp_class_f32_e32 vcc, v7, v14
	s_mov_b32 s0, 0x3fb8aa3b
	s_nop 0
	v_cndmask_b32_e32 v13, v10, v7, vcc
	v_mul_f32_e32 v7, 0x3fb8aa3b, v9
	v_fma_f32 v10, v9, s0, -v7
	v_rndne_f32_e32 v14, v7
	v_fmamk_f32 v10, v9, 0x32a5705f, v10
	v_sub_f32_e32 v7, v7, v14
	v_add_f32_e32 v7, v7, v10
	v_exp_f32_e32 v7, v7
	v_cvt_i32_f32_e32 v10, v14
	s_mov_b32 s0, 0x3f106ebb
	s_mov_b32 s1, 2.0
	v_pk_mul_f32 v[12:13], v[12:13], s[0:1]
	s_mov_b32 s0, 0xc2ce8ed0
	v_ldexp_f32 v7, v7, v10
	v_cmp_ngt_f32_e32 vcc, s0, v9
	s_mov_b32 s0, 0x42b17218
	v_mov_b32_e32 v10, 0x7f800000
	v_cndmask_b32_e32 v7, 0, v7, vcc
	v_cmp_nlt_f32_e32 vcc, s0, v9
	s_nop 1
	v_cndmask_b32_e32 v7, v10, v7, vcc
	v_mul_f32_e32 v7, v13, v7
	v_div_scale_f32 v9, s[0:1], v7, v7, v12
	v_rcp_f32_e32 v10, v9
	s_mov_b32 s0, 0x41052018
	v_fma_f32 v13, -v9, v10, 1.0
	v_fmac_f32_e32 v10, v13, v10
	v_div_scale_f32 v13, vcc, v12, v7, v12
	v_mul_f32_e32 v14, v13, v10
	v_fma_f32 v15, -v9, v14, v13
	v_fmac_f32_e32 v14, v15, v10
	v_fma_f32 v9, -v9, v14, v13
	v_div_fmas_f32 v9, v9, v10, v14
	v_cmp_nlt_f32_e32 vcc, s0, v11
	s_andn2_b64 s[0:1], s[4:5], exec
	s_and_b64 s[16:17], vcc, exec
	v_div_fixup_f32 v7, v9, v7, v12
	s_or_b64 s[0:1], s[0:1], s[16:17]
.LBB19_123:
	s_or_b64 exec, exec, s[14:15]
	s_and_saveexec_b64 s[14:15], s[0:1]
	s_cbranch_execz .LBB19_127
; %bb.124:
	v_mul_f32_e32 v9, v11, v11
	v_mul_f32_e32 v12, v11, v9
	v_mov_b32_e32 v13, v12
	s_mov_b64 s[16:17], 0
	v_mov_b32_e32 v9, 1.0
	v_mov_b32_e32 v10, 1.0
	;; [unrolled: 1-line block ×3, first 2 shown]
	s_brev_b32 s18, 44
	v_mov_b32_e32 v15, v11
.LBB19_125:                             ; =>This Inner Loop Header: Depth=1
	v_pk_mul_f32 v[14:15], v[12:13], v[14:15]
	v_add_f32_e32 v16, 1.0, v9
	v_add_f32_e32 v17, 1.0, v16
	v_div_scale_f32 v18, s[0:1], v16, v16, v14
	v_rcp_f32_e32 v20, v18
	v_div_scale_f32 v21, s[0:1], v17, v17, v15
	v_rcp_f32_e32 v23, v21
	v_fma_f32 v24, -v18, v20, 1.0
	v_div_scale_f32 v19, vcc, v14, v16, v14
	v_fmac_f32_e32 v20, v24, v20
	v_fma_f32 v24, -v21, v23, 1.0
	v_div_scale_f32 v22, s[0:1], v15, v17, v15
	v_mul_f32_e32 v25, v19, v20
	v_fmac_f32_e32 v23, v24, v23
	v_fma_f32 v24, -v18, v25, v19
	v_mul_f32_e32 v26, v22, v23
	v_fmac_f32_e32 v25, v24, v20
	v_fma_f32 v24, -v21, v26, v22
	v_fma_f32 v18, -v18, v25, v19
	v_fmac_f32_e32 v26, v24, v23
	v_div_fmas_f32 v18, v18, v20, v25
	v_fma_f32 v19, -v21, v26, v22
	s_mov_b64 vcc, s[0:1]
	v_div_fixup_f32 v14, v18, v16, v14
	v_div_fmas_f32 v16, v19, v23, v26
	v_add_f32_e32 v9, 1.0, v17
	v_div_fixup_f32 v15, v16, v17, v15
	v_div_scale_f32 v16, s[0:1], v17, v17, v14
	v_div_scale_f32 v19, s[22:23], v9, v9, v15
	v_rcp_f32_e32 v21, v16
	v_rcp_f32_e32 v22, v19
	v_div_scale_f32 v18, s[0:1], v14, v17, v14
	v_fma_f32 v23, -v16, v21, 1.0
	v_fma_f32 v24, -v19, v22, 1.0
	v_div_scale_f32 v20, vcc, v15, v9, v15
	v_fmac_f32_e32 v21, v23, v21
	v_fmac_f32_e32 v22, v24, v22
	v_mul_f32_e32 v23, v18, v21
	v_mul_f32_e32 v24, v20, v22
	v_fma_f32 v25, -v16, v23, v18
	v_fma_f32 v26, -v19, v24, v20
	v_fmac_f32_e32 v23, v25, v21
	v_fmac_f32_e32 v24, v26, v22
	v_fma_f32 v16, -v16, v23, v18
	v_fma_f32 v18, -v19, v24, v20
	v_div_fmas_f32 v18, v18, v22, v24
	s_mov_b64 vcc, s[0:1]
	v_div_fmas_f32 v16, v16, v21, v23
	v_div_fixup_f32 v15, v18, v9, v15
	v_div_fixup_f32 v14, v16, v17, v14
	v_pk_add_f32 v[10:11], v[10:11], v[14:15]
	s_nop 0
	v_div_scale_f32 v16, s[0:1], v10, v10, v14
	v_rcp_f32_e32 v17, v16
	v_div_scale_f32 v18, vcc, v14, v10, v14
	v_fma_f32 v19, -v16, v17, 1.0
	v_fmac_f32_e32 v17, v19, v17
	v_mul_f32_e32 v19, v18, v17
	v_fma_f32 v20, -v16, v19, v18
	v_fmac_f32_e32 v19, v20, v17
	v_fma_f32 v16, -v16, v19, v18
	v_div_fmas_f32 v16, v16, v17, v19
	v_div_fixup_f32 v16, v16, v10, v14
	v_cmp_ngt_f32_e64 s[0:1], |v16|, s18
	s_or_b64 s[16:17], s[0:1], s[16:17]
	s_andn2_b64 exec, exec, s[16:17]
	s_cbranch_execnz .LBB19_125
; %bb.126:
	s_or_b64 exec, exec, s[16:17]
	s_mov_b32 s0, 0x3eb5c63d
	s_mov_b32 s1, 0x3e8483fa
	v_pk_mul_f32 v[10:11], v[10:11], s[0:1]
	s_nop 0
	v_sub_f32_e32 v9, v10, v11
	v_cndmask_b32_e64 v7, v7, v9, s[4:5]
.LBB19_127:
	s_or_b64 exec, exec, s[14:15]
                                        ; implicit-def: $vgpr11
.LBB19_128:
	s_andn2_saveexec_b64 s[14:15], s[2:3]
	s_cbranch_execz .LBB19_138
; %bb.129:
	s_mov_b32 s0, 0x8f800000
	v_mul_f32_e32 v7, 0xcf800000, v11
	v_cmp_lt_f32_e32 vcc, s0, v11
	v_mul_f32_e32 v10, -2.0, v11
	s_mov_b32 s2, 0x40400000
	v_cndmask_b32_e64 v7, -v11, v7, vcc
	v_sqrt_f32_e32 v9, v7
	s_nop 0
	v_add_u32_e32 v11, -1, v9
	v_fma_f32 v12, -v11, v9, v7
	v_cmp_ge_f32_e64 s[0:1], 0, v12
	v_add_u32_e32 v12, 1, v9
	s_nop 0
	v_cndmask_b32_e64 v11, v9, v11, s[0:1]
	v_fma_f32 v9, -v12, v9, v7
	v_cmp_lt_f32_e64 s[0:1], 0, v9
	s_nop 1
	v_cndmask_b32_e64 v9, v11, v12, s[0:1]
	v_mul_f32_e32 v11, 0x37800000, v9
	v_cndmask_b32_e32 v9, v9, v11, vcc
	v_mov_b32_e32 v11, 0x260
	v_cmp_class_f32_e32 vcc, v7, v11
	s_nop 1
	v_cndmask_b32_e32 v7, v9, v7, vcc
	v_mul_f32_e32 v9, v10, v7
	v_div_scale_f32 v10, s[0:1], s2, s2, v9
	v_rcp_f32_e32 v11, v10
	s_brev_b32 s0, 18
	v_fma_f32 v12, -v10, v11, 1.0
	v_fmac_f32_e32 v11, v12, v11
	v_div_scale_f32 v12, vcc, v9, s2, v9
	v_mul_f32_e32 v13, v12, v11
	v_fma_f32 v14, -v10, v13, v12
	v_fmac_f32_e32 v13, v14, v11
	v_fma_f32 v10, -v10, v13, v12
	v_div_fmas_f32 v10, v10, v11, v13
	v_div_fixup_f32 v11, v10, s2, v9
	v_add_f32_e32 v9, 0x3f490fdb, v11
	v_and_b32_e32 v10, 0x7fffffff, v9
	v_cmp_nlt_f32_e64 s[16:17], |v9|, s0
                                        ; implicit-def: $vgpr12
                                        ; implicit-def: $vgpr13
	s_and_saveexec_b64 s[0:1], s[16:17]
	s_xor_b64 s[18:19], exec, s[0:1]
	s_cbranch_execz .LBB19_131
; %bb.130:
	v_lshrrev_b32_e32 v12, 23, v10
	v_add_u32_e32 v12, 0xffffff88, v12
	v_not_b32_e32 v13, 63
	v_cmp_lt_u32_e32 vcc, 63, v12
	s_mov_b32 s4, 0xfe5163ab
	v_mov_b32_e32 v15, 0
	v_cndmask_b32_e32 v13, 0, v13, vcc
	v_add_u32_e32 v12, v13, v12
	v_not_b32_e32 v13, 31
	v_cmp_lt_u32_e64 s[0:1], 31, v12
	s_nop 1
	v_cndmask_b32_e64 v14, 0, v13, s[0:1]
	v_add_u32_e32 v12, v14, v12
	v_cmp_lt_u32_e64 s[2:3], 31, v12
	s_nop 1
	v_cndmask_b32_e64 v13, 0, v13, s[2:3]
	v_add_u32_e32 v26, v13, v12
	v_and_b32_e32 v12, 0x7fffff, v10
	v_or_b32_e32 v27, 0x800000, v12
	v_mad_u64_u32 v[12:13], s[4:5], v27, s4, 0
	v_mov_b32_e32 v14, v13
	s_mov_b32 s4, 0x3c439041
	v_mad_u64_u32 v[16:17], s[4:5], v27, s4, v[14:15]
	v_mov_b32_e32 v14, v17
	s_mov_b32 s4, 0xdb629599
	;; [unrolled: 3-line block ×6, first 2 shown]
	v_mad_u64_u32 v[14:15], s[4:5], v27, s4, v[14:15]
	v_cndmask_b32_e32 v13, v24, v20, vcc
	v_cndmask_b32_e32 v14, v14, v22, vcc
	;; [unrolled: 1-line block ×3, first 2 shown]
	v_cndmask_b32_e64 v17, v14, v13, s[0:1]
	v_cndmask_b32_e64 v14, v15, v14, s[0:1]
	v_cndmask_b32_e32 v15, v22, v18, vcc
	v_cndmask_b32_e64 v13, v13, v15, s[0:1]
	v_cndmask_b32_e32 v16, v20, v16, vcc
	v_cndmask_b32_e64 v14, v14, v17, s[2:3]
	v_cndmask_b32_e64 v17, v17, v13, s[2:3]
	v_sub_u32_e32 v19, 32, v26
	v_cndmask_b32_e64 v15, v15, v16, s[0:1]
	v_alignbit_b32 v21, v14, v17, v19
	v_cmp_eq_u32_e64 s[4:5], 0, v26
	v_cndmask_b32_e64 v13, v13, v15, s[2:3]
	v_alignbit_b32 v20, v17, v13, v19
	v_cndmask_b32_e64 v14, v21, v14, s[4:5]
	v_cndmask_b32_e32 v12, v18, v12, vcc
	v_cndmask_b32_e64 v17, v20, v17, s[4:5]
	v_bfe_u32 v22, v14, 29, 1
	v_cndmask_b32_e64 v12, v16, v12, s[0:1]
	v_alignbit_b32 v20, v14, v17, 30
	v_sub_u32_e32 v23, 0, v22
	v_cndmask_b32_e64 v12, v15, v12, s[2:3]
	v_xor_b32_e32 v20, v20, v23
	v_alignbit_b32 v15, v13, v12, v19
	v_cndmask_b32_e64 v13, v15, v13, s[4:5]
	v_ffbh_u32_e32 v16, v20
	v_alignbit_b32 v15, v17, v13, 30
	v_min_u32_e32 v16, 32, v16
	v_alignbit_b32 v12, v13, v12, 30
	v_xor_b32_e32 v15, v15, v23
	v_sub_u32_e32 v17, 31, v16
	v_xor_b32_e32 v12, v12, v23
	v_alignbit_b32 v18, v20, v15, v17
	v_alignbit_b32 v12, v15, v12, v17
	;; [unrolled: 1-line block ×3, first 2 shown]
	v_ffbh_u32_e32 v15, v13
	v_min_u32_e32 v15, 32, v15
	v_lshrrev_b32_e32 v21, 29, v14
	v_not_b32_e32 v17, v15
	v_alignbit_b32 v12, v13, v12, v17
	v_lshlrev_b32_e32 v13, 31, v21
	v_or_b32_e32 v17, 0x33000000, v13
	v_add_lshl_u32 v15, v15, v16, 23
	v_lshrrev_b32_e32 v12, 9, v12
	v_sub_u32_e32 v15, v17, v15
	v_or_b32_e32 v13, 0.5, v13
	v_lshlrev_b32_e32 v16, 23, v16
	v_or_b32_e32 v12, v15, v12
	v_lshrrev_b32_e32 v15, 9, v18
	v_sub_u32_e32 v13, v13, v16
	v_or_b32_e32 v13, v15, v13
	s_mov_b32 s0, 0x3fc90fda
	v_mul_f32_e32 v15, 0x3fc90fda, v13
	v_fma_f32 v16, v13, s0, -v15
	v_fmamk_f32 v13, v13, 0x33a22168, v16
	v_fmac_f32_e32 v13, 0x3fc90fda, v12
	v_lshrrev_b32_e32 v12, 30, v14
	v_add_f32_e32 v13, v15, v13
	v_add_u32_e32 v12, v22, v12
	s_andn2_saveexec_b64 s[0:1], s[18:19]
	s_cbranch_execz .LBB19_133
	s_branch .LBB19_132
.LBB19_131:
	s_andn2_saveexec_b64 s[0:1], s[18:19]
	s_cbranch_execz .LBB19_133
.LBB19_132:
	s_mov_b32 s2, 0x3f22f983
	v_mul_f32_e64 v12, |v9|, s2
	v_rndne_f32_e32 v13, v12
	s_mov_b32 s2, 0xbfc90fda
	v_cvt_i32_f32_e32 v12, v13
	v_fma_f32 v14, v13, s2, |v9|
	v_fmamk_f32 v14, v13, 0xb3a22168, v14
	v_fmamk_f32 v13, v13, 0xa7c234c4, v14
.LBB19_133:
	s_or_b64 exec, exec, s[0:1]
                                        ; implicit-def: $vgpr14
                                        ; implicit-def: $vgpr15
	s_and_saveexec_b64 s[0:1], s[16:17]
	s_xor_b64 s[16:17], exec, s[0:1]
	s_cbranch_execz .LBB19_135
; %bb.134:
	v_lshrrev_b32_e32 v14, 23, v10
	v_add_u32_e32 v14, 0xffffff88, v14
	v_not_b32_e32 v15, 63
	v_cmp_lt_u32_e32 vcc, 63, v14
	s_mov_b32 s4, 0xfe5163ab
	v_mov_b32_e32 v17, 0
	v_cndmask_b32_e32 v15, 0, v15, vcc
	v_add_u32_e32 v14, v15, v14
	v_not_b32_e32 v15, 31
	v_cmp_lt_u32_e64 s[0:1], 31, v14
	s_nop 1
	v_cndmask_b32_e64 v16, 0, v15, s[0:1]
	v_add_u32_e32 v14, v16, v14
	v_cmp_lt_u32_e64 s[2:3], 31, v14
	s_nop 1
	v_cndmask_b32_e64 v15, 0, v15, s[2:3]
	v_add_u32_e32 v28, v15, v14
	v_and_b32_e32 v14, 0x7fffff, v10
	v_or_b32_e32 v29, 0x800000, v14
	v_mad_u64_u32 v[14:15], s[4:5], v29, s4, 0
	v_mov_b32_e32 v16, v15
	s_mov_b32 s4, 0x3c439041
	v_mad_u64_u32 v[18:19], s[4:5], v29, s4, v[16:17]
	v_mov_b32_e32 v16, v19
	s_mov_b32 s4, 0xdb629599
	;; [unrolled: 3-line block ×6, first 2 shown]
	v_mad_u64_u32 v[16:17], s[4:5], v29, s4, v[16:17]
	v_cndmask_b32_e32 v15, v26, v22, vcc
	v_cndmask_b32_e32 v16, v16, v24, vcc
	;; [unrolled: 1-line block ×3, first 2 shown]
	v_cndmask_b32_e64 v19, v16, v15, s[0:1]
	v_cndmask_b32_e64 v16, v17, v16, s[0:1]
	v_cndmask_b32_e32 v17, v24, v20, vcc
	v_cndmask_b32_e64 v15, v15, v17, s[0:1]
	v_cndmask_b32_e32 v18, v22, v18, vcc
	v_cndmask_b32_e64 v16, v16, v19, s[2:3]
	v_cndmask_b32_e64 v19, v19, v15, s[2:3]
	v_sub_u32_e32 v21, 32, v28
	v_cndmask_b32_e64 v17, v17, v18, s[0:1]
	v_alignbit_b32 v23, v16, v19, v21
	v_cmp_eq_u32_e64 s[4:5], 0, v28
	v_cndmask_b32_e64 v15, v15, v17, s[2:3]
	v_alignbit_b32 v22, v19, v15, v21
	v_cndmask_b32_e64 v16, v23, v16, s[4:5]
	v_cndmask_b32_e32 v14, v20, v14, vcc
	v_cndmask_b32_e64 v19, v22, v19, s[4:5]
	v_bfe_u32 v24, v16, 29, 1
	v_cndmask_b32_e64 v14, v18, v14, s[0:1]
	v_alignbit_b32 v22, v16, v19, 30
	v_sub_u32_e32 v25, 0, v24
	v_cndmask_b32_e64 v14, v17, v14, s[2:3]
	v_xor_b32_e32 v22, v22, v25
	v_alignbit_b32 v17, v15, v14, v21
	v_cndmask_b32_e64 v15, v17, v15, s[4:5]
	v_ffbh_u32_e32 v18, v22
	v_alignbit_b32 v17, v19, v15, 30
	v_min_u32_e32 v18, 32, v18
	v_alignbit_b32 v14, v15, v14, 30
	v_xor_b32_e32 v17, v17, v25
	v_sub_u32_e32 v19, 31, v18
	v_xor_b32_e32 v14, v14, v25
	v_alignbit_b32 v20, v22, v17, v19
	v_alignbit_b32 v14, v17, v14, v19
	v_alignbit_b32 v15, v20, v14, 9
	v_ffbh_u32_e32 v17, v15
	v_min_u32_e32 v17, 32, v17
	v_lshrrev_b32_e32 v23, 29, v16
	v_not_b32_e32 v19, v17
	v_alignbit_b32 v14, v15, v14, v19
	v_lshlrev_b32_e32 v15, 31, v23
	v_or_b32_e32 v19, 0x33000000, v15
	v_add_lshl_u32 v17, v17, v18, 23
	v_lshrrev_b32_e32 v14, 9, v14
	v_sub_u32_e32 v17, v19, v17
	v_or_b32_e32 v15, 0.5, v15
	v_lshlrev_b32_e32 v18, 23, v18
	v_or_b32_e32 v14, v17, v14
	v_lshrrev_b32_e32 v17, 9, v20
	v_sub_u32_e32 v15, v15, v18
	v_or_b32_e32 v15, v17, v15
	s_mov_b32 s0, 0x3fc90fda
	v_mul_f32_e32 v17, 0x3fc90fda, v15
	v_fma_f32 v18, v15, s0, -v17
	v_fmamk_f32 v15, v15, 0x33a22168, v18
	v_fmac_f32_e32 v15, 0x3fc90fda, v14
	v_lshrrev_b32_e32 v14, 30, v16
	v_add_f32_e32 v15, v17, v15
	v_add_u32_e32 v14, v24, v14
	s_andn2_saveexec_b64 s[0:1], s[16:17]
	s_cbranch_execnz .LBB19_136
	s_branch .LBB19_137
.LBB19_135:
	s_andn2_saveexec_b64 s[0:1], s[16:17]
	s_cbranch_execz .LBB19_137
.LBB19_136:
	s_mov_b32 s2, 0x3f22f983
	v_mul_f32_e64 v14, |v9|, s2
	v_rndne_f32_e32 v15, v14
	s_mov_b32 s2, 0xbfc90fda
	v_cvt_i32_f32_e32 v14, v15
	v_fma_f32 v16, v15, s2, |v9|
	v_fmamk_f32 v16, v15, 0xb3a22168, v16
	v_fmamk_f32 v15, v15, 0xa7c234c4, v16
.LBB19_137:
	s_or_b64 exec, exec, s[0:1]
	v_div_scale_f32 v16, s[0:1], v11, v11, 1.0
	v_rcp_f32_e32 v17, v16
	v_div_scale_f32 v18, vcc, 1.0, v11, 1.0
	v_xor_b32_e32 v10, v10, v9
	v_fma_f32 v19, -v16, v17, 1.0
	v_fmac_f32_e32 v17, v19, v17
	v_mul_f32_e32 v19, v18, v17
	v_fma_f32 v20, -v16, v19, v18
	v_fmac_f32_e32 v19, v20, v17
	v_fma_f32 v16, -v16, v19, v18
	v_div_fmas_f32 v16, v16, v17, v19
	v_div_fixup_f32 v11, v16, v11, 1.0
	v_mul_f32_e32 v16, v11, v11
	v_mov_b32_e32 v17, 0xbe06db67
	v_mul_f32_e32 v19, v13, v13
	v_mov_b32_e32 v20, 0x3c0881c4
	v_fmac_f32_e32 v17, 0, v16
	v_mov_b32_e32 v18, 0x4155b259
	v_fmamk_f32 v21, v19, 0xb94c1982, v20
	v_fmaak_f32 v17, v16, v17, 0xbf205f75
	v_fmac_f32_e32 v18, 0, v16
	v_fmaak_f32 v21, v19, v21, 0xbe2aaa9d
	v_fmaak_f32 v17, v16, v17, 0xbf3172ce
	;; [unrolled: 1-line block ×3, first 2 shown]
	v_mul_f32_e32 v21, v19, v21
	v_fmaak_f32 v17, v16, v17, 0xbe8f3f52
	v_fmaak_f32 v18, v16, v18, 0x41d5e4c5
	v_fmac_f32_e32 v13, v13, v21
	v_mov_b32_e32 v21, 0xbab64f3b
	v_fmaak_f32 v17, v16, v17, 0xbd497b78
	v_fmaak_f32 v18, v16, v18, 0x4112fe41
	v_fmamk_f32 v23, v19, 0x37d75334, v21
	v_fmaak_f32 v17, v16, v17, 0xbb85200e
	v_fmaak_f32 v18, v16, v18, 0x3fbcd65a
	;; [unrolled: 1-line block ×8, first 2 shown]
	v_fma_f32 v19, v19, v23, 1.0
	v_and_b32_e32 v23, 1, v12
	v_lshlrev_b32_e32 v12, 30, v12
	v_fmaak_f32 v18, v16, v18, 0x389e46bd
	v_fmaak_f32 v17, v16, v17, 0xb29020e8
	v_cmp_eq_u32_e32 vcc, 0, v23
	v_and_b32_e32 v12, 0x80000000, v12
	v_fmaak_f32 v18, v16, v18, 0x34f295ce
	v_cndmask_b32_e32 v13, v19, v13, vcc
	v_xor_b32_e32 v10, v10, v12
	v_mul_f32_e32 v12, v16, v17
	v_xor_b32_e32 v10, v10, v13
	v_div_scale_f32 v13, s[0:1], v18, v18, v12
	v_rcp_f32_e32 v17, v13
	s_movk_i32 s2, 0x1f8
	v_mov_b32_e32 v19, 0x7fc00000
	v_cmp_class_f32_e64 s[0:1], v9, s2
	s_mov_b32 s2, 0xf800000
	s_mov_b32 s5, 0x3f106ebb
	v_cndmask_b32_e64 v9, v19, v10, s[0:1]
	v_fma_f32 v10, -v13, v17, 1.0
	v_fmac_f32_e32 v17, v10, v17
	v_div_scale_f32 v10, vcc, v12, v18, v12
	v_mul_f32_e32 v23, v10, v17
	v_fma_f32 v26, -v13, v23, v10
	v_fmac_f32_e32 v23, v26, v17
	v_fma_f32 v10, -v13, v23, v10
	v_div_fmas_f32 v10, v10, v17, v23
	v_mul_f32_e32 v17, 0x4f800000, v7
	v_cmp_gt_f32_e32 vcc, s2, v7
	v_div_fixup_f32 v10, v10, v18, v12
	v_mov_b32_e32 v12, 0x3ca1a92f
	v_cndmask_b32_e32 v7, v7, v17, vcc
	v_sqrt_f32_e32 v17, v7
	v_fmac_f32_e32 v12, 0, v16
	v_mov_b32_e32 v13, 0x4114f160
	v_fmaak_f32 v12, v16, v12, 0x3ec83ea8
	v_add_u32_e32 v18, -1, v17
	v_fma_f32 v23, -v18, v17, v7
	v_cmp_ge_f32_e64 s[2:3], 0, v23
	v_add_u32_e32 v23, 1, v17
	v_fmac_f32_e32 v13, 0, v16
	v_cndmask_b32_e64 v18, v17, v18, s[2:3]
	v_fma_f32 v17, -v23, v17, v7
	v_cmp_lt_f32_e64 s[2:3], 0, v17
	v_fmaak_f32 v12, v16, v12, 0x3f886c1a
	v_fmaak_f32 v13, v16, v13, 0x419eaeae
	v_cndmask_b32_e64 v17, v18, v23, s[2:3]
	v_mul_f32_e32 v18, 0x37800000, v17
	v_cndmask_b32_e32 v17, v17, v18, vcc
	v_mov_b32_e32 v18, 0x260
	v_fmaak_f32 v12, v16, v12, 0x3f706d65
	v_fmaak_f32 v13, v16, v13, 0x417908dc
	v_cmp_class_f32_e32 vcc, v7, v18
	v_fmaak_f32 v12, v16, v12, 0x3eb3f34e
	v_fmaak_f32 v13, v16, v13, 0x40af4271
	v_cndmask_b32_e32 v7, v17, v7, vcc
	v_fmaak_f32 v12, v16, v12, 0x3d81d209
	v_fmaak_f32 v13, v16, v13, 0x3f744c96
	v_div_scale_f32 v17, s[2:3], v7, v7, s5
	v_fmaak_f32 v12, v16, v12, 0x3bbff4d0
	v_fmaak_f32 v13, v16, v13, 0x3db110ef
	v_rcp_f32_e32 v18, v17
	v_fmaak_f32 v12, v16, v12, 0x39944bb3
	v_fmaak_f32 v13, v16, v13, 0x3b873823
	;; [unrolled: 1-line block ×8, first 2 shown]
	v_fma_f32 v16, -v17, v18, 1.0
	v_fmac_f32_e32 v18, v16, v18
	v_div_scale_f32 v16, vcc, s5, v7, s5
	v_mul_f32_e32 v23, v16, v18
	v_fma_f32 v26, -v17, v23, v16
	v_fmac_f32_e32 v23, v26, v18
	v_fma_f32 v16, -v17, v23, v16
	v_div_fmas_f32 v16, v16, v18, v23
	v_div_fixup_f32 v7, v16, v7, s5
	v_mul_f32_e32 v16, v15, v15
	v_mov_b32_e32 v22, 0xbe2aaa9d
	v_fmac_f32_e32 v20, 0xb94c1982, v16
	v_mov_b32_e32 v24, 0x3d2aabf7
	v_fmac_f32_e32 v22, v16, v20
	v_fmac_f32_e32 v21, 0x37d75334, v16
	v_mov_b32_e32 v25, 0xbf000004
	v_mul_f32_e32 v17, v16, v22
	v_fmac_f32_e32 v24, v16, v21
	v_fmac_f32_e32 v15, v15, v17
	;; [unrolled: 1-line block ×3, first 2 shown]
	v_and_b32_e32 v17, 1, v14
	v_mul_f32_e32 v11, v11, v12
	v_fma_f32 v16, v16, v25, 1.0
	v_cmp_eq_u32_e32 vcc, 0, v17
	v_div_scale_f32 v12, s[2:3], v13, v13, v11
	s_nop 0
	v_cndmask_b32_e64 v15, -v15, v16, vcc
	v_rcp_f32_e32 v16, v12
	s_brev_b32 s4, 1
	v_lshlrev_b32_e32 v14, 30, v14
	v_bitop3_b32 v14, v14, v15, s4 bitop3:0x6c
	v_fma_f32 v15, -v12, v16, 1.0
	v_fmac_f32_e32 v16, v15, v16
	v_div_scale_f32 v15, vcc, v11, v13, v11
	v_mul_f32_e32 v17, v15, v16
	v_fma_f32 v18, -v12, v17, v15
	v_fmac_f32_e32 v17, v18, v16
	v_fma_f32 v12, -v12, v17, v15
	v_div_fmas_f32 v12, v12, v16, v17
	v_cndmask_b32_e64 v14, v19, v14, s[0:1]
	v_div_fixup_f32 v11, v12, v13, v11
	v_add_f32_e32 v10, 1.0, v10
	v_mul_f32_e32 v11, v11, v14
	v_fma_f32 v9, v10, v9, -v11
	v_mul_f32_e32 v7, v7, v9
.LBB19_138:
	s_or_b64 exec, exec, s[14:15]
.LBB19_139:
	s_or_b64 exec, exec, s[12:13]
.LBB19_140:
	s_or_b64 exec, exec, s[6:7]
	global_load_dword v9, v8, s[10:11]
	s_waitcnt vmcnt(0)
	v_cmp_neq_f32_e64 s[0:1], |v9|, s20
	s_and_saveexec_b64 s[6:7], s[0:1]
	s_cbranch_execz .LBB19_162
; %bb.141:
	s_mov_b32 s0, 0x42cfc8b4
	v_cmp_nlt_f32_e32 vcc, s0, v9
	v_mov_b32_e32 v5, 0
	s_and_saveexec_b64 s[10:11], vcc
	s_cbranch_execz .LBB19_161
; %bb.142:
	s_mov_b32 s0, 0xc005c28f
	v_cmp_ngt_f32_e32 vcc, s0, v9
                                        ; implicit-def: $vgpr5
	s_and_saveexec_b64 s[0:1], vcc
	s_xor_b64 s[2:3], exec, s[0:1]
	s_cbranch_execz .LBB19_150
; %bb.143:
	s_mov_b32 s0, 0x4005c28f
	v_cmp_nle_f32_e64 s[4:5], s0, v9
	v_cmp_le_f32_e32 vcc, s0, v9
	v_mov_b32_e32 v5, 0
	s_mov_b64 s[0:1], s[4:5]
	s_and_saveexec_b64 s[12:13], vcc
	s_cbranch_execz .LBB19_145
; %bb.144:
	s_mov_b32 s14, 0xf800000
	v_mul_f32_e32 v5, 0x4f800000, v9
	v_cmp_gt_f32_e32 vcc, s14, v9
	v_add_f32_e32 v10, v9, v9
	s_mov_b32 s15, 0x40400000
	v_cndmask_b32_e32 v5, v9, v5, vcc
	v_sqrt_f32_e32 v8, v5
	s_nop 0
	v_add_u32_e32 v11, -1, v8
	v_fma_f32 v12, -v11, v8, v5
	v_cmp_ge_f32_e64 s[0:1], 0, v12
	v_add_u32_e32 v12, 1, v8
	s_nop 0
	v_cndmask_b32_e64 v11, v8, v11, s[0:1]
	v_fma_f32 v8, -v12, v8, v5
	v_cmp_lt_f32_e64 s[0:1], 0, v8
	s_nop 1
	v_cndmask_b32_e64 v8, v11, v12, s[0:1]
	v_mul_f32_e32 v11, 0x37800000, v8
	v_mov_b32_e32 v12, 0x260
	v_cndmask_b32_e32 v8, v8, v11, vcc
	v_cmp_class_f32_e32 vcc, v5, v12
	s_nop 1
	v_cndmask_b32_e32 v5, v8, v5, vcc
	v_mul_f32_e32 v8, v10, v5
	v_div_scale_f32 v10, s[0:1], s15, s15, v8
	v_rcp_f32_e32 v11, v10
	s_nop 0
	v_fma_f32 v13, -v10, v11, 1.0
	v_fmac_f32_e32 v11, v13, v11
	v_div_scale_f32 v13, vcc, v8, s15, v8
	v_mul_f32_e32 v14, v13, v11
	v_fma_f32 v15, -v10, v14, v13
	v_fmac_f32_e32 v14, v15, v11
	v_fma_f32 v10, -v10, v14, v13
	v_div_fmas_f32 v10, v10, v11, v14
	v_div_fixup_f32 v13, v10, s15, v8
	v_div_scale_f32 v8, s[0:1], v13, v13, 1.0
	v_rcp_f32_e32 v10, v8
	s_mov_b32 s0, 0x3eb16d71
	s_mov_b32 s1, 0x3f114de0
	v_fma_f32 v11, -v8, v10, 1.0
	v_fmac_f32_e32 v10, v11, v10
	v_div_scale_f32 v11, vcc, 1.0, v13, 1.0
	v_mul_f32_e32 v14, v11, v10
	v_fma_f32 v15, -v8, v14, v11
	v_fmac_f32_e32 v14, v15, v10
	v_fma_f32 v8, -v8, v14, v11
	v_div_fmas_f32 v8, v8, v10, v14
	v_div_fixup_f32 v8, v8, v13, 1.0
	v_mul_f32_e32 v10, 0, v8
	v_pk_add_f32 v[10:11], v[10:11], s[0:1] op_sel_hi:[0,1]
	s_mov_b32 s0, 0x41401f1c
	s_mov_b32 s1, 0x416c19a0
	v_pk_fma_f32 v[10:11], v[8:9], v[10:11], s[0:1] op_sel_hi:[0,1,1]
	s_mov_b32 s0, 0x42988f28
	s_mov_b32 s1, 0x42a9071e
	v_pk_fma_f32 v[10:11], v[8:9], v[10:11], s[0:1] op_sel_hi:[0,1,1]
	;; [unrolled: 3-line block ×6, first 2 shown]
	v_pk_fma_f32 v[10:11], v[8:9], v[10:11], 1.0 op_sel_hi:[0,1,0]
	v_div_scale_f32 v8, s[0:1], v11, v11, v10
	v_rcp_f32_e32 v14, v8
	v_cmp_gt_f32_e64 s[0:1], s14, v5
	v_fma_f32 v15, -v8, v14, 1.0
	v_fmac_f32_e32 v14, v15, v14
	v_div_scale_f32 v15, vcc, v10, v11, v10
	v_mul_f32_e32 v16, v15, v14
	v_fma_f32 v17, -v8, v16, v15
	v_fmac_f32_e32 v16, v17, v14
	v_fma_f32 v8, -v8, v16, v15
	v_mul_f32_e32 v15, 0x4f800000, v5
	v_cndmask_b32_e64 v5, v5, v15, s[0:1]
	v_sqrt_f32_e32 v15, v5
	v_div_fmas_f32 v8, v8, v14, v16
	v_div_fixup_f32 v10, v8, v11, v10
	v_add_u32_e32 v8, -1, v15
	v_fma_f32 v11, -v8, v15, v5
	v_cmp_ge_f32_e32 vcc, 0, v11
	v_add_u32_e32 v11, 1, v15
	v_fma_f32 v14, -v11, v15, v5
	v_cndmask_b32_e32 v8, v15, v8, vcc
	v_cmp_lt_f32_e32 vcc, 0, v14
	s_nop 1
	v_cndmask_b32_e32 v8, v8, v11, vcc
	v_mul_f32_e32 v11, 0x37800000, v8
	v_cndmask_b32_e64 v8, v8, v11, s[0:1]
	v_cmp_class_f32_e32 vcc, v5, v12
	s_mov_b32 s0, 0x3fb8aa3b
	s_nop 0
	v_cndmask_b32_e32 v11, v8, v5, vcc
	v_mul_f32_e32 v5, 0x3fb8aa3b, v13
	v_fma_f32 v8, v13, s0, -v5
	v_rndne_f32_e32 v12, v5
	v_fmamk_f32 v8, v13, 0x32a5705f, v8
	v_sub_f32_e32 v5, v5, v12
	v_add_f32_e32 v5, v5, v8
	v_exp_f32_e32 v5, v5
	v_cvt_i32_f32_e32 v8, v12
	s_mov_b32 s0, 0x3f106ebb
	s_mov_b32 s1, 2.0
	v_pk_mul_f32 v[10:11], v[10:11], s[0:1]
	s_mov_b32 s0, 0xc2ce8ed0
	v_ldexp_f32 v5, v5, v8
	v_cmp_ngt_f32_e32 vcc, s0, v13
	s_mov_b32 s0, 0x42b17218
	v_mov_b32_e32 v8, 0x7f800000
	v_cndmask_b32_e32 v5, 0, v5, vcc
	v_cmp_nlt_f32_e32 vcc, s0, v13
	s_nop 1
	v_cndmask_b32_e32 v5, v8, v5, vcc
	v_mul_f32_e32 v5, v11, v5
	v_div_scale_f32 v8, s[0:1], v5, v5, v10
	v_rcp_f32_e32 v11, v8
	s_mov_b32 s0, 0x41052018
	v_fma_f32 v12, -v8, v11, 1.0
	v_fmac_f32_e32 v11, v12, v11
	v_div_scale_f32 v12, vcc, v10, v5, v10
	v_mul_f32_e32 v13, v12, v11
	v_fma_f32 v14, -v8, v13, v12
	v_fmac_f32_e32 v13, v14, v11
	v_fma_f32 v8, -v8, v13, v12
	v_div_fmas_f32 v8, v8, v11, v13
	v_cmp_nlt_f32_e32 vcc, s0, v9
	s_andn2_b64 s[0:1], s[4:5], exec
	s_and_b64 s[14:15], vcc, exec
	v_div_fixup_f32 v5, v8, v5, v10
	s_or_b64 s[0:1], s[0:1], s[14:15]
.LBB19_145:
	s_or_b64 exec, exec, s[12:13]
	s_and_saveexec_b64 s[12:13], s[0:1]
	s_cbranch_execz .LBB19_149
; %bb.146:
	v_mul_f32_e32 v8, v9, v9
	v_mul_f32_e32 v10, v9, v8
	v_mov_b32_e32 v11, v10
	s_mov_b64 s[14:15], 0
	v_mov_b32_e32 v14, 1.0
	v_mov_b32_e32 v8, 1.0
	;; [unrolled: 1-line block ×3, first 2 shown]
	s_brev_b32 s16, 44
	v_mov_b32_e32 v13, v9
.LBB19_147:                             ; =>This Inner Loop Header: Depth=1
	v_pk_mul_f32 v[12:13], v[10:11], v[12:13]
	v_add_f32_e32 v15, 1.0, v14
	v_add_f32_e32 v16, 1.0, v15
	v_div_scale_f32 v17, s[0:1], v15, v15, v12
	v_rcp_f32_e32 v19, v17
	v_div_scale_f32 v20, s[0:1], v16, v16, v13
	v_rcp_f32_e32 v22, v20
	v_fma_f32 v23, -v17, v19, 1.0
	v_div_scale_f32 v18, vcc, v12, v15, v12
	v_fmac_f32_e32 v19, v23, v19
	v_fma_f32 v23, -v20, v22, 1.0
	v_div_scale_f32 v21, s[0:1], v13, v16, v13
	v_mul_f32_e32 v24, v18, v19
	v_fmac_f32_e32 v22, v23, v22
	v_fma_f32 v23, -v17, v24, v18
	v_mul_f32_e32 v25, v21, v22
	v_fmac_f32_e32 v24, v23, v19
	v_fma_f32 v23, -v20, v25, v21
	v_fma_f32 v17, -v17, v24, v18
	v_fmac_f32_e32 v25, v23, v22
	v_div_fmas_f32 v17, v17, v19, v24
	v_fma_f32 v18, -v20, v25, v21
	s_mov_b64 vcc, s[0:1]
	v_div_fixup_f32 v12, v17, v15, v12
	v_div_fmas_f32 v15, v18, v22, v25
	v_add_f32_e32 v14, 1.0, v16
	v_div_fixup_f32 v13, v15, v16, v13
	v_div_scale_f32 v15, s[0:1], v16, v16, v12
	v_div_scale_f32 v18, s[18:19], v14, v14, v13
	v_rcp_f32_e32 v20, v15
	v_rcp_f32_e32 v21, v18
	v_div_scale_f32 v17, s[0:1], v12, v16, v12
	v_fma_f32 v22, -v15, v20, 1.0
	v_fma_f32 v23, -v18, v21, 1.0
	v_div_scale_f32 v19, vcc, v13, v14, v13
	v_fmac_f32_e32 v20, v22, v20
	v_fmac_f32_e32 v21, v23, v21
	v_mul_f32_e32 v22, v17, v20
	v_mul_f32_e32 v23, v19, v21
	v_fma_f32 v24, -v15, v22, v17
	v_fma_f32 v25, -v18, v23, v19
	v_fmac_f32_e32 v22, v24, v20
	v_fmac_f32_e32 v23, v25, v21
	v_fma_f32 v15, -v15, v22, v17
	v_fma_f32 v17, -v18, v23, v19
	v_div_fmas_f32 v17, v17, v21, v23
	s_mov_b64 vcc, s[0:1]
	v_div_fmas_f32 v15, v15, v20, v22
	v_div_fixup_f32 v13, v17, v14, v13
	v_div_fixup_f32 v12, v15, v16, v12
	v_pk_add_f32 v[8:9], v[8:9], v[12:13]
	s_nop 0
	v_div_scale_f32 v15, s[0:1], v8, v8, v12
	v_rcp_f32_e32 v16, v15
	v_div_scale_f32 v17, vcc, v12, v8, v12
	v_fma_f32 v18, -v15, v16, 1.0
	v_fmac_f32_e32 v16, v18, v16
	v_mul_f32_e32 v18, v17, v16
	v_fma_f32 v19, -v15, v18, v17
	v_fmac_f32_e32 v18, v19, v16
	v_fma_f32 v15, -v15, v18, v17
	v_div_fmas_f32 v15, v15, v16, v18
	v_div_fixup_f32 v15, v15, v8, v12
	v_cmp_ngt_f32_e64 s[0:1], |v15|, s16
	s_or_b64 s[14:15], s[0:1], s[14:15]
	s_andn2_b64 exec, exec, s[14:15]
	s_cbranch_execnz .LBB19_147
; %bb.148:
	s_or_b64 exec, exec, s[14:15]
	s_mov_b32 s0, 0x3eb5c63d
	s_mov_b32 s1, 0x3e8483fa
	v_pk_mul_f32 v[8:9], v[8:9], s[0:1]
	s_nop 0
	v_sub_f32_e32 v8, v8, v9
	v_cndmask_b32_e64 v5, v5, v8, s[4:5]
.LBB19_149:
	s_or_b64 exec, exec, s[12:13]
                                        ; implicit-def: $vgpr9
.LBB19_150:
	s_andn2_saveexec_b64 s[12:13], s[2:3]
	s_cbranch_execz .LBB19_160
; %bb.151:
	s_mov_b32 s0, 0x8f800000
	v_mul_f32_e32 v5, 0xcf800000, v9
	v_cmp_lt_f32_e32 vcc, s0, v9
	s_mov_b32 s2, 0x40400000
	s_nop 0
	v_cndmask_b32_e64 v5, -v9, v5, vcc
	v_sqrt_f32_e32 v8, v5
	v_mul_f32_e32 v9, -2.0, v9
	v_add_u32_e32 v10, -1, v8
	v_fma_f32 v11, -v10, v8, v5
	v_cmp_ge_f32_e64 s[0:1], 0, v11
	v_add_u32_e32 v11, 1, v8
	s_nop 0
	v_cndmask_b32_e64 v10, v8, v10, s[0:1]
	v_fma_f32 v8, -v11, v8, v5
	v_cmp_lt_f32_e64 s[0:1], 0, v8
	s_nop 1
	v_cndmask_b32_e64 v8, v10, v11, s[0:1]
	v_mul_f32_e32 v10, 0x37800000, v8
	v_cndmask_b32_e32 v8, v8, v10, vcc
	v_mov_b32_e32 v10, 0x260
	v_cmp_class_f32_e32 vcc, v5, v10
	s_nop 1
	v_cndmask_b32_e32 v5, v8, v5, vcc
	v_mul_f32_e32 v8, v9, v5
	v_div_scale_f32 v9, s[0:1], s2, s2, v8
	v_rcp_f32_e32 v10, v9
	s_brev_b32 s0, 18
	v_fma_f32 v11, -v9, v10, 1.0
	v_fmac_f32_e32 v10, v11, v10
	v_div_scale_f32 v11, vcc, v8, s2, v8
	v_mul_f32_e32 v12, v11, v10
	v_fma_f32 v13, -v9, v12, v11
	v_fmac_f32_e32 v12, v13, v10
	v_fma_f32 v9, -v9, v12, v11
	v_div_fmas_f32 v9, v9, v10, v12
	v_div_fixup_f32 v10, v9, s2, v8
	v_add_f32_e32 v8, 0x3f490fdb, v10
	v_and_b32_e32 v9, 0x7fffffff, v8
	v_cmp_nlt_f32_e64 s[14:15], |v8|, s0
                                        ; implicit-def: $vgpr11
                                        ; implicit-def: $vgpr12
	s_and_saveexec_b64 s[0:1], s[14:15]
	s_xor_b64 s[16:17], exec, s[0:1]
	s_cbranch_execz .LBB19_153
; %bb.152:
	v_lshrrev_b32_e32 v11, 23, v9
	v_add_u32_e32 v11, 0xffffff88, v11
	v_not_b32_e32 v12, 63
	v_cmp_lt_u32_e32 vcc, 63, v11
	s_mov_b32 s4, 0xfe5163ab
	v_mov_b32_e32 v15, 0
	v_cndmask_b32_e32 v12, 0, v12, vcc
	v_add_u32_e32 v11, v12, v11
	v_not_b32_e32 v12, 31
	v_cmp_lt_u32_e64 s[0:1], 31, v11
	s_nop 1
	v_cndmask_b32_e64 v13, 0, v12, s[0:1]
	v_add_u32_e32 v11, v13, v11
	v_cmp_lt_u32_e64 s[2:3], 31, v11
	s_nop 1
	v_cndmask_b32_e64 v12, 0, v12, s[2:3]
	v_add_u32_e32 v11, v12, v11
	v_and_b32_e32 v12, 0x7fffff, v9
	v_or_b32_e32 v26, 0x800000, v12
	v_mad_u64_u32 v[12:13], s[4:5], v26, s4, 0
	v_mov_b32_e32 v14, v13
	s_mov_b32 s4, 0x3c439041
	v_mad_u64_u32 v[16:17], s[4:5], v26, s4, v[14:15]
	v_mov_b32_e32 v14, v17
	s_mov_b32 s4, 0xdb629599
	;; [unrolled: 3-line block ×6, first 2 shown]
	v_mad_u64_u32 v[14:15], s[4:5], v26, s4, v[14:15]
	v_cndmask_b32_e32 v13, v24, v20, vcc
	v_cndmask_b32_e32 v14, v14, v22, vcc
	;; [unrolled: 1-line block ×3, first 2 shown]
	v_cndmask_b32_e64 v17, v14, v13, s[0:1]
	v_cndmask_b32_e64 v14, v15, v14, s[0:1]
	v_cndmask_b32_e32 v15, v22, v18, vcc
	v_cndmask_b32_e64 v13, v13, v15, s[0:1]
	v_cndmask_b32_e64 v14, v14, v17, s[2:3]
	v_cndmask_b32_e64 v17, v17, v13, s[2:3]
	v_sub_u32_e32 v19, 32, v11
	v_alignbit_b32 v21, v14, v17, v19
	v_cmp_eq_u32_e64 s[4:5], 0, v11
	v_cndmask_b32_e32 v12, v18, v12, vcc
	s_nop 0
	v_cndmask_b32_e64 v11, v21, v14, s[4:5]
	v_cndmask_b32_e32 v14, v20, v16, vcc
	v_cndmask_b32_e64 v15, v15, v14, s[0:1]
	v_cndmask_b32_e64 v13, v13, v15, s[2:3]
	v_alignbit_b32 v16, v17, v13, v19
	v_cndmask_b32_e64 v16, v16, v17, s[4:5]
	v_bfe_u32 v21, v11, 29, 1
	v_cndmask_b32_e64 v12, v14, v12, s[0:1]
	v_alignbit_b32 v17, v11, v16, 30
	v_sub_u32_e32 v22, 0, v21
	v_cndmask_b32_e64 v12, v15, v12, s[2:3]
	v_xor_b32_e32 v17, v17, v22
	v_alignbit_b32 v14, v13, v12, v19
	v_cndmask_b32_e64 v13, v14, v13, s[4:5]
	v_ffbh_u32_e32 v15, v17
	v_alignbit_b32 v14, v16, v13, 30
	v_min_u32_e32 v15, 32, v15
	v_alignbit_b32 v12, v13, v12, 30
	v_xor_b32_e32 v14, v14, v22
	v_sub_u32_e32 v16, 31, v15
	v_xor_b32_e32 v12, v12, v22
	v_alignbit_b32 v17, v17, v14, v16
	v_alignbit_b32 v12, v14, v12, v16
	v_alignbit_b32 v13, v17, v12, 9
	v_ffbh_u32_e32 v14, v13
	v_min_u32_e32 v14, 32, v14
	v_lshrrev_b32_e32 v20, 29, v11
	v_not_b32_e32 v16, v14
	v_alignbit_b32 v12, v13, v12, v16
	v_lshlrev_b32_e32 v13, 31, v20
	v_or_b32_e32 v16, 0x33000000, v13
	v_add_lshl_u32 v14, v14, v15, 23
	v_lshrrev_b32_e32 v12, 9, v12
	v_sub_u32_e32 v14, v16, v14
	v_or_b32_e32 v13, 0.5, v13
	v_lshlrev_b32_e32 v15, 23, v15
	v_or_b32_e32 v12, v14, v12
	v_lshrrev_b32_e32 v14, 9, v17
	v_sub_u32_e32 v13, v13, v15
	v_or_b32_e32 v13, v14, v13
	s_mov_b32 s0, 0x3fc90fda
	v_mul_f32_e32 v14, 0x3fc90fda, v13
	v_fma_f32 v15, v13, s0, -v14
	v_fmamk_f32 v13, v13, 0x33a22168, v15
	v_fmac_f32_e32 v13, 0x3fc90fda, v12
	v_lshrrev_b32_e32 v11, 30, v11
	v_add_f32_e32 v12, v14, v13
	v_add_u32_e32 v11, v21, v11
	s_andn2_saveexec_b64 s[0:1], s[16:17]
	s_cbranch_execz .LBB19_155
	s_branch .LBB19_154
.LBB19_153:
	s_andn2_saveexec_b64 s[0:1], s[16:17]
	s_cbranch_execz .LBB19_155
.LBB19_154:
	s_mov_b32 s2, 0x3f22f983
	v_mul_f32_e64 v11, |v8|, s2
	v_rndne_f32_e32 v12, v11
	s_mov_b32 s2, 0xbfc90fda
	v_cvt_i32_f32_e32 v11, v12
	v_fma_f32 v13, v12, s2, |v8|
	v_fmamk_f32 v13, v12, 0xb3a22168, v13
	v_fmamk_f32 v12, v12, 0xa7c234c4, v13
.LBB19_155:
	s_or_b64 exec, exec, s[0:1]
                                        ; implicit-def: $vgpr13
                                        ; implicit-def: $vgpr14
	s_and_saveexec_b64 s[0:1], s[14:15]
	s_xor_b64 s[14:15], exec, s[0:1]
	s_cbranch_execz .LBB19_157
; %bb.156:
	v_lshrrev_b32_e32 v13, 23, v9
	v_add_u32_e32 v13, 0xffffff88, v13
	v_not_b32_e32 v14, 63
	v_cmp_lt_u32_e32 vcc, 63, v13
	s_mov_b32 s4, 0xfe5163ab
	v_mov_b32_e32 v17, 0
	v_cndmask_b32_e32 v14, 0, v14, vcc
	v_add_u32_e32 v13, v14, v13
	v_not_b32_e32 v14, 31
	v_cmp_lt_u32_e64 s[0:1], 31, v13
	s_nop 1
	v_cndmask_b32_e64 v15, 0, v14, s[0:1]
	v_add_u32_e32 v13, v15, v13
	v_cmp_lt_u32_e64 s[2:3], 31, v13
	s_nop 1
	v_cndmask_b32_e64 v14, 0, v14, s[2:3]
	v_add_u32_e32 v13, v14, v13
	v_and_b32_e32 v14, 0x7fffff, v9
	v_or_b32_e32 v28, 0x800000, v14
	v_mad_u64_u32 v[14:15], s[4:5], v28, s4, 0
	v_mov_b32_e32 v16, v15
	s_mov_b32 s4, 0x3c439041
	v_mad_u64_u32 v[18:19], s[4:5], v28, s4, v[16:17]
	v_mov_b32_e32 v16, v19
	s_mov_b32 s4, 0xdb629599
	;; [unrolled: 3-line block ×6, first 2 shown]
	v_mad_u64_u32 v[16:17], s[4:5], v28, s4, v[16:17]
	v_cndmask_b32_e32 v15, v26, v22, vcc
	v_cndmask_b32_e32 v16, v16, v24, vcc
	;; [unrolled: 1-line block ×3, first 2 shown]
	v_cndmask_b32_e64 v19, v16, v15, s[0:1]
	v_cndmask_b32_e64 v16, v17, v16, s[0:1]
	v_cndmask_b32_e32 v17, v24, v20, vcc
	v_cndmask_b32_e64 v15, v15, v17, s[0:1]
	v_cndmask_b32_e64 v16, v16, v19, s[2:3]
	;; [unrolled: 1-line block ×3, first 2 shown]
	v_sub_u32_e32 v21, 32, v13
	v_alignbit_b32 v23, v16, v19, v21
	v_cmp_eq_u32_e64 s[4:5], 0, v13
	v_cndmask_b32_e32 v14, v20, v14, vcc
	s_nop 0
	v_cndmask_b32_e64 v13, v23, v16, s[4:5]
	v_cndmask_b32_e32 v16, v22, v18, vcc
	v_cndmask_b32_e64 v17, v17, v16, s[0:1]
	v_cndmask_b32_e64 v15, v15, v17, s[2:3]
	v_alignbit_b32 v18, v19, v15, v21
	v_cndmask_b32_e64 v18, v18, v19, s[4:5]
	v_bfe_u32 v23, v13, 29, 1
	v_cndmask_b32_e64 v14, v16, v14, s[0:1]
	v_alignbit_b32 v19, v13, v18, 30
	v_sub_u32_e32 v24, 0, v23
	v_cndmask_b32_e64 v14, v17, v14, s[2:3]
	v_xor_b32_e32 v19, v19, v24
	v_alignbit_b32 v16, v15, v14, v21
	v_cndmask_b32_e64 v15, v16, v15, s[4:5]
	v_ffbh_u32_e32 v17, v19
	v_alignbit_b32 v16, v18, v15, 30
	v_min_u32_e32 v17, 32, v17
	v_alignbit_b32 v14, v15, v14, 30
	v_xor_b32_e32 v16, v16, v24
	v_sub_u32_e32 v18, 31, v17
	v_xor_b32_e32 v14, v14, v24
	v_alignbit_b32 v19, v19, v16, v18
	v_alignbit_b32 v14, v16, v14, v18
	v_alignbit_b32 v15, v19, v14, 9
	v_ffbh_u32_e32 v16, v15
	v_min_u32_e32 v16, 32, v16
	v_lshrrev_b32_e32 v22, 29, v13
	v_not_b32_e32 v18, v16
	v_alignbit_b32 v14, v15, v14, v18
	v_lshlrev_b32_e32 v15, 31, v22
	v_or_b32_e32 v18, 0x33000000, v15
	v_add_lshl_u32 v16, v16, v17, 23
	v_lshrrev_b32_e32 v14, 9, v14
	v_sub_u32_e32 v16, v18, v16
	v_or_b32_e32 v15, 0.5, v15
	v_lshlrev_b32_e32 v17, 23, v17
	v_or_b32_e32 v14, v16, v14
	v_lshrrev_b32_e32 v16, 9, v19
	v_sub_u32_e32 v15, v15, v17
	v_or_b32_e32 v15, v16, v15
	s_mov_b32 s0, 0x3fc90fda
	v_mul_f32_e32 v16, 0x3fc90fda, v15
	v_fma_f32 v17, v15, s0, -v16
	v_fmamk_f32 v15, v15, 0x33a22168, v17
	v_fmac_f32_e32 v15, 0x3fc90fda, v14
	v_lshrrev_b32_e32 v13, 30, v13
	v_add_f32_e32 v14, v16, v15
	v_add_u32_e32 v13, v23, v13
	s_andn2_saveexec_b64 s[0:1], s[14:15]
	s_cbranch_execnz .LBB19_158
	s_branch .LBB19_159
.LBB19_157:
	s_andn2_saveexec_b64 s[0:1], s[14:15]
	s_cbranch_execz .LBB19_159
.LBB19_158:
	s_mov_b32 s2, 0x3f22f983
	v_mul_f32_e64 v13, |v8|, s2
	v_rndne_f32_e32 v14, v13
	s_mov_b32 s2, 0xbfc90fda
	v_cvt_i32_f32_e32 v13, v14
	v_fma_f32 v15, v14, s2, |v8|
	v_fmamk_f32 v15, v14, 0xb3a22168, v15
	v_fmamk_f32 v14, v14, 0xa7c234c4, v15
.LBB19_159:
	s_or_b64 exec, exec, s[0:1]
	v_div_scale_f32 v15, s[0:1], v10, v10, 1.0
	v_rcp_f32_e32 v16, v15
	v_div_scale_f32 v17, vcc, 1.0, v10, 1.0
	v_xor_b32_e32 v9, v9, v8
	v_fma_f32 v18, -v15, v16, 1.0
	v_fmac_f32_e32 v16, v18, v16
	v_mul_f32_e32 v18, v17, v16
	v_fma_f32 v19, -v15, v18, v17
	v_fmac_f32_e32 v18, v19, v16
	v_fma_f32 v15, -v15, v18, v17
	v_div_fmas_f32 v15, v15, v16, v18
	v_div_fixup_f32 v10, v15, v10, 1.0
	v_mul_f32_e32 v15, v10, v10
	v_mov_b32_e32 v16, 0xbe06db67
	v_mul_f32_e32 v18, v12, v12
	v_mov_b32_e32 v19, 0x3c0881c4
	v_fmac_f32_e32 v16, 0, v15
	v_mov_b32_e32 v17, 0x4155b259
	v_fmamk_f32 v20, v18, 0xb94c1982, v19
	v_fmaak_f32 v16, v15, v16, 0xbf205f75
	v_fmac_f32_e32 v17, 0, v15
	v_fmaak_f32 v20, v18, v20, 0xbe2aaa9d
	v_fmaak_f32 v16, v15, v16, 0xbf3172ce
	v_fmaak_f32 v17, v15, v17, 0x4202bae2
	v_mul_f32_e32 v20, v18, v20
	v_fmaak_f32 v16, v15, v16, 0xbe8f3f52
	v_fmaak_f32 v17, v15, v17, 0x41d5e4c5
	v_fmac_f32_e32 v12, v12, v20
	v_mov_b32_e32 v20, 0xbab64f3b
	v_fmaak_f32 v16, v15, v16, 0xbd497b78
	v_fmaak_f32 v17, v15, v17, 0x4112fe41
	v_fmamk_f32 v22, v18, 0x37d75334, v20
	v_fmaak_f32 v16, v15, v16, 0xbb85200e
	v_fmaak_f32 v17, v15, v17, 0x3fbcd65a
	;; [unrolled: 1-line block ×8, first 2 shown]
	v_fma_f32 v18, v18, v22, 1.0
	v_and_b32_e32 v22, 1, v11
	v_lshlrev_b32_e32 v11, 30, v11
	v_fmaak_f32 v17, v15, v17, 0x389e46bd
	v_fmaak_f32 v16, v15, v16, 0xb29020e8
	v_cmp_eq_u32_e32 vcc, 0, v22
	v_and_b32_e32 v11, 0x80000000, v11
	v_fmaak_f32 v17, v15, v17, 0x34f295ce
	v_cndmask_b32_e32 v12, v18, v12, vcc
	v_xor_b32_e32 v9, v9, v11
	v_mul_f32_e32 v11, v15, v16
	v_xor_b32_e32 v9, v9, v12
	v_div_scale_f32 v12, s[0:1], v17, v17, v11
	v_rcp_f32_e32 v16, v12
	s_movk_i32 s2, 0x1f8
	v_mov_b32_e32 v18, 0x7fc00000
	v_cmp_class_f32_e64 s[0:1], v8, s2
	s_mov_b32 s2, 0xf800000
	s_mov_b32 s5, 0x3f106ebb
	v_cndmask_b32_e64 v8, v18, v9, s[0:1]
	v_fma_f32 v9, -v12, v16, 1.0
	v_fmac_f32_e32 v16, v9, v16
	v_div_scale_f32 v9, vcc, v11, v17, v11
	v_mul_f32_e32 v22, v9, v16
	v_fma_f32 v25, -v12, v22, v9
	v_fmac_f32_e32 v22, v25, v16
	v_fma_f32 v9, -v12, v22, v9
	v_div_fmas_f32 v9, v9, v16, v22
	v_mul_f32_e32 v16, 0x4f800000, v5
	v_cmp_gt_f32_e32 vcc, s2, v5
	v_div_fixup_f32 v9, v9, v17, v11
	v_mov_b32_e32 v11, 0x3ca1a92f
	v_cndmask_b32_e32 v5, v5, v16, vcc
	v_sqrt_f32_e32 v16, v5
	v_fmac_f32_e32 v11, 0, v15
	v_mov_b32_e32 v12, 0x4114f160
	v_fmaak_f32 v11, v15, v11, 0x3ec83ea8
	v_add_u32_e32 v17, -1, v16
	v_fma_f32 v22, -v17, v16, v5
	v_cmp_ge_f32_e64 s[2:3], 0, v22
	v_add_u32_e32 v22, 1, v16
	v_fmac_f32_e32 v12, 0, v15
	v_cndmask_b32_e64 v17, v16, v17, s[2:3]
	v_fma_f32 v16, -v22, v16, v5
	v_cmp_lt_f32_e64 s[2:3], 0, v16
	v_fmaak_f32 v11, v15, v11, 0x3f886c1a
	v_fmaak_f32 v12, v15, v12, 0x419eaeae
	v_cndmask_b32_e64 v16, v17, v22, s[2:3]
	v_mul_f32_e32 v17, 0x37800000, v16
	v_cndmask_b32_e32 v16, v16, v17, vcc
	v_mov_b32_e32 v17, 0x260
	v_fmaak_f32 v11, v15, v11, 0x3f706d65
	v_fmaak_f32 v12, v15, v12, 0x417908dc
	v_cmp_class_f32_e32 vcc, v5, v17
	v_fmaak_f32 v11, v15, v11, 0x3eb3f34e
	v_fmaak_f32 v12, v15, v12, 0x40af4271
	v_cndmask_b32_e32 v5, v16, v5, vcc
	v_fmaak_f32 v11, v15, v11, 0x3d81d209
	v_fmaak_f32 v12, v15, v12, 0x3f744c96
	v_div_scale_f32 v16, s[2:3], v5, v5, s5
	v_fmaak_f32 v11, v15, v11, 0x3bbff4d0
	v_fmaak_f32 v12, v15, v12, 0x3db110ef
	v_rcp_f32_e32 v17, v16
	v_fmaak_f32 v11, v15, v11, 0x39944bb3
	v_fmaak_f32 v12, v15, v12, 0x3b873823
	;; [unrolled: 1-line block ×8, first 2 shown]
	v_fma_f32 v15, -v16, v17, 1.0
	v_fmac_f32_e32 v17, v15, v17
	v_div_scale_f32 v15, vcc, s5, v5, s5
	v_mul_f32_e32 v22, v15, v17
	v_fma_f32 v25, -v16, v22, v15
	v_fmac_f32_e32 v22, v25, v17
	v_fma_f32 v15, -v16, v22, v15
	v_div_fmas_f32 v15, v15, v17, v22
	v_div_fixup_f32 v5, v15, v5, s5
	v_mul_f32_e32 v15, v14, v14
	v_mov_b32_e32 v21, 0xbe2aaa9d
	v_fmac_f32_e32 v19, 0xb94c1982, v15
	v_mov_b32_e32 v23, 0x3d2aabf7
	v_fmac_f32_e32 v21, v15, v19
	v_fmac_f32_e32 v20, 0x37d75334, v15
	v_mov_b32_e32 v24, 0xbf000004
	v_mul_f32_e32 v16, v15, v21
	v_fmac_f32_e32 v23, v15, v20
	v_fmac_f32_e32 v14, v14, v16
	;; [unrolled: 1-line block ×3, first 2 shown]
	v_and_b32_e32 v16, 1, v13
	v_mul_f32_e32 v10, v10, v11
	v_fma_f32 v15, v15, v24, 1.0
	v_cmp_eq_u32_e32 vcc, 0, v16
	v_div_scale_f32 v11, s[2:3], v12, v12, v10
	s_nop 0
	v_cndmask_b32_e64 v14, -v14, v15, vcc
	v_rcp_f32_e32 v15, v11
	s_brev_b32 s4, 1
	v_lshlrev_b32_e32 v13, 30, v13
	v_bitop3_b32 v13, v13, v14, s4 bitop3:0x6c
	v_fma_f32 v14, -v11, v15, 1.0
	v_fmac_f32_e32 v15, v14, v15
	v_div_scale_f32 v14, vcc, v10, v12, v10
	v_mul_f32_e32 v16, v14, v15
	v_fma_f32 v17, -v11, v16, v14
	v_fmac_f32_e32 v16, v17, v15
	v_fma_f32 v11, -v11, v16, v14
	v_div_fmas_f32 v11, v11, v15, v16
	v_cndmask_b32_e64 v13, v18, v13, s[0:1]
	v_div_fixup_f32 v10, v11, v12, v10
	v_add_f32_e32 v9, 1.0, v9
	v_mul_f32_e32 v10, v10, v13
	v_fma_f32 v8, v9, v8, -v10
	v_mul_f32_e32 v5, v5, v8
.LBB19_160:
	s_or_b64 exec, exec, s[12:13]
.LBB19_161:
	s_or_b64 exec, exec, s[10:11]
.LBB19_162:
	s_or_b64 exec, exec, s[6:7]
	global_store_dword v0, v3, s[8:9]
	global_store_dword v2, v1, s[8:9]
	;; [unrolled: 1-line block ×4, first 2 shown]
	s_endpgm
.LBB19_163:
	v_mov_b32_e32 v2, 0
	v_mov_b32_e32 v0, 0
	s_branch .LBB19_169
.LBB19_164:
	v_mov_b32_e32 v2, 0
	v_mov_b32_e32 v0, 0
	s_branch .LBB19_189
.LBB19_165:
	v_mov_b32_e32 v0, 0
	s_mov_b32 s57, 0
	v_mov_b32_e32 v1, v0
                                        ; implicit-def: $vgpr2
	v_mov_b32_e32 v4, v8
.LBB19_166:
	s_and_b32 s4, s58, 3
	s_cmp_eq_u32 s4, 0
	s_cbranch_scc1 .LBB19_169
; %bb.167:
	s_lshl_b32 s0, s57, 3
	s_add_u32 s0, s34, s0
	s_addc_u32 s1, s35, 0
	s_add_u32 s0, s0, 0xc4
	s_addc_u32 s1, s1, 0
	s_mul_i32 s2, s57, 12
	s_add_u32 s2, s34, s2
	s_addc_u32 s3, s35, 0
.LBB19_168:                             ; =>This Inner Loop Header: Depth=1
	s_load_dwordx2 s[6:7], s[2:3], 0x4
	s_load_dword s5, s[2:3], 0xc
	s_load_dwordx2 s[8:9], s[0:1], 0x0
	v_mov_b32_e32 v2, v1
	s_add_u32 s2, s2, 12
	s_waitcnt lgkmcnt(0)
	v_mul_hi_u32 v1, s7, v4
	v_add_u32_e32 v1, v4, v1
	v_lshrrev_b32_e32 v1, s5, v1
	s_addc_u32 s3, s3, 0
	v_mul_lo_u32 v3, v1, s6
	s_add_u32 s0, s0, 8
	v_sub_u32_e32 v5, v4, v3
	s_addc_u32 s1, s1, 0
	s_add_i32 s4, s4, -1
	v_mov_b32_e32 v4, v1
	v_mad_u64_u32 v[2:3], s[6:7], v5, s9, v[2:3]
	v_mad_u64_u32 v[0:1], s[6:7], v5, s8, v[0:1]
	s_cmp_lg_u32 s4, 0
	v_mov_b32_e32 v1, v2
	s_cbranch_scc1 .LBB19_168
.LBB19_169:
	s_cbranch_execnz .LBB19_172
.LBB19_170:
	s_waitcnt lgkmcnt(0)
	v_mul_hi_u32 v0, s25, v8
	v_add_u32_e32 v0, v8, v0
	v_lshrrev_b32_e32 v1, s26, v0
	v_mul_lo_u32 v0, v1, s24
	v_sub_u32_e32 v0, v8, v0
	v_mul_lo_u32 v2, v0, s21
	s_andn2_b64 vcc, exec, s[42:43]
	v_mul_lo_u32 v0, v0, s20
	s_cbranch_vccnz .LBB19_172
; %bb.171:
	v_mul_hi_u32 v3, s40, v1
	v_add_u32_e32 v3, v1, v3
	v_lshrrev_b32_e32 v3, s41, v3
	v_mul_lo_u32 v3, v3, s27
	v_sub_u32_e32 v3, v1, v3
	v_mad_u64_u32 v[0:1], s[0:1], v3, s22, v[0:1]
	v_mad_u64_u32 v[2:3], s[0:1], v3, s23, v[2:3]
.LBB19_172:
	s_waitcnt lgkmcnt(0)
	global_load_dword v3, v2, s[18:19]
	s_mov_b32 s0, 0x7f800000
	v_mov_b32_e32 v1, 0x7fc00000
	s_waitcnt vmcnt(0)
	v_cmp_neq_f32_e64 s[0:1], |v3|, s0
	s_and_saveexec_b64 s[6:7], s[0:1]
	s_cbranch_execz .LBB19_218
; %bb.173:
	s_mov_b32 s0, 0x42cfc8b4
	v_cmp_nlt_f32_e32 vcc, s0, v3
	v_mov_b32_e32 v1, 0
	s_and_saveexec_b64 s[8:9], vcc
	s_cbranch_execz .LBB19_217
; %bb.174:
	s_mov_b32 s0, 0xc005c28f
	v_cmp_ngt_f32_e32 vcc, s0, v3
                                        ; implicit-def: $vgpr1
	s_and_saveexec_b64 s[0:1], vcc
	s_xor_b64 s[2:3], exec, s[0:1]
	s_cbranch_execz .LBB19_182
; %bb.175:
	s_mov_b32 s0, 0x4005c28f
	v_cmp_nle_f32_e64 s[4:5], s0, v3
	v_cmp_le_f32_e32 vcc, s0, v3
	v_mov_b32_e32 v1, 0
	s_mov_b64 s[0:1], s[4:5]
	s_and_saveexec_b64 s[10:11], vcc
	s_cbranch_execz .LBB19_177
; %bb.176:
	s_mov_b32 s12, 0xf800000
	v_mul_f32_e32 v1, 0x4f800000, v3
	v_cmp_gt_f32_e32 vcc, s12, v3
	v_add_f32_e32 v4, v3, v3
	s_mov_b32 s13, 0x40400000
	v_cndmask_b32_e32 v1, v3, v1, vcc
	v_sqrt_f32_e32 v2, v1
	s_nop 0
	v_add_u32_e32 v5, -1, v2
	v_fma_f32 v6, -v5, v2, v1
	v_cmp_ge_f32_e64 s[0:1], 0, v6
	v_add_u32_e32 v6, 1, v2
	s_nop 0
	v_cndmask_b32_e64 v5, v2, v5, s[0:1]
	v_fma_f32 v2, -v6, v2, v1
	v_cmp_lt_f32_e64 s[0:1], 0, v2
	s_nop 1
	v_cndmask_b32_e64 v2, v5, v6, s[0:1]
	v_mul_f32_e32 v5, 0x37800000, v2
	v_mov_b32_e32 v6, 0x260
	v_cndmask_b32_e32 v2, v2, v5, vcc
	v_cmp_class_f32_e32 vcc, v1, v6
	s_nop 1
	v_cndmask_b32_e32 v1, v2, v1, vcc
	v_mul_f32_e32 v2, v4, v1
	v_div_scale_f32 v4, s[0:1], s13, s13, v2
	v_rcp_f32_e32 v5, v4
	s_nop 0
	v_fma_f32 v7, -v4, v5, 1.0
	v_fmac_f32_e32 v5, v7, v5
	v_div_scale_f32 v7, vcc, v2, s13, v2
	v_mul_f32_e32 v9, v7, v5
	v_fma_f32 v10, -v4, v9, v7
	v_fmac_f32_e32 v9, v10, v5
	v_fma_f32 v4, -v4, v9, v7
	v_div_fmas_f32 v4, v4, v5, v9
	v_div_fixup_f32 v7, v4, s13, v2
	v_div_scale_f32 v2, s[0:1], v7, v7, 1.0
	v_rcp_f32_e32 v4, v2
	s_mov_b32 s0, 0x3eb16d71
	s_mov_b32 s1, 0x3f114de0
	v_fma_f32 v5, -v2, v4, 1.0
	v_fmac_f32_e32 v4, v5, v4
	v_div_scale_f32 v5, vcc, 1.0, v7, 1.0
	v_mul_f32_e32 v9, v5, v4
	v_fma_f32 v10, -v2, v9, v5
	v_fmac_f32_e32 v9, v10, v4
	v_fma_f32 v2, -v2, v9, v5
	v_div_fmas_f32 v2, v2, v4, v9
	v_div_fixup_f32 v2, v2, v7, 1.0
	v_mul_f32_e32 v4, 0, v2
	v_pk_add_f32 v[4:5], v[4:5], s[0:1] op_sel_hi:[0,1]
	s_mov_b32 s0, 0x41401f1c
	s_mov_b32 s1, 0x416c19a0
	v_pk_fma_f32 v[4:5], v[2:3], v[4:5], s[0:1] op_sel_hi:[0,1,1]
	s_mov_b32 s0, 0x42988f28
	s_mov_b32 s1, 0x42a9071e
	v_pk_fma_f32 v[4:5], v[2:3], v[4:5], s[0:1] op_sel_hi:[0,1,1]
	;; [unrolled: 3-line block ×6, first 2 shown]
	v_pk_fma_f32 v[4:5], v[2:3], v[4:5], 1.0 op_sel_hi:[0,1,0]
	v_div_scale_f32 v2, s[0:1], v5, v5, v4
	v_rcp_f32_e32 v9, v2
	v_cmp_gt_f32_e64 s[0:1], s12, v1
	v_fma_f32 v10, -v2, v9, 1.0
	v_fmac_f32_e32 v9, v10, v9
	v_div_scale_f32 v10, vcc, v4, v5, v4
	v_mul_f32_e32 v11, v10, v9
	v_fma_f32 v12, -v2, v11, v10
	v_fmac_f32_e32 v11, v12, v9
	v_fma_f32 v2, -v2, v11, v10
	v_mul_f32_e32 v10, 0x4f800000, v1
	v_cndmask_b32_e64 v1, v1, v10, s[0:1]
	v_sqrt_f32_e32 v10, v1
	v_div_fmas_f32 v2, v2, v9, v11
	v_div_fixup_f32 v4, v2, v5, v4
	v_add_u32_e32 v2, -1, v10
	v_fma_f32 v5, -v2, v10, v1
	v_cmp_ge_f32_e32 vcc, 0, v5
	v_add_u32_e32 v5, 1, v10
	v_fma_f32 v9, -v5, v10, v1
	v_cndmask_b32_e32 v2, v10, v2, vcc
	v_cmp_lt_f32_e32 vcc, 0, v9
	s_nop 1
	v_cndmask_b32_e32 v2, v2, v5, vcc
	v_mul_f32_e32 v5, 0x37800000, v2
	v_cndmask_b32_e64 v2, v2, v5, s[0:1]
	v_cmp_class_f32_e32 vcc, v1, v6
	s_mov_b32 s0, 0x3fb8aa3b
	s_nop 0
	v_cndmask_b32_e32 v5, v2, v1, vcc
	v_mul_f32_e32 v1, 0x3fb8aa3b, v7
	v_fma_f32 v2, v7, s0, -v1
	v_rndne_f32_e32 v6, v1
	v_fmamk_f32 v2, v7, 0x32a5705f, v2
	v_sub_f32_e32 v1, v1, v6
	v_add_f32_e32 v1, v1, v2
	v_exp_f32_e32 v1, v1
	v_cvt_i32_f32_e32 v2, v6
	s_mov_b32 s0, 0x3f106ebb
	s_mov_b32 s1, 2.0
	v_pk_mul_f32 v[4:5], v[4:5], s[0:1]
	s_mov_b32 s0, 0xc2ce8ed0
	v_ldexp_f32 v1, v1, v2
	v_cmp_ngt_f32_e32 vcc, s0, v7
	s_mov_b32 s0, 0x42b17218
	v_mov_b32_e32 v2, 0x7f800000
	v_cndmask_b32_e32 v1, 0, v1, vcc
	v_cmp_nlt_f32_e32 vcc, s0, v7
	s_nop 1
	v_cndmask_b32_e32 v1, v2, v1, vcc
	v_mul_f32_e32 v1, v5, v1
	v_div_scale_f32 v2, s[0:1], v1, v1, v4
	v_rcp_f32_e32 v5, v2
	s_mov_b32 s0, 0x41052018
	v_fma_f32 v6, -v2, v5, 1.0
	v_fmac_f32_e32 v5, v6, v5
	v_div_scale_f32 v6, vcc, v4, v1, v4
	v_mul_f32_e32 v7, v6, v5
	v_fma_f32 v9, -v2, v7, v6
	v_fmac_f32_e32 v7, v9, v5
	v_fma_f32 v2, -v2, v7, v6
	v_div_fmas_f32 v2, v2, v5, v7
	v_cmp_nlt_f32_e32 vcc, s0, v3
	s_andn2_b64 s[0:1], s[4:5], exec
	s_and_b64 s[12:13], vcc, exec
	v_div_fixup_f32 v1, v2, v1, v4
	s_or_b64 s[0:1], s[0:1], s[12:13]
.LBB19_177:
	s_or_b64 exec, exec, s[10:11]
	s_and_saveexec_b64 s[10:11], s[0:1]
	s_cbranch_execz .LBB19_181
; %bb.178:
	v_mul_f32_e32 v2, v3, v3
	v_mul_f32_e32 v4, v3, v2
	v_mov_b32_e32 v5, v4
	s_mov_b64 s[12:13], 0
	v_mov_b32_e32 v9, 1.0
	v_mov_b32_e32 v2, 1.0
	;; [unrolled: 1-line block ×3, first 2 shown]
	s_brev_b32 s14, 44
	v_mov_b32_e32 v7, v3
.LBB19_179:                             ; =>This Inner Loop Header: Depth=1
	v_pk_mul_f32 v[6:7], v[4:5], v[6:7]
	v_add_f32_e32 v10, 1.0, v9
	v_add_f32_e32 v11, 1.0, v10
	v_div_scale_f32 v12, s[0:1], v10, v10, v6
	v_rcp_f32_e32 v14, v12
	v_div_scale_f32 v15, s[0:1], v11, v11, v7
	v_rcp_f32_e32 v17, v15
	v_fma_f32 v18, -v12, v14, 1.0
	v_div_scale_f32 v13, vcc, v6, v10, v6
	v_fmac_f32_e32 v14, v18, v14
	v_fma_f32 v18, -v15, v17, 1.0
	v_div_scale_f32 v16, s[0:1], v7, v11, v7
	v_mul_f32_e32 v19, v13, v14
	v_fmac_f32_e32 v17, v18, v17
	v_fma_f32 v18, -v12, v19, v13
	v_mul_f32_e32 v20, v16, v17
	v_fmac_f32_e32 v19, v18, v14
	v_fma_f32 v18, -v15, v20, v16
	v_fma_f32 v12, -v12, v19, v13
	v_fmac_f32_e32 v20, v18, v17
	v_div_fmas_f32 v12, v12, v14, v19
	v_fma_f32 v13, -v15, v20, v16
	s_mov_b64 vcc, s[0:1]
	v_div_fixup_f32 v6, v12, v10, v6
	v_div_fmas_f32 v10, v13, v17, v20
	v_add_f32_e32 v9, 1.0, v11
	v_div_fixup_f32 v7, v10, v11, v7
	v_div_scale_f32 v10, s[0:1], v11, v11, v6
	v_div_scale_f32 v13, s[28:29], v9, v9, v7
	v_rcp_f32_e32 v15, v10
	v_rcp_f32_e32 v16, v13
	v_div_scale_f32 v12, s[0:1], v6, v11, v6
	v_fma_f32 v17, -v10, v15, 1.0
	v_fma_f32 v18, -v13, v16, 1.0
	v_div_scale_f32 v14, vcc, v7, v9, v7
	v_fmac_f32_e32 v15, v17, v15
	v_fmac_f32_e32 v16, v18, v16
	v_mul_f32_e32 v17, v12, v15
	v_mul_f32_e32 v18, v14, v16
	v_fma_f32 v19, -v10, v17, v12
	v_fma_f32 v20, -v13, v18, v14
	v_fmac_f32_e32 v17, v19, v15
	v_fmac_f32_e32 v18, v20, v16
	v_fma_f32 v10, -v10, v17, v12
	v_fma_f32 v12, -v13, v18, v14
	v_div_fmas_f32 v12, v12, v16, v18
	s_mov_b64 vcc, s[0:1]
	v_div_fmas_f32 v10, v10, v15, v17
	v_div_fixup_f32 v7, v12, v9, v7
	v_div_fixup_f32 v6, v10, v11, v6
	v_pk_add_f32 v[2:3], v[2:3], v[6:7]
	s_nop 0
	v_div_scale_f32 v10, s[0:1], v2, v2, v6
	v_rcp_f32_e32 v11, v10
	v_div_scale_f32 v12, vcc, v6, v2, v6
	v_fma_f32 v13, -v10, v11, 1.0
	v_fmac_f32_e32 v11, v13, v11
	v_mul_f32_e32 v13, v12, v11
	v_fma_f32 v14, -v10, v13, v12
	v_fmac_f32_e32 v13, v14, v11
	v_fma_f32 v10, -v10, v13, v12
	v_div_fmas_f32 v10, v10, v11, v13
	v_div_fixup_f32 v10, v10, v2, v6
	v_cmp_ngt_f32_e64 s[0:1], |v10|, s14
	s_or_b64 s[12:13], s[0:1], s[12:13]
	s_andn2_b64 exec, exec, s[12:13]
	s_cbranch_execnz .LBB19_179
; %bb.180:
	s_or_b64 exec, exec, s[12:13]
	s_mov_b32 s0, 0x3eb5c63d
	s_mov_b32 s1, 0x3e8483fa
	v_pk_mul_f32 v[2:3], v[2:3], s[0:1]
	s_nop 0
	v_sub_f32_e32 v2, v2, v3
	v_cndmask_b32_e64 v1, v1, v2, s[4:5]
.LBB19_181:
	s_or_b64 exec, exec, s[10:11]
                                        ; implicit-def: $vgpr3
.LBB19_182:
	s_andn2_saveexec_b64 s[10:11], s[2:3]
	s_cbranch_execz .LBB19_216
; %bb.183:
	s_mov_b32 s0, 0x8f800000
	v_mul_f32_e32 v1, 0xcf800000, v3
	v_cmp_lt_f32_e32 vcc, s0, v3
	s_mov_b32 s2, 0x40400000
	s_nop 0
	v_cndmask_b32_e64 v1, -v3, v1, vcc
	v_sqrt_f32_e32 v2, v1
	v_mul_f32_e32 v3, -2.0, v3
	v_add_u32_e32 v4, -1, v2
	v_fma_f32 v5, -v4, v2, v1
	v_cmp_ge_f32_e64 s[0:1], 0, v5
	v_add_u32_e32 v5, 1, v2
	s_nop 0
	v_cndmask_b32_e64 v4, v2, v4, s[0:1]
	v_fma_f32 v2, -v5, v2, v1
	v_cmp_lt_f32_e64 s[0:1], 0, v2
	s_nop 1
	v_cndmask_b32_e64 v2, v4, v5, s[0:1]
	v_mul_f32_e32 v4, 0x37800000, v2
	v_cndmask_b32_e32 v2, v2, v4, vcc
	v_mov_b32_e32 v4, 0x260
	v_cmp_class_f32_e32 vcc, v1, v4
	s_nop 1
	v_cndmask_b32_e32 v1, v2, v1, vcc
	v_mul_f32_e32 v2, v3, v1
	v_div_scale_f32 v3, s[0:1], s2, s2, v2
	v_rcp_f32_e32 v4, v3
	s_brev_b32 s0, 18
	v_fma_f32 v5, -v3, v4, 1.0
	v_fmac_f32_e32 v4, v5, v4
	v_div_scale_f32 v5, vcc, v2, s2, v2
	v_mul_f32_e32 v6, v5, v4
	v_fma_f32 v7, -v3, v6, v5
	v_fmac_f32_e32 v6, v7, v4
	v_fma_f32 v3, -v3, v6, v5
	v_div_fmas_f32 v3, v3, v4, v6
	v_div_fixup_f32 v4, v3, s2, v2
	v_add_f32_e32 v2, 0x3f490fdb, v4
	v_and_b32_e32 v3, 0x7fffffff, v2
	v_cmp_nlt_f32_e64 s[12:13], |v2|, s0
                                        ; implicit-def: $vgpr5
                                        ; implicit-def: $vgpr6
	s_and_saveexec_b64 s[0:1], s[12:13]
	s_xor_b64 s[14:15], exec, s[0:1]
	s_cbranch_execz .LBB19_205
; %bb.184:
	v_lshrrev_b32_e32 v5, 23, v3
	v_add_u32_e32 v5, 0xffffff88, v5
	v_not_b32_e32 v6, 63
	v_cmp_lt_u32_e32 vcc, 63, v5
	s_mov_b32 s4, 0xfe5163ab
	v_mov_b32_e32 v11, 0
	v_cndmask_b32_e32 v6, 0, v6, vcc
	v_add_u32_e32 v5, v6, v5
	v_not_b32_e32 v6, 31
	v_cmp_lt_u32_e64 s[0:1], 31, v5
	s_nop 1
	v_cndmask_b32_e64 v7, 0, v6, s[0:1]
	v_add_u32_e32 v5, v7, v5
	v_cmp_lt_u32_e64 s[2:3], 31, v5
	s_nop 1
	v_cndmask_b32_e64 v6, 0, v6, s[2:3]
	v_add_u32_e32 v5, v6, v5
	v_and_b32_e32 v6, 0x7fffff, v3
	v_or_b32_e32 v9, 0x800000, v6
	v_mad_u64_u32 v[6:7], s[4:5], v9, s4, 0
	v_mov_b32_e32 v10, v7
	s_mov_b32 s4, 0x3c439041
	v_mad_u64_u32 v[12:13], s[4:5], v9, s4, v[10:11]
	v_mov_b32_e32 v10, v13
	s_mov_b32 s4, 0xdb629599
	;; [unrolled: 3-line block ×6, first 2 shown]
	v_mad_u64_u32 v[10:11], s[4:5], v9, s4, v[10:11]
	v_cndmask_b32_e32 v7, v20, v16, vcc
	v_cndmask_b32_e32 v9, v10, v18, vcc
	;; [unrolled: 1-line block ×3, first 2 shown]
	v_cndmask_b32_e64 v10, v9, v7, s[0:1]
	v_cndmask_b32_e64 v9, v11, v9, s[0:1]
	v_cndmask_b32_e32 v11, v18, v14, vcc
	v_cndmask_b32_e64 v7, v7, v11, s[0:1]
	v_cndmask_b32_e64 v9, v9, v10, s[2:3]
	;; [unrolled: 1-line block ×3, first 2 shown]
	v_sub_u32_e32 v13, 32, v5
	v_alignbit_b32 v15, v9, v10, v13
	v_cmp_eq_u32_e64 s[4:5], 0, v5
	v_cndmask_b32_e32 v6, v14, v6, vcc
	s_nop 0
	v_cndmask_b32_e64 v5, v15, v9, s[4:5]
	v_cndmask_b32_e32 v9, v16, v12, vcc
	v_cndmask_b32_e64 v11, v11, v9, s[0:1]
	v_cndmask_b32_e64 v7, v7, v11, s[2:3]
	v_alignbit_b32 v12, v10, v7, v13
	v_cndmask_b32_e64 v6, v9, v6, s[0:1]
	v_cndmask_b32_e64 v10, v12, v10, s[4:5]
	v_bfe_u32 v16, v5, 29, 1
	v_cndmask_b32_e64 v6, v11, v6, s[2:3]
	v_alignbit_b32 v12, v5, v10, 30
	v_sub_u32_e32 v17, 0, v16
	v_alignbit_b32 v9, v7, v6, v13
	v_xor_b32_e32 v12, v12, v17
	v_cndmask_b32_e64 v7, v9, v7, s[4:5]
	v_alignbit_b32 v9, v10, v7, 30
	v_ffbh_u32_e32 v10, v12
	v_min_u32_e32 v10, 32, v10
	v_alignbit_b32 v6, v7, v6, 30
	v_xor_b32_e32 v9, v9, v17
	v_sub_u32_e32 v11, 31, v10
	v_xor_b32_e32 v6, v6, v17
	v_alignbit_b32 v12, v12, v9, v11
	v_alignbit_b32 v6, v9, v6, v11
	;; [unrolled: 1-line block ×3, first 2 shown]
	v_ffbh_u32_e32 v9, v7
	v_min_u32_e32 v9, 32, v9
	v_lshrrev_b32_e32 v15, 29, v5
	v_not_b32_e32 v11, v9
	v_alignbit_b32 v6, v7, v6, v11
	v_lshlrev_b32_e32 v7, 31, v15
	v_or_b32_e32 v11, 0x33000000, v7
	v_add_lshl_u32 v9, v9, v10, 23
	v_lshrrev_b32_e32 v6, 9, v6
	v_sub_u32_e32 v9, v11, v9
	v_or_b32_e32 v7, 0.5, v7
	v_lshlrev_b32_e32 v10, 23, v10
	v_or_b32_e32 v6, v9, v6
	v_lshrrev_b32_e32 v9, 9, v12
	v_sub_u32_e32 v7, v7, v10
	v_or_b32_e32 v7, v9, v7
	s_mov_b32 s0, 0x3fc90fda
	v_mul_f32_e32 v9, 0x3fc90fda, v7
	v_fma_f32 v10, v7, s0, -v9
	v_fmamk_f32 v7, v7, 0x33a22168, v10
	v_fmac_f32_e32 v7, 0x3fc90fda, v6
	v_lshrrev_b32_e32 v5, 30, v5
	v_add_f32_e32 v6, v9, v7
	v_add_u32_e32 v5, v16, v5
	s_andn2_saveexec_b64 s[0:1], s[14:15]
	s_cbranch_execz .LBB19_207
	s_branch .LBB19_206
.LBB19_185:
	v_mov_b32_e32 v0, 0
	s_mov_b32 s57, 0
	v_mov_b32_e32 v1, v0
                                        ; implicit-def: $vgpr2
	v_mov_b32_e32 v4, v8
.LBB19_186:
	s_and_b32 s4, s58, 3
	s_cmp_eq_u32 s4, 0
	s_cbranch_scc1 .LBB19_189
; %bb.187:
	s_lshl_b32 s0, s57, 3
	s_add_u32 s0, s34, s0
	s_addc_u32 s1, s35, 0
	s_add_u32 s0, s0, 0xc4
	s_addc_u32 s1, s1, 0
	s_mul_i32 s2, s57, 12
	s_add_u32 s2, s34, s2
	s_addc_u32 s3, s35, 0
.LBB19_188:                             ; =>This Inner Loop Header: Depth=1
	s_load_dwordx2 s[6:7], s[2:3], 0x4
	s_load_dword s5, s[2:3], 0xc
	s_load_dwordx2 s[8:9], s[0:1], 0x0
	v_mov_b32_e32 v2, v1
	s_add_u32 s2, s2, 12
	s_waitcnt lgkmcnt(0)
	v_mul_hi_u32 v1, s7, v4
	v_add_u32_e32 v1, v4, v1
	v_lshrrev_b32_e32 v1, s5, v1
	s_addc_u32 s3, s3, 0
	v_mul_lo_u32 v3, v1, s6
	s_add_u32 s0, s0, 8
	v_sub_u32_e32 v5, v4, v3
	s_addc_u32 s1, s1, 0
	s_add_i32 s4, s4, -1
	v_mov_b32_e32 v4, v1
	v_mad_u64_u32 v[2:3], s[6:7], v5, s9, v[2:3]
	v_mad_u64_u32 v[0:1], s[6:7], v5, s8, v[0:1]
	s_cmp_lg_u32 s4, 0
	v_mov_b32_e32 v1, v2
	s_cbranch_scc1 .LBB19_188
.LBB19_189:
	s_cbranch_execnz .LBB19_192
.LBB19_190:
	s_waitcnt lgkmcnt(0)
	v_mul_hi_u32 v0, s25, v8
	v_add_u32_e32 v0, v8, v0
	v_lshrrev_b32_e32 v1, s26, v0
	v_mul_lo_u32 v0, v1, s24
	v_sub_u32_e32 v0, v8, v0
	v_mul_lo_u32 v2, v0, s21
	s_andn2_b64 vcc, exec, s[42:43]
	v_mul_lo_u32 v0, v0, s20
	s_cbranch_vccnz .LBB19_192
; %bb.191:
	v_mul_hi_u32 v3, s40, v1
	v_add_u32_e32 v3, v1, v3
	v_lshrrev_b32_e32 v3, s41, v3
	v_mul_lo_u32 v3, v3, s27
	v_sub_u32_e32 v3, v1, v3
	v_mad_u64_u32 v[0:1], s[0:1], v3, s22, v[0:1]
	v_mad_u64_u32 v[2:3], s[0:1], v3, s23, v[2:3]
.LBB19_192:
	s_waitcnt lgkmcnt(0)
	global_load_dword v3, v2, s[18:19]
	s_mov_b32 s0, 0x7f800000
	v_mov_b32_e32 v1, 0x7fc00000
	s_waitcnt vmcnt(0)
	v_cmp_neq_f32_e64 s[0:1], |v3|, s0
	s_and_saveexec_b64 s[6:7], s[0:1]
	s_cbranch_execz .LBB19_253
; %bb.193:
	s_mov_b32 s0, 0x42cfc8b4
	v_cmp_nlt_f32_e32 vcc, s0, v3
	v_mov_b32_e32 v1, 0
	s_and_saveexec_b64 s[8:9], vcc
	s_cbranch_execz .LBB19_252
; %bb.194:
	s_mov_b32 s0, 0xc005c28f
	v_cmp_ngt_f32_e32 vcc, s0, v3
                                        ; implicit-def: $vgpr1
	s_and_saveexec_b64 s[0:1], vcc
	s_xor_b64 s[2:3], exec, s[0:1]
	s_cbranch_execz .LBB19_202
; %bb.195:
	s_mov_b32 s0, 0x4005c28f
	v_cmp_nle_f32_e64 s[4:5], s0, v3
	v_cmp_le_f32_e32 vcc, s0, v3
	v_mov_b32_e32 v1, 0
	s_mov_b64 s[0:1], s[4:5]
	s_and_saveexec_b64 s[10:11], vcc
	s_cbranch_execz .LBB19_197
; %bb.196:
	s_mov_b32 s12, 0xf800000
	v_mul_f32_e32 v1, 0x4f800000, v3
	v_cmp_gt_f32_e32 vcc, s12, v3
	v_add_f32_e32 v4, v3, v3
	s_mov_b32 s13, 0x40400000
	v_cndmask_b32_e32 v1, v3, v1, vcc
	v_sqrt_f32_e32 v2, v1
	s_nop 0
	v_add_u32_e32 v5, -1, v2
	v_fma_f32 v6, -v5, v2, v1
	v_cmp_ge_f32_e64 s[0:1], 0, v6
	v_add_u32_e32 v6, 1, v2
	s_nop 0
	v_cndmask_b32_e64 v5, v2, v5, s[0:1]
	v_fma_f32 v2, -v6, v2, v1
	v_cmp_lt_f32_e64 s[0:1], 0, v2
	s_nop 1
	v_cndmask_b32_e64 v2, v5, v6, s[0:1]
	v_mul_f32_e32 v5, 0x37800000, v2
	v_mov_b32_e32 v6, 0x260
	v_cndmask_b32_e32 v2, v2, v5, vcc
	v_cmp_class_f32_e32 vcc, v1, v6
	s_nop 1
	v_cndmask_b32_e32 v1, v2, v1, vcc
	v_mul_f32_e32 v2, v4, v1
	v_div_scale_f32 v4, s[0:1], s13, s13, v2
	v_rcp_f32_e32 v5, v4
	s_nop 0
	v_fma_f32 v7, -v4, v5, 1.0
	v_fmac_f32_e32 v5, v7, v5
	v_div_scale_f32 v7, vcc, v2, s13, v2
	v_mul_f32_e32 v9, v7, v5
	v_fma_f32 v10, -v4, v9, v7
	v_fmac_f32_e32 v9, v10, v5
	v_fma_f32 v4, -v4, v9, v7
	v_div_fmas_f32 v4, v4, v5, v9
	v_div_fixup_f32 v7, v4, s13, v2
	v_div_scale_f32 v2, s[0:1], v7, v7, 1.0
	v_rcp_f32_e32 v4, v2
	s_mov_b32 s0, 0x3eb16d71
	s_mov_b32 s1, 0x3f114de0
	v_fma_f32 v5, -v2, v4, 1.0
	v_fmac_f32_e32 v4, v5, v4
	v_div_scale_f32 v5, vcc, 1.0, v7, 1.0
	v_mul_f32_e32 v9, v5, v4
	v_fma_f32 v10, -v2, v9, v5
	v_fmac_f32_e32 v9, v10, v4
	v_fma_f32 v2, -v2, v9, v5
	v_div_fmas_f32 v2, v2, v4, v9
	v_div_fixup_f32 v2, v2, v7, 1.0
	v_mul_f32_e32 v4, 0, v2
	v_pk_add_f32 v[4:5], v[4:5], s[0:1] op_sel_hi:[0,1]
	s_mov_b32 s0, 0x41401f1c
	s_mov_b32 s1, 0x416c19a0
	v_pk_fma_f32 v[4:5], v[2:3], v[4:5], s[0:1] op_sel_hi:[0,1,1]
	s_mov_b32 s0, 0x42988f28
	s_mov_b32 s1, 0x42a9071e
	v_pk_fma_f32 v[4:5], v[2:3], v[4:5], s[0:1] op_sel_hi:[0,1,1]
	;; [unrolled: 3-line block ×6, first 2 shown]
	v_pk_fma_f32 v[4:5], v[2:3], v[4:5], 1.0 op_sel_hi:[0,1,0]
	v_div_scale_f32 v2, s[0:1], v5, v5, v4
	v_rcp_f32_e32 v9, v2
	v_cmp_gt_f32_e64 s[0:1], s12, v1
	v_fma_f32 v10, -v2, v9, 1.0
	v_fmac_f32_e32 v9, v10, v9
	v_div_scale_f32 v10, vcc, v4, v5, v4
	v_mul_f32_e32 v11, v10, v9
	v_fma_f32 v12, -v2, v11, v10
	v_fmac_f32_e32 v11, v12, v9
	v_fma_f32 v2, -v2, v11, v10
	v_mul_f32_e32 v10, 0x4f800000, v1
	v_cndmask_b32_e64 v1, v1, v10, s[0:1]
	v_sqrt_f32_e32 v10, v1
	v_div_fmas_f32 v2, v2, v9, v11
	v_div_fixup_f32 v4, v2, v5, v4
	v_add_u32_e32 v2, -1, v10
	v_fma_f32 v5, -v2, v10, v1
	v_cmp_ge_f32_e32 vcc, 0, v5
	v_add_u32_e32 v5, 1, v10
	v_fma_f32 v9, -v5, v10, v1
	v_cndmask_b32_e32 v2, v10, v2, vcc
	v_cmp_lt_f32_e32 vcc, 0, v9
	s_nop 1
	v_cndmask_b32_e32 v2, v2, v5, vcc
	v_mul_f32_e32 v5, 0x37800000, v2
	v_cndmask_b32_e64 v2, v2, v5, s[0:1]
	v_cmp_class_f32_e32 vcc, v1, v6
	s_mov_b32 s0, 0x3fb8aa3b
	s_nop 0
	v_cndmask_b32_e32 v5, v2, v1, vcc
	v_mul_f32_e32 v1, 0x3fb8aa3b, v7
	v_fma_f32 v2, v7, s0, -v1
	v_rndne_f32_e32 v6, v1
	v_fmamk_f32 v2, v7, 0x32a5705f, v2
	v_sub_f32_e32 v1, v1, v6
	v_add_f32_e32 v1, v1, v2
	v_exp_f32_e32 v1, v1
	v_cvt_i32_f32_e32 v2, v6
	s_mov_b32 s0, 0x3f106ebb
	s_mov_b32 s1, 2.0
	v_pk_mul_f32 v[4:5], v[4:5], s[0:1]
	s_mov_b32 s0, 0xc2ce8ed0
	v_ldexp_f32 v1, v1, v2
	v_cmp_ngt_f32_e32 vcc, s0, v7
	s_mov_b32 s0, 0x42b17218
	v_mov_b32_e32 v2, 0x7f800000
	v_cndmask_b32_e32 v1, 0, v1, vcc
	v_cmp_nlt_f32_e32 vcc, s0, v7
	s_nop 1
	v_cndmask_b32_e32 v1, v2, v1, vcc
	v_mul_f32_e32 v1, v5, v1
	v_div_scale_f32 v2, s[0:1], v1, v1, v4
	v_rcp_f32_e32 v5, v2
	s_mov_b32 s0, 0x41052018
	v_fma_f32 v6, -v2, v5, 1.0
	v_fmac_f32_e32 v5, v6, v5
	v_div_scale_f32 v6, vcc, v4, v1, v4
	v_mul_f32_e32 v7, v6, v5
	v_fma_f32 v9, -v2, v7, v6
	v_fmac_f32_e32 v7, v9, v5
	v_fma_f32 v2, -v2, v7, v6
	v_div_fmas_f32 v2, v2, v5, v7
	v_cmp_nlt_f32_e32 vcc, s0, v3
	s_andn2_b64 s[0:1], s[4:5], exec
	s_and_b64 s[12:13], vcc, exec
	v_div_fixup_f32 v1, v2, v1, v4
	s_or_b64 s[0:1], s[0:1], s[12:13]
.LBB19_197:
	s_or_b64 exec, exec, s[10:11]
	s_and_saveexec_b64 s[10:11], s[0:1]
	s_cbranch_execz .LBB19_201
; %bb.198:
	v_mul_f32_e32 v2, v3, v3
	v_mul_f32_e32 v4, v3, v2
	v_mov_b32_e32 v5, v4
	s_mov_b64 s[12:13], 0
	v_mov_b32_e32 v9, 1.0
	v_mov_b32_e32 v2, 1.0
	v_mov_b32_e32 v6, 1.0
	s_brev_b32 s14, 44
	v_mov_b32_e32 v7, v3
.LBB19_199:                             ; =>This Inner Loop Header: Depth=1
	v_pk_mul_f32 v[6:7], v[4:5], v[6:7]
	v_add_f32_e32 v10, 1.0, v9
	v_add_f32_e32 v11, 1.0, v10
	v_div_scale_f32 v12, s[0:1], v10, v10, v6
	v_rcp_f32_e32 v14, v12
	v_div_scale_f32 v15, s[0:1], v11, v11, v7
	v_rcp_f32_e32 v17, v15
	v_fma_f32 v18, -v12, v14, 1.0
	v_div_scale_f32 v13, vcc, v6, v10, v6
	v_fmac_f32_e32 v14, v18, v14
	v_fma_f32 v18, -v15, v17, 1.0
	v_div_scale_f32 v16, s[0:1], v7, v11, v7
	v_mul_f32_e32 v19, v13, v14
	v_fmac_f32_e32 v17, v18, v17
	v_fma_f32 v18, -v12, v19, v13
	v_mul_f32_e32 v20, v16, v17
	v_fmac_f32_e32 v19, v18, v14
	v_fma_f32 v18, -v15, v20, v16
	v_fma_f32 v12, -v12, v19, v13
	v_fmac_f32_e32 v20, v18, v17
	v_div_fmas_f32 v12, v12, v14, v19
	v_fma_f32 v13, -v15, v20, v16
	s_mov_b64 vcc, s[0:1]
	v_div_fixup_f32 v6, v12, v10, v6
	v_div_fmas_f32 v10, v13, v17, v20
	v_add_f32_e32 v9, 1.0, v11
	v_div_fixup_f32 v7, v10, v11, v7
	v_div_scale_f32 v10, s[0:1], v11, v11, v6
	v_div_scale_f32 v13, s[28:29], v9, v9, v7
	v_rcp_f32_e32 v15, v10
	v_rcp_f32_e32 v16, v13
	v_div_scale_f32 v12, s[0:1], v6, v11, v6
	v_fma_f32 v17, -v10, v15, 1.0
	v_fma_f32 v18, -v13, v16, 1.0
	v_div_scale_f32 v14, vcc, v7, v9, v7
	v_fmac_f32_e32 v15, v17, v15
	v_fmac_f32_e32 v16, v18, v16
	v_mul_f32_e32 v17, v12, v15
	v_mul_f32_e32 v18, v14, v16
	v_fma_f32 v19, -v10, v17, v12
	v_fma_f32 v20, -v13, v18, v14
	v_fmac_f32_e32 v17, v19, v15
	v_fmac_f32_e32 v18, v20, v16
	v_fma_f32 v10, -v10, v17, v12
	v_fma_f32 v12, -v13, v18, v14
	v_div_fmas_f32 v12, v12, v16, v18
	s_mov_b64 vcc, s[0:1]
	v_div_fmas_f32 v10, v10, v15, v17
	v_div_fixup_f32 v7, v12, v9, v7
	v_div_fixup_f32 v6, v10, v11, v6
	v_pk_add_f32 v[2:3], v[2:3], v[6:7]
	s_nop 0
	v_div_scale_f32 v10, s[0:1], v2, v2, v6
	v_rcp_f32_e32 v11, v10
	v_div_scale_f32 v12, vcc, v6, v2, v6
	v_fma_f32 v13, -v10, v11, 1.0
	v_fmac_f32_e32 v11, v13, v11
	v_mul_f32_e32 v13, v12, v11
	v_fma_f32 v14, -v10, v13, v12
	v_fmac_f32_e32 v13, v14, v11
	v_fma_f32 v10, -v10, v13, v12
	v_div_fmas_f32 v10, v10, v11, v13
	v_div_fixup_f32 v10, v10, v2, v6
	v_cmp_ngt_f32_e64 s[0:1], |v10|, s14
	s_or_b64 s[12:13], s[0:1], s[12:13]
	s_andn2_b64 exec, exec, s[12:13]
	s_cbranch_execnz .LBB19_199
; %bb.200:
	s_or_b64 exec, exec, s[12:13]
	s_mov_b32 s0, 0x3eb5c63d
	s_mov_b32 s1, 0x3e8483fa
	v_pk_mul_f32 v[2:3], v[2:3], s[0:1]
	s_nop 0
	v_sub_f32_e32 v2, v2, v3
	v_cndmask_b32_e64 v1, v1, v2, s[4:5]
.LBB19_201:
	s_or_b64 exec, exec, s[10:11]
                                        ; implicit-def: $vgpr3
.LBB19_202:
	s_andn2_saveexec_b64 s[10:11], s[2:3]
	s_cbranch_execz .LBB19_251
; %bb.203:
	s_mov_b32 s0, 0x8f800000
	v_mul_f32_e32 v1, 0xcf800000, v3
	v_cmp_lt_f32_e32 vcc, s0, v3
	s_mov_b32 s2, 0x40400000
	s_nop 0
	v_cndmask_b32_e64 v1, -v3, v1, vcc
	v_sqrt_f32_e32 v2, v1
	v_mul_f32_e32 v3, -2.0, v3
	v_add_u32_e32 v4, -1, v2
	v_fma_f32 v5, -v4, v2, v1
	v_cmp_ge_f32_e64 s[0:1], 0, v5
	v_add_u32_e32 v5, 1, v2
	s_nop 0
	v_cndmask_b32_e64 v4, v2, v4, s[0:1]
	v_fma_f32 v2, -v5, v2, v1
	v_cmp_lt_f32_e64 s[0:1], 0, v2
	s_nop 1
	v_cndmask_b32_e64 v2, v4, v5, s[0:1]
	v_mul_f32_e32 v4, 0x37800000, v2
	v_cndmask_b32_e32 v2, v2, v4, vcc
	v_mov_b32_e32 v4, 0x260
	v_cmp_class_f32_e32 vcc, v1, v4
	s_nop 1
	v_cndmask_b32_e32 v1, v2, v1, vcc
	v_mul_f32_e32 v2, v3, v1
	v_div_scale_f32 v3, s[0:1], s2, s2, v2
	v_rcp_f32_e32 v4, v3
	s_brev_b32 s0, 18
	v_fma_f32 v5, -v3, v4, 1.0
	v_fmac_f32_e32 v4, v5, v4
	v_div_scale_f32 v5, vcc, v2, s2, v2
	v_mul_f32_e32 v6, v5, v4
	v_fma_f32 v7, -v3, v6, v5
	v_fmac_f32_e32 v6, v7, v4
	v_fma_f32 v3, -v3, v6, v5
	v_div_fmas_f32 v3, v3, v4, v6
	v_div_fixup_f32 v4, v3, s2, v2
	v_add_f32_e32 v2, 0x3f490fdb, v4
	v_and_b32_e32 v3, 0x7fffffff, v2
	v_cmp_nlt_f32_e64 s[12:13], |v2|, s0
                                        ; implicit-def: $vgpr5
                                        ; implicit-def: $vgpr6
	s_and_saveexec_b64 s[0:1], s[12:13]
	s_xor_b64 s[14:15], exec, s[0:1]
	s_cbranch_execz .LBB19_209
; %bb.204:
	v_lshrrev_b32_e32 v5, 23, v3
	v_add_u32_e32 v5, 0xffffff88, v5
	v_not_b32_e32 v6, 63
	v_cmp_lt_u32_e32 vcc, 63, v5
	s_mov_b32 s4, 0xfe5163ab
	v_mov_b32_e32 v11, 0
	v_cndmask_b32_e32 v6, 0, v6, vcc
	v_add_u32_e32 v5, v6, v5
	v_not_b32_e32 v6, 31
	v_cmp_lt_u32_e64 s[0:1], 31, v5
	s_nop 1
	v_cndmask_b32_e64 v7, 0, v6, s[0:1]
	v_add_u32_e32 v5, v7, v5
	v_cmp_lt_u32_e64 s[2:3], 31, v5
	s_nop 1
	v_cndmask_b32_e64 v6, 0, v6, s[2:3]
	v_add_u32_e32 v5, v6, v5
	v_and_b32_e32 v6, 0x7fffff, v3
	v_or_b32_e32 v9, 0x800000, v6
	v_mad_u64_u32 v[6:7], s[4:5], v9, s4, 0
	v_mov_b32_e32 v10, v7
	s_mov_b32 s4, 0x3c439041
	v_mad_u64_u32 v[12:13], s[4:5], v9, s4, v[10:11]
	v_mov_b32_e32 v10, v13
	s_mov_b32 s4, 0xdb629599
	;; [unrolled: 3-line block ×6, first 2 shown]
	v_mad_u64_u32 v[10:11], s[4:5], v9, s4, v[10:11]
	v_cndmask_b32_e32 v7, v20, v16, vcc
	v_cndmask_b32_e32 v9, v10, v18, vcc
	;; [unrolled: 1-line block ×3, first 2 shown]
	v_cndmask_b32_e64 v10, v9, v7, s[0:1]
	v_cndmask_b32_e64 v9, v11, v9, s[0:1]
	v_cndmask_b32_e32 v11, v18, v14, vcc
	v_cndmask_b32_e64 v7, v7, v11, s[0:1]
	v_cndmask_b32_e64 v9, v9, v10, s[2:3]
	;; [unrolled: 1-line block ×3, first 2 shown]
	v_sub_u32_e32 v13, 32, v5
	v_alignbit_b32 v15, v9, v10, v13
	v_cmp_eq_u32_e64 s[4:5], 0, v5
	v_cndmask_b32_e32 v6, v14, v6, vcc
	s_nop 0
	v_cndmask_b32_e64 v5, v15, v9, s[4:5]
	v_cndmask_b32_e32 v9, v16, v12, vcc
	v_cndmask_b32_e64 v11, v11, v9, s[0:1]
	v_cndmask_b32_e64 v7, v7, v11, s[2:3]
	v_alignbit_b32 v12, v10, v7, v13
	v_cndmask_b32_e64 v6, v9, v6, s[0:1]
	v_cndmask_b32_e64 v10, v12, v10, s[4:5]
	v_bfe_u32 v16, v5, 29, 1
	v_cndmask_b32_e64 v6, v11, v6, s[2:3]
	v_alignbit_b32 v12, v5, v10, 30
	v_sub_u32_e32 v17, 0, v16
	v_alignbit_b32 v9, v7, v6, v13
	v_xor_b32_e32 v12, v12, v17
	v_cndmask_b32_e64 v7, v9, v7, s[4:5]
	v_alignbit_b32 v9, v10, v7, 30
	v_ffbh_u32_e32 v10, v12
	v_min_u32_e32 v10, 32, v10
	v_alignbit_b32 v6, v7, v6, 30
	v_xor_b32_e32 v9, v9, v17
	v_sub_u32_e32 v11, 31, v10
	v_xor_b32_e32 v6, v6, v17
	v_alignbit_b32 v12, v12, v9, v11
	v_alignbit_b32 v6, v9, v6, v11
	;; [unrolled: 1-line block ×3, first 2 shown]
	v_ffbh_u32_e32 v9, v7
	v_min_u32_e32 v9, 32, v9
	v_lshrrev_b32_e32 v15, 29, v5
	v_not_b32_e32 v11, v9
	v_alignbit_b32 v6, v7, v6, v11
	v_lshlrev_b32_e32 v7, 31, v15
	v_or_b32_e32 v11, 0x33000000, v7
	v_add_lshl_u32 v9, v9, v10, 23
	v_lshrrev_b32_e32 v6, 9, v6
	v_sub_u32_e32 v9, v11, v9
	v_or_b32_e32 v7, 0.5, v7
	v_lshlrev_b32_e32 v10, 23, v10
	v_or_b32_e32 v6, v9, v6
	v_lshrrev_b32_e32 v9, 9, v12
	v_sub_u32_e32 v7, v7, v10
	v_or_b32_e32 v7, v9, v7
	s_mov_b32 s0, 0x3fc90fda
	v_mul_f32_e32 v9, 0x3fc90fda, v7
	v_fma_f32 v10, v7, s0, -v9
	v_fmamk_f32 v7, v7, 0x33a22168, v10
	v_fmac_f32_e32 v7, 0x3fc90fda, v6
	v_lshrrev_b32_e32 v5, 30, v5
	v_add_f32_e32 v6, v9, v7
	v_add_u32_e32 v5, v16, v5
	s_andn2_saveexec_b64 s[0:1], s[14:15]
	s_cbranch_execz .LBB19_211
	s_branch .LBB19_210
.LBB19_205:
	s_andn2_saveexec_b64 s[0:1], s[14:15]
	s_cbranch_execz .LBB19_207
.LBB19_206:
	s_mov_b32 s2, 0x3f22f983
	v_mul_f32_e64 v5, |v2|, s2
	v_rndne_f32_e32 v6, v5
	s_mov_b32 s2, 0xbfc90fda
	v_cvt_i32_f32_e32 v5, v6
	v_fma_f32 v7, v6, s2, |v2|
	v_fmamk_f32 v7, v6, 0xb3a22168, v7
	v_fmamk_f32 v6, v6, 0xa7c234c4, v7
.LBB19_207:
	s_or_b64 exec, exec, s[0:1]
                                        ; implicit-def: $vgpr7
                                        ; implicit-def: $vgpr9
	s_and_saveexec_b64 s[0:1], s[12:13]
	s_xor_b64 s[12:13], exec, s[0:1]
	s_cbranch_execz .LBB19_213
; %bb.208:
	v_lshrrev_b32_e32 v7, 23, v3
	v_add_u32_e32 v7, 0xffffff88, v7
	v_not_b32_e32 v9, 63
	v_cmp_lt_u32_e32 vcc, 63, v7
	s_mov_b32 s4, 0xfe5163ab
	v_mov_b32_e32 v13, 0
	v_cndmask_b32_e32 v9, 0, v9, vcc
	v_add_u32_e32 v7, v9, v7
	v_not_b32_e32 v9, 31
	v_cmp_lt_u32_e64 s[0:1], 31, v7
	s_nop 1
	v_cndmask_b32_e64 v10, 0, v9, s[0:1]
	v_add_u32_e32 v7, v10, v7
	v_cmp_lt_u32_e64 s[2:3], 31, v7
	s_nop 1
	v_cndmask_b32_e64 v9, 0, v9, s[2:3]
	v_add_u32_e32 v7, v9, v7
	v_and_b32_e32 v9, 0x7fffff, v3
	v_or_b32_e32 v9, 0x800000, v9
	v_mad_u64_u32 v[10:11], s[4:5], v9, s4, 0
	v_mov_b32_e32 v12, v11
	s_mov_b32 s4, 0x3c439041
	v_mad_u64_u32 v[14:15], s[4:5], v9, s4, v[12:13]
	v_mov_b32_e32 v12, v15
	s_mov_b32 s4, 0xdb629599
	;; [unrolled: 3-line block ×6, first 2 shown]
	v_mad_u64_u32 v[12:13], s[4:5], v9, s4, v[12:13]
	v_cndmask_b32_e32 v11, v22, v18, vcc
	v_cndmask_b32_e32 v9, v12, v20, vcc
	v_cndmask_b32_e32 v13, v13, v22, vcc
	v_cndmask_b32_e64 v12, v9, v11, s[0:1]
	v_cndmask_b32_e64 v9, v13, v9, s[0:1]
	v_cndmask_b32_e32 v13, v20, v16, vcc
	v_cndmask_b32_e64 v11, v11, v13, s[0:1]
	v_cndmask_b32_e64 v9, v9, v12, s[2:3]
	;; [unrolled: 1-line block ×3, first 2 shown]
	v_sub_u32_e32 v15, 32, v7
	v_alignbit_b32 v17, v9, v12, v15
	v_cmp_eq_u32_e64 s[4:5], 0, v7
	v_cndmask_b32_e32 v10, v16, v10, vcc
	s_nop 0
	v_cndmask_b32_e64 v7, v17, v9, s[4:5]
	v_cndmask_b32_e32 v9, v18, v14, vcc
	v_cndmask_b32_e64 v13, v13, v9, s[0:1]
	v_cndmask_b32_e64 v11, v11, v13, s[2:3]
	v_alignbit_b32 v14, v12, v11, v15
	v_cndmask_b32_e64 v9, v9, v10, s[0:1]
	v_cndmask_b32_e64 v12, v14, v12, s[4:5]
	v_bfe_u32 v18, v7, 29, 1
	v_cndmask_b32_e64 v9, v13, v9, s[2:3]
	v_alignbit_b32 v14, v7, v12, 30
	v_sub_u32_e32 v19, 0, v18
	v_alignbit_b32 v10, v11, v9, v15
	v_xor_b32_e32 v14, v14, v19
	v_cndmask_b32_e64 v10, v10, v11, s[4:5]
	v_alignbit_b32 v11, v12, v10, 30
	v_ffbh_u32_e32 v12, v14
	v_min_u32_e32 v12, 32, v12
	v_alignbit_b32 v9, v10, v9, 30
	v_xor_b32_e32 v11, v11, v19
	v_sub_u32_e32 v13, 31, v12
	v_xor_b32_e32 v9, v9, v19
	v_alignbit_b32 v14, v14, v11, v13
	v_alignbit_b32 v9, v11, v9, v13
	;; [unrolled: 1-line block ×3, first 2 shown]
	v_ffbh_u32_e32 v11, v10
	v_min_u32_e32 v11, 32, v11
	v_lshrrev_b32_e32 v17, 29, v7
	v_not_b32_e32 v13, v11
	v_alignbit_b32 v9, v10, v9, v13
	v_lshlrev_b32_e32 v10, 31, v17
	v_or_b32_e32 v13, 0x33000000, v10
	v_add_lshl_u32 v11, v11, v12, 23
	v_lshrrev_b32_e32 v9, 9, v9
	v_sub_u32_e32 v11, v13, v11
	v_or_b32_e32 v10, 0.5, v10
	v_lshlrev_b32_e32 v12, 23, v12
	v_or_b32_e32 v9, v11, v9
	v_lshrrev_b32_e32 v11, 9, v14
	v_sub_u32_e32 v10, v10, v12
	v_or_b32_e32 v10, v11, v10
	s_mov_b32 s0, 0x3fc90fda
	v_mul_f32_e32 v11, 0x3fc90fda, v10
	v_fma_f32 v12, v10, s0, -v11
	v_fmamk_f32 v10, v10, 0x33a22168, v12
	v_fmac_f32_e32 v10, 0x3fc90fda, v9
	v_lshrrev_b32_e32 v7, 30, v7
	v_add_f32_e32 v9, v11, v10
	v_add_u32_e32 v7, v18, v7
	s_andn2_saveexec_b64 s[0:1], s[12:13]
	s_cbranch_execnz .LBB19_214
	s_branch .LBB19_215
.LBB19_209:
	s_andn2_saveexec_b64 s[0:1], s[14:15]
	s_cbranch_execz .LBB19_211
.LBB19_210:
	s_mov_b32 s2, 0x3f22f983
	v_mul_f32_e64 v5, |v2|, s2
	v_rndne_f32_e32 v6, v5
	s_mov_b32 s2, 0xbfc90fda
	v_cvt_i32_f32_e32 v5, v6
	v_fma_f32 v7, v6, s2, |v2|
	v_fmamk_f32 v7, v6, 0xb3a22168, v7
	v_fmamk_f32 v6, v6, 0xa7c234c4, v7
.LBB19_211:
	s_or_b64 exec, exec, s[0:1]
                                        ; implicit-def: $vgpr7
                                        ; implicit-def: $vgpr9
	s_and_saveexec_b64 s[0:1], s[12:13]
	s_xor_b64 s[12:13], exec, s[0:1]
	s_cbranch_execz .LBB19_248
; %bb.212:
	v_lshrrev_b32_e32 v7, 23, v3
	v_add_u32_e32 v7, 0xffffff88, v7
	v_not_b32_e32 v9, 63
	v_cmp_lt_u32_e32 vcc, 63, v7
	s_mov_b32 s4, 0xfe5163ab
	v_mov_b32_e32 v13, 0
	v_cndmask_b32_e32 v9, 0, v9, vcc
	v_add_u32_e32 v7, v9, v7
	v_not_b32_e32 v9, 31
	v_cmp_lt_u32_e64 s[0:1], 31, v7
	s_nop 1
	v_cndmask_b32_e64 v10, 0, v9, s[0:1]
	v_add_u32_e32 v7, v10, v7
	v_cmp_lt_u32_e64 s[2:3], 31, v7
	s_nop 1
	v_cndmask_b32_e64 v9, 0, v9, s[2:3]
	v_add_u32_e32 v7, v9, v7
	v_and_b32_e32 v9, 0x7fffff, v3
	v_or_b32_e32 v9, 0x800000, v9
	v_mad_u64_u32 v[10:11], s[4:5], v9, s4, 0
	v_mov_b32_e32 v12, v11
	s_mov_b32 s4, 0x3c439041
	v_mad_u64_u32 v[14:15], s[4:5], v9, s4, v[12:13]
	v_mov_b32_e32 v12, v15
	s_mov_b32 s4, 0xdb629599
	;; [unrolled: 3-line block ×6, first 2 shown]
	v_mad_u64_u32 v[12:13], s[4:5], v9, s4, v[12:13]
	v_cndmask_b32_e32 v11, v22, v18, vcc
	v_cndmask_b32_e32 v9, v12, v20, vcc
	;; [unrolled: 1-line block ×3, first 2 shown]
	v_cndmask_b32_e64 v12, v9, v11, s[0:1]
	v_cndmask_b32_e64 v9, v13, v9, s[0:1]
	v_cndmask_b32_e32 v13, v20, v16, vcc
	v_cndmask_b32_e64 v11, v11, v13, s[0:1]
	v_cndmask_b32_e64 v9, v9, v12, s[2:3]
	v_cndmask_b32_e64 v12, v12, v11, s[2:3]
	v_sub_u32_e32 v15, 32, v7
	v_alignbit_b32 v17, v9, v12, v15
	v_cmp_eq_u32_e64 s[4:5], 0, v7
	v_cndmask_b32_e32 v10, v16, v10, vcc
	s_nop 0
	v_cndmask_b32_e64 v7, v17, v9, s[4:5]
	v_cndmask_b32_e32 v9, v18, v14, vcc
	v_cndmask_b32_e64 v13, v13, v9, s[0:1]
	v_cndmask_b32_e64 v11, v11, v13, s[2:3]
	v_alignbit_b32 v14, v12, v11, v15
	v_cndmask_b32_e64 v9, v9, v10, s[0:1]
	v_cndmask_b32_e64 v12, v14, v12, s[4:5]
	v_bfe_u32 v18, v7, 29, 1
	v_cndmask_b32_e64 v9, v13, v9, s[2:3]
	v_alignbit_b32 v14, v7, v12, 30
	v_sub_u32_e32 v19, 0, v18
	v_alignbit_b32 v10, v11, v9, v15
	v_xor_b32_e32 v14, v14, v19
	v_cndmask_b32_e64 v10, v10, v11, s[4:5]
	v_alignbit_b32 v11, v12, v10, 30
	v_ffbh_u32_e32 v12, v14
	v_min_u32_e32 v12, 32, v12
	v_alignbit_b32 v9, v10, v9, 30
	v_xor_b32_e32 v11, v11, v19
	v_sub_u32_e32 v13, 31, v12
	v_xor_b32_e32 v9, v9, v19
	v_alignbit_b32 v14, v14, v11, v13
	v_alignbit_b32 v9, v11, v9, v13
	;; [unrolled: 1-line block ×3, first 2 shown]
	v_ffbh_u32_e32 v11, v10
	v_min_u32_e32 v11, 32, v11
	v_lshrrev_b32_e32 v17, 29, v7
	v_not_b32_e32 v13, v11
	v_alignbit_b32 v9, v10, v9, v13
	v_lshlrev_b32_e32 v10, 31, v17
	v_or_b32_e32 v13, 0x33000000, v10
	v_add_lshl_u32 v11, v11, v12, 23
	v_lshrrev_b32_e32 v9, 9, v9
	v_sub_u32_e32 v11, v13, v11
	v_or_b32_e32 v10, 0.5, v10
	v_lshlrev_b32_e32 v12, 23, v12
	v_or_b32_e32 v9, v11, v9
	v_lshrrev_b32_e32 v11, 9, v14
	v_sub_u32_e32 v10, v10, v12
	v_or_b32_e32 v10, v11, v10
	s_mov_b32 s0, 0x3fc90fda
	v_mul_f32_e32 v11, 0x3fc90fda, v10
	v_fma_f32 v12, v10, s0, -v11
	v_fmamk_f32 v10, v10, 0x33a22168, v12
	v_fmac_f32_e32 v10, 0x3fc90fda, v9
	v_lshrrev_b32_e32 v7, 30, v7
	v_add_f32_e32 v9, v11, v10
	v_add_u32_e32 v7, v18, v7
	s_andn2_saveexec_b64 s[0:1], s[12:13]
	s_cbranch_execnz .LBB19_249
	s_branch .LBB19_250
.LBB19_213:
	s_andn2_saveexec_b64 s[0:1], s[12:13]
	s_cbranch_execz .LBB19_215
.LBB19_214:
	s_mov_b32 s2, 0x3f22f983
	v_mul_f32_e64 v7, |v2|, s2
	v_rndne_f32_e32 v9, v7
	s_mov_b32 s2, 0xbfc90fda
	v_cvt_i32_f32_e32 v7, v9
	v_fma_f32 v10, v9, s2, |v2|
	v_fmamk_f32 v10, v9, 0xb3a22168, v10
	v_fmamk_f32 v9, v9, 0xa7c234c4, v10
.LBB19_215:
	s_or_b64 exec, exec, s[0:1]
	v_div_scale_f32 v10, s[0:1], v4, v4, 1.0
	v_rcp_f32_e32 v11, v10
	v_div_scale_f32 v12, vcc, 1.0, v4, 1.0
	v_xor_b32_e32 v3, v3, v2
	v_fma_f32 v13, -v10, v11, 1.0
	v_fmac_f32_e32 v11, v13, v11
	v_mul_f32_e32 v13, v12, v11
	v_fma_f32 v14, -v10, v13, v12
	v_fmac_f32_e32 v13, v14, v11
	v_fma_f32 v10, -v10, v13, v12
	v_div_fmas_f32 v10, v10, v11, v13
	v_div_fixup_f32 v4, v10, v4, 1.0
	v_mul_f32_e32 v10, v4, v4
	v_mov_b32_e32 v11, 0xbe06db67
	v_mul_f32_e32 v13, v6, v6
	v_mov_b32_e32 v14, 0x3c0881c4
	v_fmac_f32_e32 v11, 0, v10
	v_mov_b32_e32 v12, 0x4155b259
	v_fmamk_f32 v15, v13, 0xb94c1982, v14
	v_fmaak_f32 v11, v10, v11, 0xbf205f75
	v_fmac_f32_e32 v12, 0, v10
	v_fmaak_f32 v15, v13, v15, 0xbe2aaa9d
	v_fmaak_f32 v11, v10, v11, 0xbf3172ce
	;; [unrolled: 1-line block ×3, first 2 shown]
	v_mul_f32_e32 v15, v13, v15
	v_fmaak_f32 v11, v10, v11, 0xbe8f3f52
	v_fmaak_f32 v12, v10, v12, 0x41d5e4c5
	v_fmac_f32_e32 v6, v6, v15
	v_mov_b32_e32 v15, 0xbab64f3b
	v_fmaak_f32 v11, v10, v11, 0xbd497b78
	v_fmaak_f32 v12, v10, v12, 0x4112fe41
	v_fmamk_f32 v17, v13, 0x37d75334, v15
	v_fmaak_f32 v11, v10, v11, 0xbb85200e
	v_fmaak_f32 v12, v10, v12, 0x3fbcd65a
	v_fmaak_f32 v17, v13, v17, 0x3d2aabf7
	v_fmaak_f32 v11, v10, v11, 0xb9270375
	v_fmaak_f32 v12, v10, v12, 0x3deced66
	v_fmaak_f32 v17, v13, v17, 0xbf000004
	v_fmaak_f32 v11, v10, v11, 0xb63a53c1
	v_fmaak_f32 v12, v10, v12, 0x3b904657
	v_fma_f32 v13, v13, v17, 1.0
	v_and_b32_e32 v17, 1, v5
	v_lshlrev_b32_e32 v5, 30, v5
	v_fmaak_f32 v12, v10, v12, 0x389e46bd
	v_fmaak_f32 v11, v10, v11, 0xb29020e8
	v_cmp_eq_u32_e32 vcc, 0, v17
	v_and_b32_e32 v5, 0x80000000, v5
	v_fmaak_f32 v12, v10, v12, 0x34f295ce
	v_cndmask_b32_e32 v6, v13, v6, vcc
	v_xor_b32_e32 v3, v3, v5
	v_mul_f32_e32 v5, v10, v11
	v_xor_b32_e32 v3, v3, v6
	v_div_scale_f32 v6, s[0:1], v12, v12, v5
	v_rcp_f32_e32 v11, v6
	s_movk_i32 s2, 0x1f8
	v_mov_b32_e32 v13, 0x7fc00000
	v_cmp_class_f32_e64 s[0:1], v2, s2
	s_mov_b32 s2, 0xf800000
	s_mov_b32 s5, 0x3f106ebb
	v_cndmask_b32_e64 v2, v13, v3, s[0:1]
	v_fma_f32 v3, -v6, v11, 1.0
	v_fmac_f32_e32 v11, v3, v11
	v_div_scale_f32 v3, vcc, v5, v12, v5
	v_mul_f32_e32 v17, v3, v11
	v_fma_f32 v20, -v6, v17, v3
	v_fmac_f32_e32 v17, v20, v11
	v_fma_f32 v3, -v6, v17, v3
	v_div_fmas_f32 v3, v3, v11, v17
	v_mul_f32_e32 v11, 0x4f800000, v1
	v_cmp_gt_f32_e32 vcc, s2, v1
	v_div_fixup_f32 v3, v3, v12, v5
	v_mov_b32_e32 v5, 0x3ca1a92f
	v_cndmask_b32_e32 v1, v1, v11, vcc
	v_sqrt_f32_e32 v11, v1
	v_fmac_f32_e32 v5, 0, v10
	v_mov_b32_e32 v6, 0x4114f160
	v_fmaak_f32 v5, v10, v5, 0x3ec83ea8
	v_add_u32_e32 v12, -1, v11
	v_fma_f32 v17, -v12, v11, v1
	v_cmp_ge_f32_e64 s[2:3], 0, v17
	v_add_u32_e32 v17, 1, v11
	v_fmac_f32_e32 v6, 0, v10
	v_cndmask_b32_e64 v12, v11, v12, s[2:3]
	v_fma_f32 v11, -v17, v11, v1
	v_cmp_lt_f32_e64 s[2:3], 0, v11
	v_fmaak_f32 v5, v10, v5, 0x3f886c1a
	v_fmaak_f32 v6, v10, v6, 0x419eaeae
	v_cndmask_b32_e64 v11, v12, v17, s[2:3]
	v_mul_f32_e32 v12, 0x37800000, v11
	v_cndmask_b32_e32 v11, v11, v12, vcc
	v_mov_b32_e32 v12, 0x260
	v_fmaak_f32 v5, v10, v5, 0x3f706d65
	v_fmaak_f32 v6, v10, v6, 0x417908dc
	v_cmp_class_f32_e32 vcc, v1, v12
	v_fmaak_f32 v5, v10, v5, 0x3eb3f34e
	v_fmaak_f32 v6, v10, v6, 0x40af4271
	v_cndmask_b32_e32 v1, v11, v1, vcc
	v_fmaak_f32 v5, v10, v5, 0x3d81d209
	v_fmaak_f32 v6, v10, v6, 0x3f744c96
	v_div_scale_f32 v11, s[2:3], v1, v1, s5
	v_fmaak_f32 v5, v10, v5, 0x3bbff4d0
	v_fmaak_f32 v6, v10, v6, 0x3db110ef
	v_rcp_f32_e32 v12, v11
	v_fmaak_f32 v5, v10, v5, 0x39944bb3
	v_fmaak_f32 v6, v10, v6, 0x3b873823
	;; [unrolled: 1-line block ×8, first 2 shown]
	v_fma_f32 v10, -v11, v12, 1.0
	v_fmac_f32_e32 v12, v10, v12
	v_div_scale_f32 v10, vcc, s5, v1, s5
	v_mul_f32_e32 v17, v10, v12
	v_fma_f32 v20, -v11, v17, v10
	v_fmac_f32_e32 v17, v20, v12
	v_fma_f32 v10, -v11, v17, v10
	v_div_fmas_f32 v10, v10, v12, v17
	v_div_fixup_f32 v1, v10, v1, s5
	v_mul_f32_e32 v10, v9, v9
	v_mov_b32_e32 v16, 0xbe2aaa9d
	v_fmac_f32_e32 v14, 0xb94c1982, v10
	v_mov_b32_e32 v18, 0x3d2aabf7
	v_fmac_f32_e32 v16, v10, v14
	v_fmac_f32_e32 v15, 0x37d75334, v10
	v_mov_b32_e32 v19, 0xbf000004
	v_mul_f32_e32 v11, v10, v16
	v_fmac_f32_e32 v18, v10, v15
	v_fmac_f32_e32 v9, v9, v11
	;; [unrolled: 1-line block ×3, first 2 shown]
	v_and_b32_e32 v11, 1, v7
	v_mul_f32_e32 v4, v4, v5
	v_fma_f32 v10, v10, v19, 1.0
	v_cmp_eq_u32_e32 vcc, 0, v11
	v_div_scale_f32 v5, s[2:3], v6, v6, v4
	s_nop 0
	v_cndmask_b32_e64 v9, -v9, v10, vcc
	v_rcp_f32_e32 v10, v5
	s_brev_b32 s4, 1
	v_lshlrev_b32_e32 v7, 30, v7
	v_bitop3_b32 v7, v7, v9, s4 bitop3:0x6c
	v_fma_f32 v9, -v5, v10, 1.0
	v_fmac_f32_e32 v10, v9, v10
	v_div_scale_f32 v9, vcc, v4, v6, v4
	v_mul_f32_e32 v11, v9, v10
	v_fma_f32 v12, -v5, v11, v9
	v_fmac_f32_e32 v11, v12, v10
	v_fma_f32 v5, -v5, v11, v9
	v_div_fmas_f32 v5, v5, v10, v11
	v_cndmask_b32_e64 v7, v13, v7, s[0:1]
	v_div_fixup_f32 v4, v5, v6, v4
	v_add_f32_e32 v3, 1.0, v3
	v_mul_f32_e32 v4, v4, v7
	v_fma_f32 v2, v3, v2, -v4
	v_mul_f32_e32 v1, v1, v2
.LBB19_216:
	s_or_b64 exec, exec, s[10:11]
.LBB19_217:
	s_or_b64 exec, exec, s[8:9]
.LBB19_218:
	s_or_b64 exec, exec, s[6:7]
	v_add_u32_e32 v8, 0x80, v8
	global_store_dword v0, v1, s[16:17]
	s_or_b64 exec, exec, s[48:49]
	v_cmp_gt_i32_e32 vcc, s55, v8
	s_and_saveexec_b64 s[48:49], vcc
	s_cbranch_execnz .LBB19_16
.LBB19_219:
	s_or_b64 exec, exec, s[48:49]
	v_cmp_gt_i32_e32 vcc, s55, v8
	s_and_saveexec_b64 s[48:49], vcc
	s_cbranch_execz .LBB19_254
.LBB19_220:
	s_andn2_b64 vcc, exec, s[36:37]
	s_cbranch_vccnz .LBB19_226
; %bb.221:
	s_andn2_b64 vcc, exec, s[46:47]
	s_cbranch_vccnz .LBB19_227
; %bb.222:
	s_add_i32 s58, s56, 1
	s_cmp_eq_u32 s54, 2
	s_cbranch_scc1 .LBB19_228
; %bb.223:
	s_and_b32 s57, s58, 28
	s_mov_b32 s59, 0
	v_mov_b32_e32 v0, 0
	v_mov_b32_e32 v2, 0
	s_mov_b64 s[50:51], s[34:35]
	s_mov_b64 s[52:53], s[44:45]
	v_mov_b32_e32 v4, v8
.LBB19_224:                             ; =>This Inner Loop Header: Depth=1
	s_load_dwordx8 s[8:15], s[50:51], 0x4
	s_load_dwordx4 s[28:31], s[50:51], 0x24
	s_load_dwordx8 s[0:7], s[52:53], 0x0
	s_add_u32 s50, s50, 48
	s_addc_u32 s51, s51, 0
	s_waitcnt lgkmcnt(0)
	v_mul_hi_u32 v1, s9, v4
	v_add_u32_e32 v1, v4, v1
	v_lshrrev_b32_e32 v1, s10, v1
	v_mul_lo_u32 v3, v1, s8
	v_mul_hi_u32 v5, s12, v1
	v_sub_u32_e32 v3, v4, v3
	v_add_u32_e32 v4, v1, v5
	v_lshrrev_b32_e32 v4, s13, v4
	v_mul_lo_u32 v6, v4, s11
	v_mul_hi_u32 v7, s15, v4
	v_sub_u32_e32 v1, v1, v6
	v_add_u32_e32 v6, v4, v7
	v_mul_lo_u32 v5, v3, s1
	v_mul_lo_u32 v3, v3, s0
	v_mul_lo_u32 v7, v1, s3
	v_mul_lo_u32 v1, v1, s2
	v_lshrrev_b32_e32 v6, s28, v6
	v_add3_u32 v0, v3, v0, v1
	v_mul_hi_u32 v3, s30, v6
	v_add3_u32 v1, v5, v2, v7
	v_mul_lo_u32 v2, v6, s14
	v_add_u32_e32 v3, v6, v3
	v_sub_u32_e32 v2, v4, v2
	v_lshrrev_b32_e32 v4, s31, v3
	s_add_i32 s59, s59, 4
	v_mul_lo_u32 v3, v4, s29
	s_add_u32 s52, s52, 32
	v_sub_u32_e32 v3, v6, v3
	s_addc_u32 s53, s53, 0
	v_mul_lo_u32 v5, v2, s4
	v_mul_lo_u32 v2, v2, s5
	;; [unrolled: 1-line block ×4, first 2 shown]
	s_cmp_eq_u32 s57, s59
	v_add3_u32 v2, v2, v1, v3
	v_add3_u32 v0, v5, v0, v6
	s_cbranch_scc0 .LBB19_224
; %bb.225:
	v_mov_b32_e32 v1, v2
	s_branch .LBB19_229
.LBB19_226:
                                        ; implicit-def: $vgpr2
                                        ; implicit-def: $vgpr0
	s_branch .LBB19_233
.LBB19_227:
	v_mov_b32_e32 v2, 0
	v_mov_b32_e32 v0, 0
	s_branch .LBB19_232
.LBB19_228:
	v_mov_b32_e32 v0, 0
	s_mov_b32 s57, 0
	v_mov_b32_e32 v1, v0
                                        ; implicit-def: $vgpr2
	v_mov_b32_e32 v4, v8
.LBB19_229:
	s_and_b32 s4, s58, 3
	s_cmp_eq_u32 s4, 0
	s_cbranch_scc1 .LBB19_232
; %bb.230:
	s_lshl_b32 s0, s57, 3
	s_add_u32 s0, s34, s0
	s_addc_u32 s1, s35, 0
	s_add_u32 s0, s0, 0xc4
	s_addc_u32 s1, s1, 0
	s_mul_i32 s2, s57, 12
	s_add_u32 s2, s34, s2
	s_addc_u32 s3, s35, 0
.LBB19_231:                             ; =>This Inner Loop Header: Depth=1
	s_load_dwordx2 s[6:7], s[2:3], 0x4
	s_load_dword s5, s[2:3], 0xc
	s_load_dwordx2 s[8:9], s[0:1], 0x0
	v_mov_b32_e32 v2, v1
	s_add_u32 s2, s2, 12
	s_waitcnt lgkmcnt(0)
	v_mul_hi_u32 v1, s7, v4
	v_add_u32_e32 v1, v4, v1
	v_lshrrev_b32_e32 v1, s5, v1
	s_addc_u32 s3, s3, 0
	v_mul_lo_u32 v3, v1, s6
	s_add_u32 s0, s0, 8
	v_sub_u32_e32 v5, v4, v3
	s_addc_u32 s1, s1, 0
	s_add_i32 s4, s4, -1
	v_mov_b32_e32 v4, v1
	v_mad_u64_u32 v[2:3], s[6:7], v5, s9, v[2:3]
	v_mad_u64_u32 v[0:1], s[6:7], v5, s8, v[0:1]
	s_cmp_lg_u32 s4, 0
	v_mov_b32_e32 v1, v2
	s_cbranch_scc1 .LBB19_231
.LBB19_232:
	s_cbranch_execnz .LBB19_235
.LBB19_233:
	s_waitcnt lgkmcnt(0)
	v_mul_hi_u32 v0, s25, v8
	v_add_u32_e32 v0, v8, v0
	v_lshrrev_b32_e32 v1, s26, v0
	v_mul_lo_u32 v0, v1, s24
	v_sub_u32_e32 v0, v8, v0
	v_mul_lo_u32 v2, v0, s21
	s_andn2_b64 vcc, exec, s[42:43]
	v_mul_lo_u32 v0, v0, s20
	s_cbranch_vccnz .LBB19_235
; %bb.234:
	v_mul_hi_u32 v3, s40, v1
	v_add_u32_e32 v3, v1, v3
	v_lshrrev_b32_e32 v3, s41, v3
	v_mul_lo_u32 v3, v3, s27
	v_sub_u32_e32 v3, v1, v3
	v_mad_u64_u32 v[0:1], s[0:1], v3, s22, v[0:1]
	v_mad_u64_u32 v[2:3], s[0:1], v3, s23, v[2:3]
.LBB19_235:
	s_waitcnt lgkmcnt(0)
	global_load_dword v3, v2, s[18:19]
	s_mov_b32 s0, 0x7f800000
	v_mov_b32_e32 v1, 0x7fc00000
	s_waitcnt vmcnt(0)
	v_cmp_neq_f32_e64 s[0:1], |v3|, s0
	s_and_saveexec_b64 s[6:7], s[0:1]
	s_cbranch_execz .LBB19_266
; %bb.236:
	s_mov_b32 s0, 0x42cfc8b4
	v_cmp_nlt_f32_e32 vcc, s0, v3
	v_mov_b32_e32 v1, 0
	s_and_saveexec_b64 s[8:9], vcc
	s_cbranch_execz .LBB19_265
; %bb.237:
	s_mov_b32 s0, 0xc005c28f
	v_cmp_ngt_f32_e32 vcc, s0, v3
                                        ; implicit-def: $vgpr1
	s_and_saveexec_b64 s[0:1], vcc
	s_xor_b64 s[2:3], exec, s[0:1]
	s_cbranch_execz .LBB19_245
; %bb.238:
	s_mov_b32 s0, 0x4005c28f
	v_cmp_nle_f32_e64 s[4:5], s0, v3
	v_cmp_le_f32_e32 vcc, s0, v3
	v_mov_b32_e32 v1, 0
	s_mov_b64 s[0:1], s[4:5]
	s_and_saveexec_b64 s[10:11], vcc
	s_cbranch_execz .LBB19_240
; %bb.239:
	s_mov_b32 s12, 0xf800000
	v_mul_f32_e32 v1, 0x4f800000, v3
	v_cmp_gt_f32_e32 vcc, s12, v3
	v_add_f32_e32 v4, v3, v3
	s_mov_b32 s13, 0x40400000
	v_cndmask_b32_e32 v1, v3, v1, vcc
	v_sqrt_f32_e32 v2, v1
	s_nop 0
	v_add_u32_e32 v5, -1, v2
	v_fma_f32 v6, -v5, v2, v1
	v_cmp_ge_f32_e64 s[0:1], 0, v6
	v_add_u32_e32 v6, 1, v2
	s_nop 0
	v_cndmask_b32_e64 v5, v2, v5, s[0:1]
	v_fma_f32 v2, -v6, v2, v1
	v_cmp_lt_f32_e64 s[0:1], 0, v2
	s_nop 1
	v_cndmask_b32_e64 v2, v5, v6, s[0:1]
	v_mul_f32_e32 v5, 0x37800000, v2
	v_mov_b32_e32 v6, 0x260
	v_cndmask_b32_e32 v2, v2, v5, vcc
	v_cmp_class_f32_e32 vcc, v1, v6
	s_nop 1
	v_cndmask_b32_e32 v1, v2, v1, vcc
	v_mul_f32_e32 v2, v4, v1
	v_div_scale_f32 v4, s[0:1], s13, s13, v2
	v_rcp_f32_e32 v5, v4
	s_nop 0
	v_fma_f32 v7, -v4, v5, 1.0
	v_fmac_f32_e32 v5, v7, v5
	v_div_scale_f32 v7, vcc, v2, s13, v2
	v_mul_f32_e32 v9, v7, v5
	v_fma_f32 v10, -v4, v9, v7
	v_fmac_f32_e32 v9, v10, v5
	v_fma_f32 v4, -v4, v9, v7
	v_div_fmas_f32 v4, v4, v5, v9
	v_div_fixup_f32 v7, v4, s13, v2
	v_div_scale_f32 v2, s[0:1], v7, v7, 1.0
	v_rcp_f32_e32 v4, v2
	s_mov_b32 s0, 0x3eb16d71
	s_mov_b32 s1, 0x3f114de0
	v_fma_f32 v5, -v2, v4, 1.0
	v_fmac_f32_e32 v4, v5, v4
	v_div_scale_f32 v5, vcc, 1.0, v7, 1.0
	v_mul_f32_e32 v9, v5, v4
	v_fma_f32 v10, -v2, v9, v5
	v_fmac_f32_e32 v9, v10, v4
	v_fma_f32 v2, -v2, v9, v5
	v_div_fmas_f32 v2, v2, v4, v9
	v_div_fixup_f32 v2, v2, v7, 1.0
	v_mul_f32_e32 v4, 0, v2
	v_pk_add_f32 v[4:5], v[4:5], s[0:1] op_sel_hi:[0,1]
	s_mov_b32 s0, 0x41401f1c
	s_mov_b32 s1, 0x416c19a0
	v_pk_fma_f32 v[4:5], v[2:3], v[4:5], s[0:1] op_sel_hi:[0,1,1]
	s_mov_b32 s0, 0x42988f28
	s_mov_b32 s1, 0x42a9071e
	v_pk_fma_f32 v[4:5], v[2:3], v[4:5], s[0:1] op_sel_hi:[0,1,1]
	;; [unrolled: 3-line block ×6, first 2 shown]
	v_pk_fma_f32 v[4:5], v[2:3], v[4:5], 1.0 op_sel_hi:[0,1,0]
	v_div_scale_f32 v2, s[0:1], v5, v5, v4
	v_rcp_f32_e32 v9, v2
	v_cmp_gt_f32_e64 s[0:1], s12, v1
	v_fma_f32 v10, -v2, v9, 1.0
	v_fmac_f32_e32 v9, v10, v9
	v_div_scale_f32 v10, vcc, v4, v5, v4
	v_mul_f32_e32 v11, v10, v9
	v_fma_f32 v12, -v2, v11, v10
	v_fmac_f32_e32 v11, v12, v9
	v_fma_f32 v2, -v2, v11, v10
	v_mul_f32_e32 v10, 0x4f800000, v1
	v_cndmask_b32_e64 v1, v1, v10, s[0:1]
	v_sqrt_f32_e32 v10, v1
	v_div_fmas_f32 v2, v2, v9, v11
	v_div_fixup_f32 v4, v2, v5, v4
	v_add_u32_e32 v2, -1, v10
	v_fma_f32 v5, -v2, v10, v1
	v_cmp_ge_f32_e32 vcc, 0, v5
	v_add_u32_e32 v5, 1, v10
	v_fma_f32 v9, -v5, v10, v1
	v_cndmask_b32_e32 v2, v10, v2, vcc
	v_cmp_lt_f32_e32 vcc, 0, v9
	s_nop 1
	v_cndmask_b32_e32 v2, v2, v5, vcc
	v_mul_f32_e32 v5, 0x37800000, v2
	v_cndmask_b32_e64 v2, v2, v5, s[0:1]
	v_cmp_class_f32_e32 vcc, v1, v6
	s_mov_b32 s0, 0x3fb8aa3b
	s_nop 0
	v_cndmask_b32_e32 v5, v2, v1, vcc
	v_mul_f32_e32 v1, 0x3fb8aa3b, v7
	v_fma_f32 v2, v7, s0, -v1
	v_rndne_f32_e32 v6, v1
	v_fmamk_f32 v2, v7, 0x32a5705f, v2
	v_sub_f32_e32 v1, v1, v6
	v_add_f32_e32 v1, v1, v2
	v_exp_f32_e32 v1, v1
	v_cvt_i32_f32_e32 v2, v6
	s_mov_b32 s0, 0x3f106ebb
	s_mov_b32 s1, 2.0
	v_pk_mul_f32 v[4:5], v[4:5], s[0:1]
	s_mov_b32 s0, 0xc2ce8ed0
	v_ldexp_f32 v1, v1, v2
	v_cmp_ngt_f32_e32 vcc, s0, v7
	s_mov_b32 s0, 0x42b17218
	v_mov_b32_e32 v2, 0x7f800000
	v_cndmask_b32_e32 v1, 0, v1, vcc
	v_cmp_nlt_f32_e32 vcc, s0, v7
	s_nop 1
	v_cndmask_b32_e32 v1, v2, v1, vcc
	v_mul_f32_e32 v1, v5, v1
	v_div_scale_f32 v2, s[0:1], v1, v1, v4
	v_rcp_f32_e32 v5, v2
	s_mov_b32 s0, 0x41052018
	v_fma_f32 v6, -v2, v5, 1.0
	v_fmac_f32_e32 v5, v6, v5
	v_div_scale_f32 v6, vcc, v4, v1, v4
	v_mul_f32_e32 v7, v6, v5
	v_fma_f32 v9, -v2, v7, v6
	v_fmac_f32_e32 v7, v9, v5
	v_fma_f32 v2, -v2, v7, v6
	v_div_fmas_f32 v2, v2, v5, v7
	v_cmp_nlt_f32_e32 vcc, s0, v3
	s_andn2_b64 s[0:1], s[4:5], exec
	s_and_b64 s[12:13], vcc, exec
	v_div_fixup_f32 v1, v2, v1, v4
	s_or_b64 s[0:1], s[0:1], s[12:13]
.LBB19_240:
	s_or_b64 exec, exec, s[10:11]
	s_and_saveexec_b64 s[10:11], s[0:1]
	s_cbranch_execz .LBB19_244
; %bb.241:
	v_mul_f32_e32 v2, v3, v3
	v_mul_f32_e32 v4, v3, v2
	v_mov_b32_e32 v5, v4
	s_mov_b64 s[12:13], 0
	v_mov_b32_e32 v9, 1.0
	v_mov_b32_e32 v2, 1.0
	;; [unrolled: 1-line block ×3, first 2 shown]
	s_brev_b32 s14, 44
	v_mov_b32_e32 v7, v3
.LBB19_242:                             ; =>This Inner Loop Header: Depth=1
	v_pk_mul_f32 v[6:7], v[4:5], v[6:7]
	v_add_f32_e32 v10, 1.0, v9
	v_add_f32_e32 v11, 1.0, v10
	v_div_scale_f32 v12, s[0:1], v10, v10, v6
	v_rcp_f32_e32 v14, v12
	v_div_scale_f32 v15, s[0:1], v11, v11, v7
	v_rcp_f32_e32 v17, v15
	v_fma_f32 v18, -v12, v14, 1.0
	v_div_scale_f32 v13, vcc, v6, v10, v6
	v_fmac_f32_e32 v14, v18, v14
	v_fma_f32 v18, -v15, v17, 1.0
	v_div_scale_f32 v16, s[0:1], v7, v11, v7
	v_mul_f32_e32 v19, v13, v14
	v_fmac_f32_e32 v17, v18, v17
	v_fma_f32 v18, -v12, v19, v13
	v_mul_f32_e32 v20, v16, v17
	v_fmac_f32_e32 v19, v18, v14
	v_fma_f32 v18, -v15, v20, v16
	v_fma_f32 v12, -v12, v19, v13
	v_fmac_f32_e32 v20, v18, v17
	v_div_fmas_f32 v12, v12, v14, v19
	v_fma_f32 v13, -v15, v20, v16
	s_mov_b64 vcc, s[0:1]
	v_div_fixup_f32 v6, v12, v10, v6
	v_div_fmas_f32 v10, v13, v17, v20
	v_add_f32_e32 v9, 1.0, v11
	v_div_fixup_f32 v7, v10, v11, v7
	v_div_scale_f32 v10, s[0:1], v11, v11, v6
	v_div_scale_f32 v13, s[28:29], v9, v9, v7
	v_rcp_f32_e32 v15, v10
	v_rcp_f32_e32 v16, v13
	v_div_scale_f32 v12, s[0:1], v6, v11, v6
	v_fma_f32 v17, -v10, v15, 1.0
	v_fma_f32 v18, -v13, v16, 1.0
	v_div_scale_f32 v14, vcc, v7, v9, v7
	v_fmac_f32_e32 v15, v17, v15
	v_fmac_f32_e32 v16, v18, v16
	v_mul_f32_e32 v17, v12, v15
	v_mul_f32_e32 v18, v14, v16
	v_fma_f32 v19, -v10, v17, v12
	v_fma_f32 v20, -v13, v18, v14
	v_fmac_f32_e32 v17, v19, v15
	v_fmac_f32_e32 v18, v20, v16
	v_fma_f32 v10, -v10, v17, v12
	v_fma_f32 v12, -v13, v18, v14
	v_div_fmas_f32 v12, v12, v16, v18
	s_mov_b64 vcc, s[0:1]
	v_div_fmas_f32 v10, v10, v15, v17
	v_div_fixup_f32 v7, v12, v9, v7
	v_div_fixup_f32 v6, v10, v11, v6
	v_pk_add_f32 v[2:3], v[2:3], v[6:7]
	s_nop 0
	v_div_scale_f32 v10, s[0:1], v2, v2, v6
	v_rcp_f32_e32 v11, v10
	v_div_scale_f32 v12, vcc, v6, v2, v6
	v_fma_f32 v13, -v10, v11, 1.0
	v_fmac_f32_e32 v11, v13, v11
	v_mul_f32_e32 v13, v12, v11
	v_fma_f32 v14, -v10, v13, v12
	v_fmac_f32_e32 v13, v14, v11
	v_fma_f32 v10, -v10, v13, v12
	v_div_fmas_f32 v10, v10, v11, v13
	v_div_fixup_f32 v10, v10, v2, v6
	v_cmp_ngt_f32_e64 s[0:1], |v10|, s14
	s_or_b64 s[12:13], s[0:1], s[12:13]
	s_andn2_b64 exec, exec, s[12:13]
	s_cbranch_execnz .LBB19_242
; %bb.243:
	s_or_b64 exec, exec, s[12:13]
	s_mov_b32 s0, 0x3eb5c63d
	s_mov_b32 s1, 0x3e8483fa
	v_pk_mul_f32 v[2:3], v[2:3], s[0:1]
	s_nop 0
	v_sub_f32_e32 v2, v2, v3
	v_cndmask_b32_e64 v1, v1, v2, s[4:5]
.LBB19_244:
	s_or_b64 exec, exec, s[10:11]
                                        ; implicit-def: $vgpr3
.LBB19_245:
	s_andn2_saveexec_b64 s[10:11], s[2:3]
	s_cbranch_execz .LBB19_264
; %bb.246:
	s_mov_b32 s0, 0x8f800000
	v_mul_f32_e32 v1, 0xcf800000, v3
	v_cmp_lt_f32_e32 vcc, s0, v3
	s_mov_b32 s2, 0x40400000
	s_nop 0
	v_cndmask_b32_e64 v1, -v3, v1, vcc
	v_sqrt_f32_e32 v2, v1
	v_mul_f32_e32 v3, -2.0, v3
	v_add_u32_e32 v4, -1, v2
	v_fma_f32 v5, -v4, v2, v1
	v_cmp_ge_f32_e64 s[0:1], 0, v5
	v_add_u32_e32 v5, 1, v2
	s_nop 0
	v_cndmask_b32_e64 v4, v2, v4, s[0:1]
	v_fma_f32 v2, -v5, v2, v1
	v_cmp_lt_f32_e64 s[0:1], 0, v2
	s_nop 1
	v_cndmask_b32_e64 v2, v4, v5, s[0:1]
	v_mul_f32_e32 v4, 0x37800000, v2
	v_cndmask_b32_e32 v2, v2, v4, vcc
	v_mov_b32_e32 v4, 0x260
	v_cmp_class_f32_e32 vcc, v1, v4
	s_nop 1
	v_cndmask_b32_e32 v1, v2, v1, vcc
	v_mul_f32_e32 v2, v3, v1
	v_div_scale_f32 v3, s[0:1], s2, s2, v2
	v_rcp_f32_e32 v4, v3
	s_brev_b32 s0, 18
	v_fma_f32 v5, -v3, v4, 1.0
	v_fmac_f32_e32 v4, v5, v4
	v_div_scale_f32 v5, vcc, v2, s2, v2
	v_mul_f32_e32 v6, v5, v4
	v_fma_f32 v7, -v3, v6, v5
	v_fmac_f32_e32 v6, v7, v4
	v_fma_f32 v3, -v3, v6, v5
	v_div_fmas_f32 v3, v3, v4, v6
	v_div_fixup_f32 v4, v3, s2, v2
	v_add_f32_e32 v2, 0x3f490fdb, v4
	v_and_b32_e32 v3, 0x7fffffff, v2
	v_cmp_nlt_f32_e64 s[12:13], |v2|, s0
                                        ; implicit-def: $vgpr5
                                        ; implicit-def: $vgpr6
	s_and_saveexec_b64 s[0:1], s[12:13]
	s_xor_b64 s[14:15], exec, s[0:1]
	s_cbranch_execz .LBB19_257
; %bb.247:
	v_lshrrev_b32_e32 v5, 23, v3
	v_add_u32_e32 v5, 0xffffff88, v5
	v_not_b32_e32 v6, 63
	v_cmp_lt_u32_e32 vcc, 63, v5
	s_mov_b32 s4, 0xfe5163ab
	v_mov_b32_e32 v11, 0
	v_cndmask_b32_e32 v6, 0, v6, vcc
	v_add_u32_e32 v5, v6, v5
	v_not_b32_e32 v6, 31
	v_cmp_lt_u32_e64 s[0:1], 31, v5
	s_nop 1
	v_cndmask_b32_e64 v7, 0, v6, s[0:1]
	v_add_u32_e32 v5, v7, v5
	v_cmp_lt_u32_e64 s[2:3], 31, v5
	s_nop 1
	v_cndmask_b32_e64 v6, 0, v6, s[2:3]
	v_add_u32_e32 v5, v6, v5
	v_and_b32_e32 v6, 0x7fffff, v3
	v_or_b32_e32 v9, 0x800000, v6
	v_mad_u64_u32 v[6:7], s[4:5], v9, s4, 0
	v_mov_b32_e32 v10, v7
	s_mov_b32 s4, 0x3c439041
	v_mad_u64_u32 v[12:13], s[4:5], v9, s4, v[10:11]
	v_mov_b32_e32 v10, v13
	s_mov_b32 s4, 0xdb629599
	;; [unrolled: 3-line block ×6, first 2 shown]
	v_mad_u64_u32 v[10:11], s[4:5], v9, s4, v[10:11]
	v_cndmask_b32_e32 v7, v20, v16, vcc
	v_cndmask_b32_e32 v9, v10, v18, vcc
	;; [unrolled: 1-line block ×3, first 2 shown]
	v_cndmask_b32_e64 v10, v9, v7, s[0:1]
	v_cndmask_b32_e64 v9, v11, v9, s[0:1]
	v_cndmask_b32_e32 v11, v18, v14, vcc
	v_cndmask_b32_e64 v7, v7, v11, s[0:1]
	v_cndmask_b32_e64 v9, v9, v10, s[2:3]
	;; [unrolled: 1-line block ×3, first 2 shown]
	v_sub_u32_e32 v13, 32, v5
	v_alignbit_b32 v15, v9, v10, v13
	v_cmp_eq_u32_e64 s[4:5], 0, v5
	v_cndmask_b32_e32 v6, v14, v6, vcc
	s_nop 0
	v_cndmask_b32_e64 v5, v15, v9, s[4:5]
	v_cndmask_b32_e32 v9, v16, v12, vcc
	v_cndmask_b32_e64 v11, v11, v9, s[0:1]
	v_cndmask_b32_e64 v7, v7, v11, s[2:3]
	v_alignbit_b32 v12, v10, v7, v13
	v_cndmask_b32_e64 v6, v9, v6, s[0:1]
	v_cndmask_b32_e64 v10, v12, v10, s[4:5]
	v_bfe_u32 v16, v5, 29, 1
	v_cndmask_b32_e64 v6, v11, v6, s[2:3]
	v_alignbit_b32 v12, v5, v10, 30
	v_sub_u32_e32 v17, 0, v16
	v_alignbit_b32 v9, v7, v6, v13
	v_xor_b32_e32 v12, v12, v17
	v_cndmask_b32_e64 v7, v9, v7, s[4:5]
	v_alignbit_b32 v9, v10, v7, 30
	v_ffbh_u32_e32 v10, v12
	v_min_u32_e32 v10, 32, v10
	v_alignbit_b32 v6, v7, v6, 30
	v_xor_b32_e32 v9, v9, v17
	v_sub_u32_e32 v11, 31, v10
	v_xor_b32_e32 v6, v6, v17
	v_alignbit_b32 v12, v12, v9, v11
	v_alignbit_b32 v6, v9, v6, v11
	;; [unrolled: 1-line block ×3, first 2 shown]
	v_ffbh_u32_e32 v9, v7
	v_min_u32_e32 v9, 32, v9
	v_lshrrev_b32_e32 v15, 29, v5
	v_not_b32_e32 v11, v9
	v_alignbit_b32 v6, v7, v6, v11
	v_lshlrev_b32_e32 v7, 31, v15
	v_or_b32_e32 v11, 0x33000000, v7
	v_add_lshl_u32 v9, v9, v10, 23
	v_lshrrev_b32_e32 v6, 9, v6
	v_sub_u32_e32 v9, v11, v9
	v_or_b32_e32 v7, 0.5, v7
	v_lshlrev_b32_e32 v10, 23, v10
	v_or_b32_e32 v6, v9, v6
	v_lshrrev_b32_e32 v9, 9, v12
	v_sub_u32_e32 v7, v7, v10
	v_or_b32_e32 v7, v9, v7
	s_mov_b32 s0, 0x3fc90fda
	v_mul_f32_e32 v9, 0x3fc90fda, v7
	v_fma_f32 v10, v7, s0, -v9
	v_fmamk_f32 v7, v7, 0x33a22168, v10
	v_fmac_f32_e32 v7, 0x3fc90fda, v6
	v_lshrrev_b32_e32 v5, 30, v5
	v_add_f32_e32 v6, v9, v7
	v_add_u32_e32 v5, v16, v5
	s_andn2_saveexec_b64 s[0:1], s[14:15]
	s_cbranch_execz .LBB19_259
	s_branch .LBB19_258
.LBB19_248:
	s_andn2_saveexec_b64 s[0:1], s[12:13]
	s_cbranch_execz .LBB19_250
.LBB19_249:
	s_mov_b32 s2, 0x3f22f983
	v_mul_f32_e64 v7, |v2|, s2
	v_rndne_f32_e32 v9, v7
	s_mov_b32 s2, 0xbfc90fda
	v_cvt_i32_f32_e32 v7, v9
	v_fma_f32 v10, v9, s2, |v2|
	v_fmamk_f32 v10, v9, 0xb3a22168, v10
	v_fmamk_f32 v9, v9, 0xa7c234c4, v10
.LBB19_250:
	s_or_b64 exec, exec, s[0:1]
	v_div_scale_f32 v10, s[0:1], v4, v4, 1.0
	v_rcp_f32_e32 v11, v10
	v_div_scale_f32 v12, vcc, 1.0, v4, 1.0
	v_xor_b32_e32 v3, v3, v2
	v_fma_f32 v13, -v10, v11, 1.0
	v_fmac_f32_e32 v11, v13, v11
	v_mul_f32_e32 v13, v12, v11
	v_fma_f32 v14, -v10, v13, v12
	v_fmac_f32_e32 v13, v14, v11
	v_fma_f32 v10, -v10, v13, v12
	v_div_fmas_f32 v10, v10, v11, v13
	v_div_fixup_f32 v4, v10, v4, 1.0
	v_mul_f32_e32 v10, v4, v4
	v_mov_b32_e32 v11, 0xbe06db67
	v_mul_f32_e32 v13, v6, v6
	v_mov_b32_e32 v14, 0x3c0881c4
	v_fmac_f32_e32 v11, 0, v10
	v_mov_b32_e32 v12, 0x4155b259
	v_fmamk_f32 v15, v13, 0xb94c1982, v14
	v_fmaak_f32 v11, v10, v11, 0xbf205f75
	v_fmac_f32_e32 v12, 0, v10
	v_fmaak_f32 v15, v13, v15, 0xbe2aaa9d
	v_fmaak_f32 v11, v10, v11, 0xbf3172ce
	;; [unrolled: 1-line block ×3, first 2 shown]
	v_mul_f32_e32 v15, v13, v15
	v_fmaak_f32 v11, v10, v11, 0xbe8f3f52
	v_fmaak_f32 v12, v10, v12, 0x41d5e4c5
	v_fmac_f32_e32 v6, v6, v15
	v_mov_b32_e32 v15, 0xbab64f3b
	v_fmaak_f32 v11, v10, v11, 0xbd497b78
	v_fmaak_f32 v12, v10, v12, 0x4112fe41
	v_fmamk_f32 v17, v13, 0x37d75334, v15
	v_fmaak_f32 v11, v10, v11, 0xbb85200e
	v_fmaak_f32 v12, v10, v12, 0x3fbcd65a
	;; [unrolled: 1-line block ×8, first 2 shown]
	v_fma_f32 v13, v13, v17, 1.0
	v_and_b32_e32 v17, 1, v5
	v_lshlrev_b32_e32 v5, 30, v5
	v_fmaak_f32 v12, v10, v12, 0x389e46bd
	v_fmaak_f32 v11, v10, v11, 0xb29020e8
	v_cmp_eq_u32_e32 vcc, 0, v17
	v_and_b32_e32 v5, 0x80000000, v5
	v_fmaak_f32 v12, v10, v12, 0x34f295ce
	v_cndmask_b32_e32 v6, v13, v6, vcc
	v_xor_b32_e32 v3, v3, v5
	v_mul_f32_e32 v5, v10, v11
	v_xor_b32_e32 v3, v3, v6
	v_div_scale_f32 v6, s[0:1], v12, v12, v5
	v_rcp_f32_e32 v11, v6
	s_movk_i32 s2, 0x1f8
	v_mov_b32_e32 v13, 0x7fc00000
	v_cmp_class_f32_e64 s[0:1], v2, s2
	s_mov_b32 s2, 0xf800000
	s_mov_b32 s5, 0x3f106ebb
	v_cndmask_b32_e64 v2, v13, v3, s[0:1]
	v_fma_f32 v3, -v6, v11, 1.0
	v_fmac_f32_e32 v11, v3, v11
	v_div_scale_f32 v3, vcc, v5, v12, v5
	v_mul_f32_e32 v17, v3, v11
	v_fma_f32 v20, -v6, v17, v3
	v_fmac_f32_e32 v17, v20, v11
	v_fma_f32 v3, -v6, v17, v3
	v_div_fmas_f32 v3, v3, v11, v17
	v_mul_f32_e32 v11, 0x4f800000, v1
	v_cmp_gt_f32_e32 vcc, s2, v1
	v_div_fixup_f32 v3, v3, v12, v5
	v_mov_b32_e32 v5, 0x3ca1a92f
	v_cndmask_b32_e32 v1, v1, v11, vcc
	v_sqrt_f32_e32 v11, v1
	v_fmac_f32_e32 v5, 0, v10
	v_mov_b32_e32 v6, 0x4114f160
	v_fmaak_f32 v5, v10, v5, 0x3ec83ea8
	v_add_u32_e32 v12, -1, v11
	v_fma_f32 v17, -v12, v11, v1
	v_cmp_ge_f32_e64 s[2:3], 0, v17
	v_add_u32_e32 v17, 1, v11
	v_fmac_f32_e32 v6, 0, v10
	v_cndmask_b32_e64 v12, v11, v12, s[2:3]
	v_fma_f32 v11, -v17, v11, v1
	v_cmp_lt_f32_e64 s[2:3], 0, v11
	v_fmaak_f32 v5, v10, v5, 0x3f886c1a
	v_fmaak_f32 v6, v10, v6, 0x419eaeae
	v_cndmask_b32_e64 v11, v12, v17, s[2:3]
	v_mul_f32_e32 v12, 0x37800000, v11
	v_cndmask_b32_e32 v11, v11, v12, vcc
	v_mov_b32_e32 v12, 0x260
	v_fmaak_f32 v5, v10, v5, 0x3f706d65
	v_fmaak_f32 v6, v10, v6, 0x417908dc
	v_cmp_class_f32_e32 vcc, v1, v12
	v_fmaak_f32 v5, v10, v5, 0x3eb3f34e
	v_fmaak_f32 v6, v10, v6, 0x40af4271
	v_cndmask_b32_e32 v1, v11, v1, vcc
	v_fmaak_f32 v5, v10, v5, 0x3d81d209
	v_fmaak_f32 v6, v10, v6, 0x3f744c96
	v_div_scale_f32 v11, s[2:3], v1, v1, s5
	v_fmaak_f32 v5, v10, v5, 0x3bbff4d0
	v_fmaak_f32 v6, v10, v6, 0x3db110ef
	v_rcp_f32_e32 v12, v11
	v_fmaak_f32 v5, v10, v5, 0x39944bb3
	v_fmaak_f32 v6, v10, v6, 0x3b873823
	;; [unrolled: 1-line block ×8, first 2 shown]
	v_fma_f32 v10, -v11, v12, 1.0
	v_fmac_f32_e32 v12, v10, v12
	v_div_scale_f32 v10, vcc, s5, v1, s5
	v_mul_f32_e32 v17, v10, v12
	v_fma_f32 v20, -v11, v17, v10
	v_fmac_f32_e32 v17, v20, v12
	v_fma_f32 v10, -v11, v17, v10
	v_div_fmas_f32 v10, v10, v12, v17
	v_div_fixup_f32 v1, v10, v1, s5
	v_mul_f32_e32 v10, v9, v9
	v_mov_b32_e32 v16, 0xbe2aaa9d
	v_fmac_f32_e32 v14, 0xb94c1982, v10
	v_mov_b32_e32 v18, 0x3d2aabf7
	v_fmac_f32_e32 v16, v10, v14
	v_fmac_f32_e32 v15, 0x37d75334, v10
	v_mov_b32_e32 v19, 0xbf000004
	v_mul_f32_e32 v11, v10, v16
	v_fmac_f32_e32 v18, v10, v15
	v_fmac_f32_e32 v9, v9, v11
	;; [unrolled: 1-line block ×3, first 2 shown]
	v_and_b32_e32 v11, 1, v7
	v_mul_f32_e32 v4, v4, v5
	v_fma_f32 v10, v10, v19, 1.0
	v_cmp_eq_u32_e32 vcc, 0, v11
	v_div_scale_f32 v5, s[2:3], v6, v6, v4
	s_nop 0
	v_cndmask_b32_e64 v9, -v9, v10, vcc
	v_rcp_f32_e32 v10, v5
	s_brev_b32 s4, 1
	v_lshlrev_b32_e32 v7, 30, v7
	v_bitop3_b32 v7, v7, v9, s4 bitop3:0x6c
	v_fma_f32 v9, -v5, v10, 1.0
	v_fmac_f32_e32 v10, v9, v10
	v_div_scale_f32 v9, vcc, v4, v6, v4
	v_mul_f32_e32 v11, v9, v10
	v_fma_f32 v12, -v5, v11, v9
	v_fmac_f32_e32 v11, v12, v10
	v_fma_f32 v5, -v5, v11, v9
	v_div_fmas_f32 v5, v5, v10, v11
	v_cndmask_b32_e64 v7, v13, v7, s[0:1]
	v_div_fixup_f32 v4, v5, v6, v4
	v_add_f32_e32 v3, 1.0, v3
	v_mul_f32_e32 v4, v4, v7
	v_fma_f32 v2, v3, v2, -v4
	v_mul_f32_e32 v1, v1, v2
.LBB19_251:
	s_or_b64 exec, exec, s[10:11]
.LBB19_252:
	s_or_b64 exec, exec, s[8:9]
.LBB19_253:
	s_or_b64 exec, exec, s[6:7]
	v_add_u32_e32 v8, 0x80, v8
	global_store_dword v0, v1, s[16:17]
	s_or_b64 exec, exec, s[48:49]
	v_cmp_gt_i32_e32 vcc, s55, v8
	s_and_saveexec_b64 s[48:49], vcc
	s_cbranch_execnz .LBB19_220
.LBB19_254:
	s_or_b64 exec, exec, s[48:49]
	v_cmp_gt_i32_e32 vcc, s55, v8
	s_and_saveexec_b64 s[48:49], vcc
	s_cbranch_execnz .LBB19_267
.LBB19_255:
	s_or_b64 exec, exec, s[48:49]
                                        ; implicit-def: $vgpr16
                                        ; implicit-def: $vgpr8
	s_andn2_saveexec_b64 s[0:1], s[38:39]
	s_cbranch_execnz .LBB19_9
.LBB19_256:
	s_endpgm
.LBB19_257:
	s_andn2_saveexec_b64 s[0:1], s[14:15]
	s_cbranch_execz .LBB19_259
.LBB19_258:
	s_mov_b32 s2, 0x3f22f983
	v_mul_f32_e64 v5, |v2|, s2
	v_rndne_f32_e32 v6, v5
	s_mov_b32 s2, 0xbfc90fda
	v_cvt_i32_f32_e32 v5, v6
	v_fma_f32 v7, v6, s2, |v2|
	v_fmamk_f32 v7, v6, 0xb3a22168, v7
	v_fmamk_f32 v6, v6, 0xa7c234c4, v7
.LBB19_259:
	s_or_b64 exec, exec, s[0:1]
                                        ; implicit-def: $vgpr7
                                        ; implicit-def: $vgpr9
	s_and_saveexec_b64 s[0:1], s[12:13]
	s_xor_b64 s[12:13], exec, s[0:1]
	s_cbranch_execz .LBB19_261
; %bb.260:
	v_lshrrev_b32_e32 v7, 23, v3
	v_add_u32_e32 v7, 0xffffff88, v7
	v_not_b32_e32 v9, 63
	v_cmp_lt_u32_e32 vcc, 63, v7
	s_mov_b32 s4, 0xfe5163ab
	v_mov_b32_e32 v13, 0
	v_cndmask_b32_e32 v9, 0, v9, vcc
	v_add_u32_e32 v7, v9, v7
	v_not_b32_e32 v9, 31
	v_cmp_lt_u32_e64 s[0:1], 31, v7
	s_nop 1
	v_cndmask_b32_e64 v10, 0, v9, s[0:1]
	v_add_u32_e32 v7, v10, v7
	v_cmp_lt_u32_e64 s[2:3], 31, v7
	s_nop 1
	v_cndmask_b32_e64 v9, 0, v9, s[2:3]
	v_add_u32_e32 v7, v9, v7
	v_and_b32_e32 v9, 0x7fffff, v3
	v_or_b32_e32 v9, 0x800000, v9
	v_mad_u64_u32 v[10:11], s[4:5], v9, s4, 0
	v_mov_b32_e32 v12, v11
	s_mov_b32 s4, 0x3c439041
	v_mad_u64_u32 v[14:15], s[4:5], v9, s4, v[12:13]
	v_mov_b32_e32 v12, v15
	s_mov_b32 s4, 0xdb629599
	;; [unrolled: 3-line block ×6, first 2 shown]
	v_mad_u64_u32 v[12:13], s[4:5], v9, s4, v[12:13]
	v_cndmask_b32_e32 v11, v22, v18, vcc
	v_cndmask_b32_e32 v9, v12, v20, vcc
	;; [unrolled: 1-line block ×3, first 2 shown]
	v_cndmask_b32_e64 v12, v9, v11, s[0:1]
	v_cndmask_b32_e64 v9, v13, v9, s[0:1]
	v_cndmask_b32_e32 v13, v20, v16, vcc
	v_cndmask_b32_e64 v11, v11, v13, s[0:1]
	v_cndmask_b32_e64 v9, v9, v12, s[2:3]
	;; [unrolled: 1-line block ×3, first 2 shown]
	v_sub_u32_e32 v15, 32, v7
	v_alignbit_b32 v17, v9, v12, v15
	v_cmp_eq_u32_e64 s[4:5], 0, v7
	v_cndmask_b32_e32 v10, v16, v10, vcc
	s_nop 0
	v_cndmask_b32_e64 v7, v17, v9, s[4:5]
	v_cndmask_b32_e32 v9, v18, v14, vcc
	v_cndmask_b32_e64 v13, v13, v9, s[0:1]
	v_cndmask_b32_e64 v11, v11, v13, s[2:3]
	v_alignbit_b32 v14, v12, v11, v15
	v_cndmask_b32_e64 v9, v9, v10, s[0:1]
	v_cndmask_b32_e64 v12, v14, v12, s[4:5]
	v_bfe_u32 v18, v7, 29, 1
	v_cndmask_b32_e64 v9, v13, v9, s[2:3]
	v_alignbit_b32 v14, v7, v12, 30
	v_sub_u32_e32 v19, 0, v18
	v_alignbit_b32 v10, v11, v9, v15
	v_xor_b32_e32 v14, v14, v19
	v_cndmask_b32_e64 v10, v10, v11, s[4:5]
	v_alignbit_b32 v11, v12, v10, 30
	v_ffbh_u32_e32 v12, v14
	v_min_u32_e32 v12, 32, v12
	v_alignbit_b32 v9, v10, v9, 30
	v_xor_b32_e32 v11, v11, v19
	v_sub_u32_e32 v13, 31, v12
	v_xor_b32_e32 v9, v9, v19
	v_alignbit_b32 v14, v14, v11, v13
	v_alignbit_b32 v9, v11, v9, v13
	;; [unrolled: 1-line block ×3, first 2 shown]
	v_ffbh_u32_e32 v11, v10
	v_min_u32_e32 v11, 32, v11
	v_lshrrev_b32_e32 v17, 29, v7
	v_not_b32_e32 v13, v11
	v_alignbit_b32 v9, v10, v9, v13
	v_lshlrev_b32_e32 v10, 31, v17
	v_or_b32_e32 v13, 0x33000000, v10
	v_add_lshl_u32 v11, v11, v12, 23
	v_lshrrev_b32_e32 v9, 9, v9
	v_sub_u32_e32 v11, v13, v11
	v_or_b32_e32 v10, 0.5, v10
	v_lshlrev_b32_e32 v12, 23, v12
	v_or_b32_e32 v9, v11, v9
	v_lshrrev_b32_e32 v11, 9, v14
	v_sub_u32_e32 v10, v10, v12
	v_or_b32_e32 v10, v11, v10
	s_mov_b32 s0, 0x3fc90fda
	v_mul_f32_e32 v11, 0x3fc90fda, v10
	v_fma_f32 v12, v10, s0, -v11
	v_fmamk_f32 v10, v10, 0x33a22168, v12
	v_fmac_f32_e32 v10, 0x3fc90fda, v9
	v_lshrrev_b32_e32 v7, 30, v7
	v_add_f32_e32 v9, v11, v10
	v_add_u32_e32 v7, v18, v7
	s_andn2_saveexec_b64 s[0:1], s[12:13]
	s_cbranch_execnz .LBB19_262
	s_branch .LBB19_263
.LBB19_261:
	s_andn2_saveexec_b64 s[0:1], s[12:13]
	s_cbranch_execz .LBB19_263
.LBB19_262:
	s_mov_b32 s2, 0x3f22f983
	v_mul_f32_e64 v7, |v2|, s2
	v_rndne_f32_e32 v9, v7
	s_mov_b32 s2, 0xbfc90fda
	v_cvt_i32_f32_e32 v7, v9
	v_fma_f32 v10, v9, s2, |v2|
	v_fmamk_f32 v10, v9, 0xb3a22168, v10
	v_fmamk_f32 v9, v9, 0xa7c234c4, v10
.LBB19_263:
	s_or_b64 exec, exec, s[0:1]
	v_div_scale_f32 v10, s[0:1], v4, v4, 1.0
	v_rcp_f32_e32 v11, v10
	v_div_scale_f32 v12, vcc, 1.0, v4, 1.0
	v_xor_b32_e32 v3, v3, v2
	v_fma_f32 v13, -v10, v11, 1.0
	v_fmac_f32_e32 v11, v13, v11
	v_mul_f32_e32 v13, v12, v11
	v_fma_f32 v14, -v10, v13, v12
	v_fmac_f32_e32 v13, v14, v11
	v_fma_f32 v10, -v10, v13, v12
	v_div_fmas_f32 v10, v10, v11, v13
	v_div_fixup_f32 v4, v10, v4, 1.0
	v_mul_f32_e32 v10, v4, v4
	v_mov_b32_e32 v11, 0xbe06db67
	v_mul_f32_e32 v13, v6, v6
	v_mov_b32_e32 v14, 0x3c0881c4
	v_fmac_f32_e32 v11, 0, v10
	v_mov_b32_e32 v12, 0x4155b259
	v_fmamk_f32 v15, v13, 0xb94c1982, v14
	v_fmaak_f32 v11, v10, v11, 0xbf205f75
	v_fmac_f32_e32 v12, 0, v10
	v_fmaak_f32 v15, v13, v15, 0xbe2aaa9d
	v_fmaak_f32 v11, v10, v11, 0xbf3172ce
	;; [unrolled: 1-line block ×3, first 2 shown]
	v_mul_f32_e32 v15, v13, v15
	v_fmaak_f32 v11, v10, v11, 0xbe8f3f52
	v_fmaak_f32 v12, v10, v12, 0x41d5e4c5
	v_fmac_f32_e32 v6, v6, v15
	v_mov_b32_e32 v15, 0xbab64f3b
	v_fmaak_f32 v11, v10, v11, 0xbd497b78
	v_fmaak_f32 v12, v10, v12, 0x4112fe41
	v_fmamk_f32 v17, v13, 0x37d75334, v15
	v_fmaak_f32 v11, v10, v11, 0xbb85200e
	v_fmaak_f32 v12, v10, v12, 0x3fbcd65a
	;; [unrolled: 1-line block ×8, first 2 shown]
	v_fma_f32 v13, v13, v17, 1.0
	v_and_b32_e32 v17, 1, v5
	v_lshlrev_b32_e32 v5, 30, v5
	v_fmaak_f32 v12, v10, v12, 0x389e46bd
	v_fmaak_f32 v11, v10, v11, 0xb29020e8
	v_cmp_eq_u32_e32 vcc, 0, v17
	v_and_b32_e32 v5, 0x80000000, v5
	v_fmaak_f32 v12, v10, v12, 0x34f295ce
	v_cndmask_b32_e32 v6, v13, v6, vcc
	v_xor_b32_e32 v3, v3, v5
	v_mul_f32_e32 v5, v10, v11
	v_xor_b32_e32 v3, v3, v6
	v_div_scale_f32 v6, s[0:1], v12, v12, v5
	v_rcp_f32_e32 v11, v6
	s_movk_i32 s2, 0x1f8
	v_mov_b32_e32 v13, 0x7fc00000
	v_cmp_class_f32_e64 s[0:1], v2, s2
	s_mov_b32 s2, 0xf800000
	s_mov_b32 s5, 0x3f106ebb
	v_cndmask_b32_e64 v2, v13, v3, s[0:1]
	v_fma_f32 v3, -v6, v11, 1.0
	v_fmac_f32_e32 v11, v3, v11
	v_div_scale_f32 v3, vcc, v5, v12, v5
	v_mul_f32_e32 v17, v3, v11
	v_fma_f32 v20, -v6, v17, v3
	v_fmac_f32_e32 v17, v20, v11
	v_fma_f32 v3, -v6, v17, v3
	v_div_fmas_f32 v3, v3, v11, v17
	v_mul_f32_e32 v11, 0x4f800000, v1
	v_cmp_gt_f32_e32 vcc, s2, v1
	v_div_fixup_f32 v3, v3, v12, v5
	v_mov_b32_e32 v5, 0x3ca1a92f
	v_cndmask_b32_e32 v1, v1, v11, vcc
	v_sqrt_f32_e32 v11, v1
	v_fmac_f32_e32 v5, 0, v10
	v_mov_b32_e32 v6, 0x4114f160
	v_fmaak_f32 v5, v10, v5, 0x3ec83ea8
	v_add_u32_e32 v12, -1, v11
	v_fma_f32 v17, -v12, v11, v1
	v_cmp_ge_f32_e64 s[2:3], 0, v17
	v_add_u32_e32 v17, 1, v11
	v_fmac_f32_e32 v6, 0, v10
	v_cndmask_b32_e64 v12, v11, v12, s[2:3]
	v_fma_f32 v11, -v17, v11, v1
	v_cmp_lt_f32_e64 s[2:3], 0, v11
	v_fmaak_f32 v5, v10, v5, 0x3f886c1a
	v_fmaak_f32 v6, v10, v6, 0x419eaeae
	v_cndmask_b32_e64 v11, v12, v17, s[2:3]
	v_mul_f32_e32 v12, 0x37800000, v11
	v_cndmask_b32_e32 v11, v11, v12, vcc
	v_mov_b32_e32 v12, 0x260
	v_fmaak_f32 v5, v10, v5, 0x3f706d65
	v_fmaak_f32 v6, v10, v6, 0x417908dc
	v_cmp_class_f32_e32 vcc, v1, v12
	v_fmaak_f32 v5, v10, v5, 0x3eb3f34e
	v_fmaak_f32 v6, v10, v6, 0x40af4271
	v_cndmask_b32_e32 v1, v11, v1, vcc
	v_fmaak_f32 v5, v10, v5, 0x3d81d209
	v_fmaak_f32 v6, v10, v6, 0x3f744c96
	v_div_scale_f32 v11, s[2:3], v1, v1, s5
	v_fmaak_f32 v5, v10, v5, 0x3bbff4d0
	v_fmaak_f32 v6, v10, v6, 0x3db110ef
	v_rcp_f32_e32 v12, v11
	v_fmaak_f32 v5, v10, v5, 0x39944bb3
	v_fmaak_f32 v6, v10, v6, 0x3b873823
	;; [unrolled: 1-line block ×8, first 2 shown]
	v_fma_f32 v10, -v11, v12, 1.0
	v_fmac_f32_e32 v12, v10, v12
	v_div_scale_f32 v10, vcc, s5, v1, s5
	v_mul_f32_e32 v17, v10, v12
	v_fma_f32 v20, -v11, v17, v10
	v_fmac_f32_e32 v17, v20, v12
	v_fma_f32 v10, -v11, v17, v10
	v_div_fmas_f32 v10, v10, v12, v17
	v_div_fixup_f32 v1, v10, v1, s5
	v_mul_f32_e32 v10, v9, v9
	v_mov_b32_e32 v16, 0xbe2aaa9d
	v_fmac_f32_e32 v14, 0xb94c1982, v10
	v_mov_b32_e32 v18, 0x3d2aabf7
	v_fmac_f32_e32 v16, v10, v14
	v_fmac_f32_e32 v15, 0x37d75334, v10
	v_mov_b32_e32 v19, 0xbf000004
	v_mul_f32_e32 v11, v10, v16
	v_fmac_f32_e32 v18, v10, v15
	v_fmac_f32_e32 v9, v9, v11
	;; [unrolled: 1-line block ×3, first 2 shown]
	v_and_b32_e32 v11, 1, v7
	v_mul_f32_e32 v4, v4, v5
	v_fma_f32 v10, v10, v19, 1.0
	v_cmp_eq_u32_e32 vcc, 0, v11
	v_div_scale_f32 v5, s[2:3], v6, v6, v4
	s_nop 0
	v_cndmask_b32_e64 v9, -v9, v10, vcc
	v_rcp_f32_e32 v10, v5
	s_brev_b32 s4, 1
	v_lshlrev_b32_e32 v7, 30, v7
	v_bitop3_b32 v7, v7, v9, s4 bitop3:0x6c
	v_fma_f32 v9, -v5, v10, 1.0
	v_fmac_f32_e32 v10, v9, v10
	v_div_scale_f32 v9, vcc, v4, v6, v4
	v_mul_f32_e32 v11, v9, v10
	v_fma_f32 v12, -v5, v11, v9
	v_fmac_f32_e32 v11, v12, v10
	v_fma_f32 v5, -v5, v11, v9
	v_div_fmas_f32 v5, v5, v10, v11
	v_cndmask_b32_e64 v7, v13, v7, s[0:1]
	v_div_fixup_f32 v4, v5, v6, v4
	v_add_f32_e32 v3, 1.0, v3
	v_mul_f32_e32 v4, v4, v7
	v_fma_f32 v2, v3, v2, -v4
	v_mul_f32_e32 v1, v1, v2
.LBB19_264:
	s_or_b64 exec, exec, s[10:11]
.LBB19_265:
	s_or_b64 exec, exec, s[8:9]
.LBB19_266:
	s_or_b64 exec, exec, s[6:7]
	v_add_u32_e32 v8, 0x80, v8
	global_store_dword v0, v1, s[16:17]
	s_or_b64 exec, exec, s[48:49]
	v_cmp_gt_i32_e32 vcc, s55, v8
	s_and_saveexec_b64 s[48:49], vcc
	s_cbranch_execz .LBB19_255
.LBB19_267:
	s_andn2_b64 vcc, exec, s[36:37]
	s_cbranch_vccnz .LBB19_273
; %bb.268:
	s_andn2_b64 vcc, exec, s[46:47]
	s_cbranch_vccnz .LBB19_274
; %bb.269:
	s_add_i32 s56, s56, 1
	s_cmp_eq_u32 s54, 2
	s_cbranch_scc1 .LBB19_275
; %bb.270:
	s_and_b32 s50, s56, 28
	s_mov_b32 s51, 0
	v_mov_b32_e32 v0, 0
	v_mov_b32_e32 v2, 0
	s_mov_b64 s[46:47], s[34:35]
	v_mov_b32_e32 v4, v8
.LBB19_271:                             ; =>This Inner Loop Header: Depth=1
	s_load_dwordx8 s[8:15], s[46:47], 0x4
	s_load_dwordx4 s[28:31], s[46:47], 0x24
	s_load_dwordx8 s[0:7], s[44:45], 0x0
	s_add_u32 s46, s46, 48
	s_addc_u32 s47, s47, 0
	s_waitcnt lgkmcnt(0)
	v_mul_hi_u32 v1, s9, v4
	v_add_u32_e32 v1, v4, v1
	v_lshrrev_b32_e32 v1, s10, v1
	v_mul_lo_u32 v3, v1, s8
	v_mul_hi_u32 v5, s12, v1
	v_sub_u32_e32 v3, v4, v3
	v_add_u32_e32 v4, v1, v5
	v_lshrrev_b32_e32 v4, s13, v4
	v_mul_lo_u32 v6, v4, s11
	v_mul_hi_u32 v7, s15, v4
	v_sub_u32_e32 v1, v1, v6
	v_add_u32_e32 v6, v4, v7
	v_mul_lo_u32 v5, v3, s1
	v_mul_lo_u32 v3, v3, s0
	;; [unrolled: 1-line block ×4, first 2 shown]
	v_lshrrev_b32_e32 v6, s28, v6
	v_add3_u32 v0, v3, v0, v1
	v_mul_hi_u32 v3, s30, v6
	v_add3_u32 v1, v5, v2, v7
	v_mul_lo_u32 v2, v6, s14
	v_add_u32_e32 v3, v6, v3
	v_sub_u32_e32 v2, v4, v2
	v_lshrrev_b32_e32 v4, s31, v3
	s_add_i32 s51, s51, 4
	v_mul_lo_u32 v3, v4, s29
	s_add_u32 s44, s44, 32
	v_sub_u32_e32 v3, v6, v3
	s_addc_u32 s45, s45, 0
	v_mul_lo_u32 v5, v2, s4
	v_mul_lo_u32 v2, v2, s5
	;; [unrolled: 1-line block ×4, first 2 shown]
	s_cmp_eq_u32 s50, s51
	v_add3_u32 v2, v2, v1, v3
	v_add3_u32 v0, v5, v0, v6
	s_cbranch_scc0 .LBB19_271
; %bb.272:
	v_mov_b32_e32 v1, v2
	s_branch .LBB19_276
.LBB19_273:
                                        ; implicit-def: $vgpr2
                                        ; implicit-def: $vgpr0
	s_branch .LBB19_280
.LBB19_274:
	v_mov_b32_e32 v2, 0
	v_mov_b32_e32 v0, 0
	s_branch .LBB19_279
.LBB19_275:
	v_mov_b32_e32 v0, 0
	s_mov_b32 s50, 0
	v_mov_b32_e32 v1, v0
                                        ; implicit-def: $vgpr2
	v_mov_b32_e32 v4, v8
.LBB19_276:
	s_and_b32 s4, s56, 3
	s_cmp_eq_u32 s4, 0
	s_cbranch_scc1 .LBB19_279
; %bb.277:
	s_lshl_b32 s0, s50, 3
	s_add_u32 s0, s34, s0
	s_addc_u32 s1, s35, 0
	s_add_u32 s0, s0, 0xc4
	s_addc_u32 s1, s1, 0
	s_mul_i32 s2, s50, 12
	s_add_u32 s2, s34, s2
	s_addc_u32 s3, s35, 0
.LBB19_278:                             ; =>This Inner Loop Header: Depth=1
	s_load_dwordx2 s[6:7], s[2:3], 0x4
	s_load_dword s5, s[2:3], 0xc
	s_load_dwordx2 s[8:9], s[0:1], 0x0
	v_mov_b32_e32 v2, v1
	s_add_u32 s2, s2, 12
	s_waitcnt lgkmcnt(0)
	v_mul_hi_u32 v1, s7, v4
	v_add_u32_e32 v1, v4, v1
	v_lshrrev_b32_e32 v1, s5, v1
	s_addc_u32 s3, s3, 0
	v_mul_lo_u32 v3, v1, s6
	s_add_u32 s0, s0, 8
	v_sub_u32_e32 v5, v4, v3
	s_addc_u32 s1, s1, 0
	s_add_i32 s4, s4, -1
	v_mov_b32_e32 v4, v1
	v_mad_u64_u32 v[2:3], s[6:7], v5, s9, v[2:3]
	v_mad_u64_u32 v[0:1], s[6:7], v5, s8, v[0:1]
	s_cmp_lg_u32 s4, 0
	v_mov_b32_e32 v1, v2
	s_cbranch_scc1 .LBB19_278
.LBB19_279:
	s_cbranch_execnz .LBB19_282
.LBB19_280:
	s_waitcnt lgkmcnt(0)
	v_mul_hi_u32 v0, s25, v8
	v_add_u32_e32 v0, v8, v0
	v_lshrrev_b32_e32 v1, s26, v0
	v_mul_lo_u32 v0, v1, s24
	v_sub_u32_e32 v0, v8, v0
	v_mul_lo_u32 v2, v0, s21
	s_andn2_b64 vcc, exec, s[42:43]
	v_mul_lo_u32 v0, v0, s20
	s_cbranch_vccnz .LBB19_282
; %bb.281:
	v_mul_hi_u32 v3, s40, v1
	v_add_u32_e32 v3, v1, v3
	v_lshrrev_b32_e32 v3, s41, v3
	v_mul_lo_u32 v3, v3, s27
	v_sub_u32_e32 v3, v1, v3
	v_mad_u64_u32 v[0:1], s[0:1], v3, s22, v[0:1]
	v_mad_u64_u32 v[2:3], s[0:1], v3, s23, v[2:3]
.LBB19_282:
	s_waitcnt lgkmcnt(0)
	global_load_dword v3, v2, s[18:19]
	s_mov_b32 s0, 0x7f800000
	v_mov_b32_e32 v1, 0x7fc00000
	s_waitcnt vmcnt(0)
	v_cmp_neq_f32_e64 s[0:1], |v3|, s0
	s_and_saveexec_b64 s[6:7], s[0:1]
	s_cbranch_execz .LBB19_304
; %bb.283:
	s_mov_b32 s0, 0x42cfc8b4
	v_cmp_nlt_f32_e32 vcc, s0, v3
	v_mov_b32_e32 v1, 0
	s_and_saveexec_b64 s[8:9], vcc
	s_cbranch_execz .LBB19_303
; %bb.284:
	s_mov_b32 s0, 0xc005c28f
	v_cmp_ngt_f32_e32 vcc, s0, v3
                                        ; implicit-def: $vgpr1
	s_and_saveexec_b64 s[0:1], vcc
	s_xor_b64 s[2:3], exec, s[0:1]
	s_cbranch_execz .LBB19_292
; %bb.285:
	s_mov_b32 s0, 0x4005c28f
	v_cmp_nle_f32_e64 s[4:5], s0, v3
	v_cmp_le_f32_e32 vcc, s0, v3
	v_mov_b32_e32 v1, 0
	s_mov_b64 s[0:1], s[4:5]
	s_and_saveexec_b64 s[10:11], vcc
	s_cbranch_execz .LBB19_287
; %bb.286:
	s_mov_b32 s12, 0xf800000
	v_mul_f32_e32 v1, 0x4f800000, v3
	v_cmp_gt_f32_e32 vcc, s12, v3
	v_add_f32_e32 v4, v3, v3
	s_mov_b32 s13, 0x40400000
	v_cndmask_b32_e32 v1, v3, v1, vcc
	v_sqrt_f32_e32 v2, v1
	s_nop 0
	v_add_u32_e32 v5, -1, v2
	v_fma_f32 v6, -v5, v2, v1
	v_cmp_ge_f32_e64 s[0:1], 0, v6
	v_add_u32_e32 v6, 1, v2
	s_nop 0
	v_cndmask_b32_e64 v5, v2, v5, s[0:1]
	v_fma_f32 v2, -v6, v2, v1
	v_cmp_lt_f32_e64 s[0:1], 0, v2
	s_nop 1
	v_cndmask_b32_e64 v2, v5, v6, s[0:1]
	v_mul_f32_e32 v5, 0x37800000, v2
	v_mov_b32_e32 v6, 0x260
	v_cndmask_b32_e32 v2, v2, v5, vcc
	v_cmp_class_f32_e32 vcc, v1, v6
	s_nop 1
	v_cndmask_b32_e32 v1, v2, v1, vcc
	v_mul_f32_e32 v2, v4, v1
	v_div_scale_f32 v4, s[0:1], s13, s13, v2
	v_rcp_f32_e32 v5, v4
	s_nop 0
	v_fma_f32 v7, -v4, v5, 1.0
	v_fmac_f32_e32 v5, v7, v5
	v_div_scale_f32 v7, vcc, v2, s13, v2
	v_mul_f32_e32 v8, v7, v5
	v_fma_f32 v9, -v4, v8, v7
	v_fmac_f32_e32 v8, v9, v5
	v_fma_f32 v4, -v4, v8, v7
	v_div_fmas_f32 v4, v4, v5, v8
	v_div_fixup_f32 v7, v4, s13, v2
	v_div_scale_f32 v2, s[0:1], v7, v7, 1.0
	v_rcp_f32_e32 v4, v2
	s_mov_b32 s0, 0x3eb16d71
	s_mov_b32 s1, 0x3f114de0
	v_fma_f32 v5, -v2, v4, 1.0
	v_fmac_f32_e32 v4, v5, v4
	v_div_scale_f32 v5, vcc, 1.0, v7, 1.0
	v_mul_f32_e32 v8, v5, v4
	v_fma_f32 v9, -v2, v8, v5
	v_fmac_f32_e32 v8, v9, v4
	v_fma_f32 v2, -v2, v8, v5
	v_div_fmas_f32 v2, v2, v4, v8
	v_div_fixup_f32 v2, v2, v7, 1.0
	v_mul_f32_e32 v4, 0, v2
	v_pk_add_f32 v[4:5], v[4:5], s[0:1] op_sel_hi:[0,1]
	s_mov_b32 s0, 0x41401f1c
	s_mov_b32 s1, 0x416c19a0
	v_pk_fma_f32 v[4:5], v[2:3], v[4:5], s[0:1] op_sel_hi:[0,1,1]
	s_mov_b32 s0, 0x42988f28
	s_mov_b32 s1, 0x42a9071e
	v_pk_fma_f32 v[4:5], v[2:3], v[4:5], s[0:1] op_sel_hi:[0,1,1]
	;; [unrolled: 3-line block ×6, first 2 shown]
	v_pk_fma_f32 v[4:5], v[2:3], v[4:5], 1.0 op_sel_hi:[0,1,0]
	v_div_scale_f32 v2, s[0:1], v5, v5, v4
	v_rcp_f32_e32 v8, v2
	v_cmp_gt_f32_e64 s[0:1], s12, v1
	v_fma_f32 v9, -v2, v8, 1.0
	v_fmac_f32_e32 v8, v9, v8
	v_div_scale_f32 v9, vcc, v4, v5, v4
	v_mul_f32_e32 v10, v9, v8
	v_fma_f32 v11, -v2, v10, v9
	v_fmac_f32_e32 v10, v11, v8
	v_fma_f32 v2, -v2, v10, v9
	v_mul_f32_e32 v9, 0x4f800000, v1
	v_cndmask_b32_e64 v1, v1, v9, s[0:1]
	v_sqrt_f32_e32 v9, v1
	v_div_fmas_f32 v2, v2, v8, v10
	v_div_fixup_f32 v4, v2, v5, v4
	v_add_u32_e32 v2, -1, v9
	v_fma_f32 v5, -v2, v9, v1
	v_cmp_ge_f32_e32 vcc, 0, v5
	v_add_u32_e32 v5, 1, v9
	v_fma_f32 v8, -v5, v9, v1
	v_cndmask_b32_e32 v2, v9, v2, vcc
	v_cmp_lt_f32_e32 vcc, 0, v8
	s_nop 1
	v_cndmask_b32_e32 v2, v2, v5, vcc
	v_mul_f32_e32 v5, 0x37800000, v2
	v_cndmask_b32_e64 v2, v2, v5, s[0:1]
	v_cmp_class_f32_e32 vcc, v1, v6
	s_mov_b32 s0, 0x3fb8aa3b
	s_nop 0
	v_cndmask_b32_e32 v5, v2, v1, vcc
	v_mul_f32_e32 v1, 0x3fb8aa3b, v7
	v_fma_f32 v2, v7, s0, -v1
	v_rndne_f32_e32 v6, v1
	v_fmamk_f32 v2, v7, 0x32a5705f, v2
	v_sub_f32_e32 v1, v1, v6
	v_add_f32_e32 v1, v1, v2
	v_exp_f32_e32 v1, v1
	v_cvt_i32_f32_e32 v2, v6
	s_mov_b32 s0, 0x3f106ebb
	s_mov_b32 s1, 2.0
	v_pk_mul_f32 v[4:5], v[4:5], s[0:1]
	s_mov_b32 s0, 0xc2ce8ed0
	v_ldexp_f32 v1, v1, v2
	v_cmp_ngt_f32_e32 vcc, s0, v7
	s_mov_b32 s0, 0x42b17218
	v_mov_b32_e32 v2, 0x7f800000
	v_cndmask_b32_e32 v1, 0, v1, vcc
	v_cmp_nlt_f32_e32 vcc, s0, v7
	s_nop 1
	v_cndmask_b32_e32 v1, v2, v1, vcc
	v_mul_f32_e32 v1, v5, v1
	v_div_scale_f32 v2, s[0:1], v1, v1, v4
	v_rcp_f32_e32 v5, v2
	s_mov_b32 s0, 0x41052018
	v_fma_f32 v6, -v2, v5, 1.0
	v_fmac_f32_e32 v5, v6, v5
	v_div_scale_f32 v6, vcc, v4, v1, v4
	v_mul_f32_e32 v7, v6, v5
	v_fma_f32 v8, -v2, v7, v6
	v_fmac_f32_e32 v7, v8, v5
	v_fma_f32 v2, -v2, v7, v6
	v_div_fmas_f32 v2, v2, v5, v7
	v_cmp_nlt_f32_e32 vcc, s0, v3
	s_andn2_b64 s[0:1], s[4:5], exec
	s_and_b64 s[12:13], vcc, exec
	v_div_fixup_f32 v1, v2, v1, v4
	s_or_b64 s[0:1], s[0:1], s[12:13]
.LBB19_287:
	s_or_b64 exec, exec, s[10:11]
	s_and_saveexec_b64 s[10:11], s[0:1]
	s_cbranch_execz .LBB19_291
; %bb.288:
	v_mul_f32_e32 v2, v3, v3
	v_mul_f32_e32 v4, v3, v2
	v_mov_b32_e32 v5, v4
	s_mov_b64 s[12:13], 0
	v_mov_b32_e32 v8, 1.0
	v_mov_b32_e32 v2, 1.0
	;; [unrolled: 1-line block ×3, first 2 shown]
	s_brev_b32 s14, 44
	v_mov_b32_e32 v7, v3
.LBB19_289:                             ; =>This Inner Loop Header: Depth=1
	v_pk_mul_f32 v[6:7], v[4:5], v[6:7]
	v_add_f32_e32 v9, 1.0, v8
	v_add_f32_e32 v10, 1.0, v9
	v_div_scale_f32 v11, s[0:1], v9, v9, v6
	v_rcp_f32_e32 v13, v11
	v_div_scale_f32 v14, s[0:1], v10, v10, v7
	v_rcp_f32_e32 v16, v14
	v_fma_f32 v17, -v11, v13, 1.0
	v_div_scale_f32 v12, vcc, v6, v9, v6
	v_fmac_f32_e32 v13, v17, v13
	v_fma_f32 v17, -v14, v16, 1.0
	v_div_scale_f32 v15, s[0:1], v7, v10, v7
	v_mul_f32_e32 v18, v12, v13
	v_fmac_f32_e32 v16, v17, v16
	v_fma_f32 v17, -v11, v18, v12
	v_mul_f32_e32 v19, v15, v16
	v_fmac_f32_e32 v18, v17, v13
	v_fma_f32 v17, -v14, v19, v15
	v_fma_f32 v11, -v11, v18, v12
	v_fmac_f32_e32 v19, v17, v16
	v_div_fmas_f32 v11, v11, v13, v18
	v_fma_f32 v12, -v14, v19, v15
	s_mov_b64 vcc, s[0:1]
	v_div_fixup_f32 v6, v11, v9, v6
	v_div_fmas_f32 v9, v12, v16, v19
	v_add_f32_e32 v8, 1.0, v10
	v_div_fixup_f32 v7, v9, v10, v7
	v_div_scale_f32 v9, s[0:1], v10, v10, v6
	v_div_scale_f32 v12, s[18:19], v8, v8, v7
	v_rcp_f32_e32 v14, v9
	v_rcp_f32_e32 v15, v12
	v_div_scale_f32 v11, s[0:1], v6, v10, v6
	v_fma_f32 v16, -v9, v14, 1.0
	v_fma_f32 v17, -v12, v15, 1.0
	v_div_scale_f32 v13, vcc, v7, v8, v7
	v_fmac_f32_e32 v14, v16, v14
	v_fmac_f32_e32 v15, v17, v15
	v_mul_f32_e32 v16, v11, v14
	v_mul_f32_e32 v17, v13, v15
	v_fma_f32 v18, -v9, v16, v11
	v_fma_f32 v19, -v12, v17, v13
	v_fmac_f32_e32 v16, v18, v14
	v_fmac_f32_e32 v17, v19, v15
	v_fma_f32 v9, -v9, v16, v11
	v_fma_f32 v11, -v12, v17, v13
	v_div_fmas_f32 v11, v11, v15, v17
	s_mov_b64 vcc, s[0:1]
	v_div_fmas_f32 v9, v9, v14, v16
	v_div_fixup_f32 v7, v11, v8, v7
	v_div_fixup_f32 v6, v9, v10, v6
	v_pk_add_f32 v[2:3], v[2:3], v[6:7]
	s_nop 0
	v_div_scale_f32 v9, s[0:1], v2, v2, v6
	v_rcp_f32_e32 v10, v9
	v_div_scale_f32 v11, vcc, v6, v2, v6
	v_fma_f32 v12, -v9, v10, 1.0
	v_fmac_f32_e32 v10, v12, v10
	v_mul_f32_e32 v12, v11, v10
	v_fma_f32 v13, -v9, v12, v11
	v_fmac_f32_e32 v12, v13, v10
	v_fma_f32 v9, -v9, v12, v11
	v_div_fmas_f32 v9, v9, v10, v12
	v_div_fixup_f32 v9, v9, v2, v6
	v_cmp_ngt_f32_e64 s[0:1], |v9|, s14
	s_or_b64 s[12:13], s[0:1], s[12:13]
	s_andn2_b64 exec, exec, s[12:13]
	s_cbranch_execnz .LBB19_289
; %bb.290:
	s_or_b64 exec, exec, s[12:13]
	s_mov_b32 s0, 0x3eb5c63d
	s_mov_b32 s1, 0x3e8483fa
	v_pk_mul_f32 v[2:3], v[2:3], s[0:1]
	s_nop 0
	v_sub_f32_e32 v2, v2, v3
	v_cndmask_b32_e64 v1, v1, v2, s[4:5]
.LBB19_291:
	s_or_b64 exec, exec, s[10:11]
                                        ; implicit-def: $vgpr3
.LBB19_292:
	s_andn2_saveexec_b64 s[10:11], s[2:3]
	s_cbranch_execz .LBB19_302
; %bb.293:
	s_mov_b32 s0, 0x8f800000
	v_mul_f32_e32 v1, 0xcf800000, v3
	v_cmp_lt_f32_e32 vcc, s0, v3
	s_mov_b32 s2, 0x40400000
	s_nop 0
	v_cndmask_b32_e64 v1, -v3, v1, vcc
	v_sqrt_f32_e32 v2, v1
	v_mul_f32_e32 v3, -2.0, v3
	v_add_u32_e32 v4, -1, v2
	v_fma_f32 v5, -v4, v2, v1
	v_cmp_ge_f32_e64 s[0:1], 0, v5
	v_add_u32_e32 v5, 1, v2
	s_nop 0
	v_cndmask_b32_e64 v4, v2, v4, s[0:1]
	v_fma_f32 v2, -v5, v2, v1
	v_cmp_lt_f32_e64 s[0:1], 0, v2
	s_nop 1
	v_cndmask_b32_e64 v2, v4, v5, s[0:1]
	v_mul_f32_e32 v4, 0x37800000, v2
	v_cndmask_b32_e32 v2, v2, v4, vcc
	v_mov_b32_e32 v4, 0x260
	v_cmp_class_f32_e32 vcc, v1, v4
	s_nop 1
	v_cndmask_b32_e32 v1, v2, v1, vcc
	v_mul_f32_e32 v2, v3, v1
	v_div_scale_f32 v3, s[0:1], s2, s2, v2
	v_rcp_f32_e32 v4, v3
	s_brev_b32 s0, 18
	v_fma_f32 v5, -v3, v4, 1.0
	v_fmac_f32_e32 v4, v5, v4
	v_div_scale_f32 v5, vcc, v2, s2, v2
	v_mul_f32_e32 v6, v5, v4
	v_fma_f32 v7, -v3, v6, v5
	v_fmac_f32_e32 v6, v7, v4
	v_fma_f32 v3, -v3, v6, v5
	v_div_fmas_f32 v3, v3, v4, v6
	v_div_fixup_f32 v4, v3, s2, v2
	v_add_f32_e32 v2, 0x3f490fdb, v4
	v_and_b32_e32 v3, 0x7fffffff, v2
	v_cmp_nlt_f32_e64 s[12:13], |v2|, s0
                                        ; implicit-def: $vgpr5
                                        ; implicit-def: $vgpr6
	s_and_saveexec_b64 s[0:1], s[12:13]
	s_xor_b64 s[14:15], exec, s[0:1]
	s_cbranch_execz .LBB19_295
; %bb.294:
	v_lshrrev_b32_e32 v5, 23, v3
	v_add_u32_e32 v5, 0xffffff88, v5
	v_not_b32_e32 v6, 63
	v_cmp_lt_u32_e32 vcc, 63, v5
	s_mov_b32 s4, 0xfe5163ab
	v_mov_b32_e32 v9, 0
	v_cndmask_b32_e32 v6, 0, v6, vcc
	v_add_u32_e32 v5, v6, v5
	v_not_b32_e32 v6, 31
	v_cmp_lt_u32_e64 s[0:1], 31, v5
	s_nop 1
	v_cndmask_b32_e64 v7, 0, v6, s[0:1]
	v_add_u32_e32 v5, v7, v5
	v_cmp_lt_u32_e64 s[2:3], 31, v5
	s_nop 1
	v_cndmask_b32_e64 v6, 0, v6, s[2:3]
	v_add_u32_e32 v5, v6, v5
	v_and_b32_e32 v6, 0x7fffff, v3
	v_or_b32_e32 v20, 0x800000, v6
	v_mad_u64_u32 v[6:7], s[4:5], v20, s4, 0
	v_mov_b32_e32 v8, v7
	s_mov_b32 s4, 0x3c439041
	v_mad_u64_u32 v[10:11], s[4:5], v20, s4, v[8:9]
	v_mov_b32_e32 v8, v11
	s_mov_b32 s4, 0xdb629599
	;; [unrolled: 3-line block ×6, first 2 shown]
	v_mad_u64_u32 v[8:9], s[4:5], v20, s4, v[8:9]
	v_cndmask_b32_e32 v7, v18, v14, vcc
	v_cndmask_b32_e32 v8, v8, v16, vcc
	;; [unrolled: 1-line block ×3, first 2 shown]
	v_cndmask_b32_e64 v11, v8, v7, s[0:1]
	v_cndmask_b32_e64 v8, v9, v8, s[0:1]
	v_cndmask_b32_e32 v9, v16, v12, vcc
	v_cndmask_b32_e64 v7, v7, v9, s[0:1]
	v_cndmask_b32_e64 v8, v8, v11, s[2:3]
	;; [unrolled: 1-line block ×3, first 2 shown]
	v_sub_u32_e32 v13, 32, v5
	v_alignbit_b32 v15, v8, v11, v13
	v_cmp_eq_u32_e64 s[4:5], 0, v5
	v_cndmask_b32_e32 v6, v12, v6, vcc
	s_nop 0
	v_cndmask_b32_e64 v5, v15, v8, s[4:5]
	v_cndmask_b32_e32 v8, v14, v10, vcc
	v_cndmask_b32_e64 v9, v9, v8, s[0:1]
	v_cndmask_b32_e64 v7, v7, v9, s[2:3]
	v_alignbit_b32 v10, v11, v7, v13
	v_cndmask_b32_e64 v10, v10, v11, s[4:5]
	v_bfe_u32 v15, v5, 29, 1
	v_cndmask_b32_e64 v6, v8, v6, s[0:1]
	v_alignbit_b32 v11, v5, v10, 30
	v_sub_u32_e32 v16, 0, v15
	v_cndmask_b32_e64 v6, v9, v6, s[2:3]
	v_xor_b32_e32 v11, v11, v16
	v_alignbit_b32 v8, v7, v6, v13
	v_cndmask_b32_e64 v7, v8, v7, s[4:5]
	v_ffbh_u32_e32 v9, v11
	v_alignbit_b32 v8, v10, v7, 30
	v_min_u32_e32 v9, 32, v9
	v_alignbit_b32 v6, v7, v6, 30
	v_xor_b32_e32 v8, v8, v16
	v_sub_u32_e32 v10, 31, v9
	v_xor_b32_e32 v6, v6, v16
	v_alignbit_b32 v11, v11, v8, v10
	v_alignbit_b32 v6, v8, v6, v10
	;; [unrolled: 1-line block ×3, first 2 shown]
	v_ffbh_u32_e32 v8, v7
	v_min_u32_e32 v8, 32, v8
	v_lshrrev_b32_e32 v14, 29, v5
	v_not_b32_e32 v10, v8
	v_alignbit_b32 v6, v7, v6, v10
	v_lshlrev_b32_e32 v7, 31, v14
	v_or_b32_e32 v10, 0x33000000, v7
	v_add_lshl_u32 v8, v8, v9, 23
	v_lshrrev_b32_e32 v6, 9, v6
	v_sub_u32_e32 v8, v10, v8
	v_or_b32_e32 v7, 0.5, v7
	v_lshlrev_b32_e32 v9, 23, v9
	v_or_b32_e32 v6, v8, v6
	v_lshrrev_b32_e32 v8, 9, v11
	v_sub_u32_e32 v7, v7, v9
	v_or_b32_e32 v7, v8, v7
	s_mov_b32 s0, 0x3fc90fda
	v_mul_f32_e32 v8, 0x3fc90fda, v7
	v_fma_f32 v9, v7, s0, -v8
	v_fmamk_f32 v7, v7, 0x33a22168, v9
	v_fmac_f32_e32 v7, 0x3fc90fda, v6
	v_lshrrev_b32_e32 v5, 30, v5
	v_add_f32_e32 v6, v8, v7
	v_add_u32_e32 v5, v15, v5
	s_andn2_saveexec_b64 s[0:1], s[14:15]
	s_cbranch_execz .LBB19_297
	s_branch .LBB19_296
.LBB19_295:
	s_andn2_saveexec_b64 s[0:1], s[14:15]
	s_cbranch_execz .LBB19_297
.LBB19_296:
	s_mov_b32 s2, 0x3f22f983
	v_mul_f32_e64 v5, |v2|, s2
	v_rndne_f32_e32 v6, v5
	s_mov_b32 s2, 0xbfc90fda
	v_cvt_i32_f32_e32 v5, v6
	v_fma_f32 v7, v6, s2, |v2|
	v_fmamk_f32 v7, v6, 0xb3a22168, v7
	v_fmamk_f32 v6, v6, 0xa7c234c4, v7
.LBB19_297:
	s_or_b64 exec, exec, s[0:1]
                                        ; implicit-def: $vgpr7
                                        ; implicit-def: $vgpr8
	s_and_saveexec_b64 s[0:1], s[12:13]
	s_xor_b64 s[12:13], exec, s[0:1]
	s_cbranch_execz .LBB19_299
; %bb.298:
	v_lshrrev_b32_e32 v7, 23, v3
	v_add_u32_e32 v7, 0xffffff88, v7
	v_not_b32_e32 v8, 63
	v_cmp_lt_u32_e32 vcc, 63, v7
	s_mov_b32 s4, 0xfe5163ab
	v_mov_b32_e32 v11, 0
	v_cndmask_b32_e32 v8, 0, v8, vcc
	v_add_u32_e32 v7, v8, v7
	v_not_b32_e32 v8, 31
	v_cmp_lt_u32_e64 s[0:1], 31, v7
	s_nop 1
	v_cndmask_b32_e64 v9, 0, v8, s[0:1]
	v_add_u32_e32 v7, v9, v7
	v_cmp_lt_u32_e64 s[2:3], 31, v7
	s_nop 1
	v_cndmask_b32_e64 v8, 0, v8, s[2:3]
	v_add_u32_e32 v7, v8, v7
	v_and_b32_e32 v8, 0x7fffff, v3
	v_or_b32_e32 v22, 0x800000, v8
	v_mad_u64_u32 v[8:9], s[4:5], v22, s4, 0
	v_mov_b32_e32 v10, v9
	s_mov_b32 s4, 0x3c439041
	v_mad_u64_u32 v[12:13], s[4:5], v22, s4, v[10:11]
	v_mov_b32_e32 v10, v13
	s_mov_b32 s4, 0xdb629599
	;; [unrolled: 3-line block ×6, first 2 shown]
	v_mad_u64_u32 v[10:11], s[4:5], v22, s4, v[10:11]
	v_cndmask_b32_e32 v9, v20, v16, vcc
	v_cndmask_b32_e32 v10, v10, v18, vcc
	;; [unrolled: 1-line block ×3, first 2 shown]
	v_cndmask_b32_e64 v13, v10, v9, s[0:1]
	v_cndmask_b32_e64 v10, v11, v10, s[0:1]
	v_cndmask_b32_e32 v11, v18, v14, vcc
	v_cndmask_b32_e64 v9, v9, v11, s[0:1]
	v_cndmask_b32_e64 v10, v10, v13, s[2:3]
	v_cndmask_b32_e64 v13, v13, v9, s[2:3]
	v_sub_u32_e32 v15, 32, v7
	v_alignbit_b32 v17, v10, v13, v15
	v_cmp_eq_u32_e64 s[4:5], 0, v7
	v_cndmask_b32_e32 v8, v14, v8, vcc
	s_nop 0
	v_cndmask_b32_e64 v7, v17, v10, s[4:5]
	v_cndmask_b32_e32 v10, v16, v12, vcc
	v_cndmask_b32_e64 v11, v11, v10, s[0:1]
	v_cndmask_b32_e64 v9, v9, v11, s[2:3]
	v_alignbit_b32 v12, v13, v9, v15
	v_cndmask_b32_e64 v12, v12, v13, s[4:5]
	v_bfe_u32 v17, v7, 29, 1
	v_cndmask_b32_e64 v8, v10, v8, s[0:1]
	v_alignbit_b32 v13, v7, v12, 30
	v_sub_u32_e32 v18, 0, v17
	v_cndmask_b32_e64 v8, v11, v8, s[2:3]
	v_xor_b32_e32 v13, v13, v18
	v_alignbit_b32 v10, v9, v8, v15
	v_cndmask_b32_e64 v9, v10, v9, s[4:5]
	v_ffbh_u32_e32 v11, v13
	v_alignbit_b32 v10, v12, v9, 30
	v_min_u32_e32 v11, 32, v11
	v_alignbit_b32 v8, v9, v8, 30
	v_xor_b32_e32 v10, v10, v18
	v_sub_u32_e32 v12, 31, v11
	v_xor_b32_e32 v8, v8, v18
	v_alignbit_b32 v13, v13, v10, v12
	v_alignbit_b32 v8, v10, v8, v12
	;; [unrolled: 1-line block ×3, first 2 shown]
	v_ffbh_u32_e32 v10, v9
	v_min_u32_e32 v10, 32, v10
	v_lshrrev_b32_e32 v16, 29, v7
	v_not_b32_e32 v12, v10
	v_alignbit_b32 v8, v9, v8, v12
	v_lshlrev_b32_e32 v9, 31, v16
	v_or_b32_e32 v12, 0x33000000, v9
	v_add_lshl_u32 v10, v10, v11, 23
	v_lshrrev_b32_e32 v8, 9, v8
	v_sub_u32_e32 v10, v12, v10
	v_or_b32_e32 v9, 0.5, v9
	v_lshlrev_b32_e32 v11, 23, v11
	v_or_b32_e32 v8, v10, v8
	v_lshrrev_b32_e32 v10, 9, v13
	v_sub_u32_e32 v9, v9, v11
	v_or_b32_e32 v9, v10, v9
	s_mov_b32 s0, 0x3fc90fda
	v_mul_f32_e32 v10, 0x3fc90fda, v9
	v_fma_f32 v11, v9, s0, -v10
	v_fmamk_f32 v9, v9, 0x33a22168, v11
	v_fmac_f32_e32 v9, 0x3fc90fda, v8
	v_lshrrev_b32_e32 v7, 30, v7
	v_add_f32_e32 v8, v10, v9
	v_add_u32_e32 v7, v17, v7
	s_andn2_saveexec_b64 s[0:1], s[12:13]
	s_cbranch_execnz .LBB19_300
	s_branch .LBB19_301
.LBB19_299:
	s_andn2_saveexec_b64 s[0:1], s[12:13]
	s_cbranch_execz .LBB19_301
.LBB19_300:
	s_mov_b32 s2, 0x3f22f983
	v_mul_f32_e64 v7, |v2|, s2
	v_rndne_f32_e32 v8, v7
	s_mov_b32 s2, 0xbfc90fda
	v_cvt_i32_f32_e32 v7, v8
	v_fma_f32 v9, v8, s2, |v2|
	v_fmamk_f32 v9, v8, 0xb3a22168, v9
	v_fmamk_f32 v8, v8, 0xa7c234c4, v9
.LBB19_301:
	s_or_b64 exec, exec, s[0:1]
	v_div_scale_f32 v9, s[0:1], v4, v4, 1.0
	v_rcp_f32_e32 v10, v9
	v_div_scale_f32 v11, vcc, 1.0, v4, 1.0
	v_xor_b32_e32 v3, v3, v2
	v_fma_f32 v12, -v9, v10, 1.0
	v_fmac_f32_e32 v10, v12, v10
	v_mul_f32_e32 v12, v11, v10
	v_fma_f32 v13, -v9, v12, v11
	v_fmac_f32_e32 v12, v13, v10
	v_fma_f32 v9, -v9, v12, v11
	v_div_fmas_f32 v9, v9, v10, v12
	v_div_fixup_f32 v4, v9, v4, 1.0
	v_mul_f32_e32 v9, v4, v4
	v_mov_b32_e32 v10, 0xbe06db67
	v_mul_f32_e32 v12, v6, v6
	v_mov_b32_e32 v13, 0x3c0881c4
	v_fmac_f32_e32 v10, 0, v9
	v_mov_b32_e32 v11, 0x4155b259
	v_fmamk_f32 v14, v12, 0xb94c1982, v13
	v_fmaak_f32 v10, v9, v10, 0xbf205f75
	v_fmac_f32_e32 v11, 0, v9
	v_fmaak_f32 v14, v12, v14, 0xbe2aaa9d
	v_fmaak_f32 v10, v9, v10, 0xbf3172ce
	;; [unrolled: 1-line block ×3, first 2 shown]
	v_mul_f32_e32 v14, v12, v14
	v_fmaak_f32 v10, v9, v10, 0xbe8f3f52
	v_fmaak_f32 v11, v9, v11, 0x41d5e4c5
	v_fmac_f32_e32 v6, v6, v14
	v_mov_b32_e32 v14, 0xbab64f3b
	v_fmaak_f32 v10, v9, v10, 0xbd497b78
	v_fmaak_f32 v11, v9, v11, 0x4112fe41
	v_fmamk_f32 v16, v12, 0x37d75334, v14
	v_fmaak_f32 v10, v9, v10, 0xbb85200e
	v_fmaak_f32 v11, v9, v11, 0x3fbcd65a
	;; [unrolled: 1-line block ×8, first 2 shown]
	v_fma_f32 v12, v12, v16, 1.0
	v_and_b32_e32 v16, 1, v5
	v_lshlrev_b32_e32 v5, 30, v5
	v_fmaak_f32 v11, v9, v11, 0x389e46bd
	v_fmaak_f32 v10, v9, v10, 0xb29020e8
	v_cmp_eq_u32_e32 vcc, 0, v16
	v_and_b32_e32 v5, 0x80000000, v5
	v_fmaak_f32 v11, v9, v11, 0x34f295ce
	v_cndmask_b32_e32 v6, v12, v6, vcc
	v_xor_b32_e32 v3, v3, v5
	v_mul_f32_e32 v5, v9, v10
	v_xor_b32_e32 v3, v3, v6
	v_div_scale_f32 v6, s[0:1], v11, v11, v5
	v_rcp_f32_e32 v10, v6
	s_movk_i32 s2, 0x1f8
	v_mov_b32_e32 v12, 0x7fc00000
	v_cmp_class_f32_e64 s[0:1], v2, s2
	s_mov_b32 s2, 0xf800000
	s_mov_b32 s5, 0x3f106ebb
	v_cndmask_b32_e64 v2, v12, v3, s[0:1]
	v_fma_f32 v3, -v6, v10, 1.0
	v_fmac_f32_e32 v10, v3, v10
	v_div_scale_f32 v3, vcc, v5, v11, v5
	v_mul_f32_e32 v16, v3, v10
	v_fma_f32 v19, -v6, v16, v3
	v_fmac_f32_e32 v16, v19, v10
	v_fma_f32 v3, -v6, v16, v3
	v_div_fmas_f32 v3, v3, v10, v16
	v_mul_f32_e32 v10, 0x4f800000, v1
	v_cmp_gt_f32_e32 vcc, s2, v1
	v_div_fixup_f32 v3, v3, v11, v5
	v_mov_b32_e32 v5, 0x3ca1a92f
	v_cndmask_b32_e32 v1, v1, v10, vcc
	v_sqrt_f32_e32 v10, v1
	v_fmac_f32_e32 v5, 0, v9
	v_mov_b32_e32 v6, 0x4114f160
	v_fmaak_f32 v5, v9, v5, 0x3ec83ea8
	v_add_u32_e32 v11, -1, v10
	v_fma_f32 v16, -v11, v10, v1
	v_cmp_ge_f32_e64 s[2:3], 0, v16
	v_add_u32_e32 v16, 1, v10
	v_fmac_f32_e32 v6, 0, v9
	v_cndmask_b32_e64 v11, v10, v11, s[2:3]
	v_fma_f32 v10, -v16, v10, v1
	v_cmp_lt_f32_e64 s[2:3], 0, v10
	v_fmaak_f32 v5, v9, v5, 0x3f886c1a
	v_fmaak_f32 v6, v9, v6, 0x419eaeae
	v_cndmask_b32_e64 v10, v11, v16, s[2:3]
	v_mul_f32_e32 v11, 0x37800000, v10
	v_cndmask_b32_e32 v10, v10, v11, vcc
	v_mov_b32_e32 v11, 0x260
	v_fmaak_f32 v5, v9, v5, 0x3f706d65
	v_fmaak_f32 v6, v9, v6, 0x417908dc
	v_cmp_class_f32_e32 vcc, v1, v11
	v_fmaak_f32 v5, v9, v5, 0x3eb3f34e
	v_fmaak_f32 v6, v9, v6, 0x40af4271
	v_cndmask_b32_e32 v1, v10, v1, vcc
	v_fmaak_f32 v5, v9, v5, 0x3d81d209
	v_fmaak_f32 v6, v9, v6, 0x3f744c96
	v_div_scale_f32 v10, s[2:3], v1, v1, s5
	v_fmaak_f32 v5, v9, v5, 0x3bbff4d0
	v_fmaak_f32 v6, v9, v6, 0x3db110ef
	v_rcp_f32_e32 v11, v10
	v_fmaak_f32 v5, v9, v5, 0x39944bb3
	v_fmaak_f32 v6, v9, v6, 0x3b873823
	;; [unrolled: 1-line block ×8, first 2 shown]
	v_fma_f32 v9, -v10, v11, 1.0
	v_fmac_f32_e32 v11, v9, v11
	v_div_scale_f32 v9, vcc, s5, v1, s5
	v_mul_f32_e32 v16, v9, v11
	v_fma_f32 v19, -v10, v16, v9
	v_fmac_f32_e32 v16, v19, v11
	v_fma_f32 v9, -v10, v16, v9
	v_div_fmas_f32 v9, v9, v11, v16
	v_div_fixup_f32 v1, v9, v1, s5
	v_mul_f32_e32 v9, v8, v8
	v_mov_b32_e32 v15, 0xbe2aaa9d
	v_fmac_f32_e32 v13, 0xb94c1982, v9
	v_mov_b32_e32 v17, 0x3d2aabf7
	v_fmac_f32_e32 v15, v9, v13
	v_fmac_f32_e32 v14, 0x37d75334, v9
	v_mov_b32_e32 v18, 0xbf000004
	v_mul_f32_e32 v10, v9, v15
	v_fmac_f32_e32 v17, v9, v14
	v_fmac_f32_e32 v8, v8, v10
	;; [unrolled: 1-line block ×3, first 2 shown]
	v_and_b32_e32 v10, 1, v7
	v_mul_f32_e32 v4, v4, v5
	v_fma_f32 v9, v9, v18, 1.0
	v_cmp_eq_u32_e32 vcc, 0, v10
	v_div_scale_f32 v5, s[2:3], v6, v6, v4
	s_nop 0
	v_cndmask_b32_e64 v8, -v8, v9, vcc
	v_rcp_f32_e32 v9, v5
	s_brev_b32 s4, 1
	v_lshlrev_b32_e32 v7, 30, v7
	v_bitop3_b32 v7, v7, v8, s4 bitop3:0x6c
	v_fma_f32 v8, -v5, v9, 1.0
	v_fmac_f32_e32 v9, v8, v9
	v_div_scale_f32 v8, vcc, v4, v6, v4
	v_mul_f32_e32 v10, v8, v9
	v_fma_f32 v11, -v5, v10, v8
	v_fmac_f32_e32 v10, v11, v9
	v_fma_f32 v5, -v5, v10, v8
	v_div_fmas_f32 v5, v5, v9, v10
	v_cndmask_b32_e64 v7, v12, v7, s[0:1]
	v_div_fixup_f32 v4, v5, v6, v4
	v_add_f32_e32 v3, 1.0, v3
	v_mul_f32_e32 v4, v4, v7
	v_fma_f32 v2, v3, v2, -v4
	v_mul_f32_e32 v1, v1, v2
.LBB19_302:
	s_or_b64 exec, exec, s[10:11]
.LBB19_303:
	s_or_b64 exec, exec, s[8:9]
.LBB19_304:
	s_or_b64 exec, exec, s[6:7]
	global_store_dword v0, v1, s[16:17]
	s_or_b64 exec, exec, s[48:49]
                                        ; implicit-def: $vgpr16
                                        ; implicit-def: $vgpr8
	s_andn2_saveexec_b64 s[0:1], s[38:39]
	s_cbranch_execz .LBB19_256
	s_branch .LBB19_9
	.section	.rodata,"a",@progbits
	.p2align	6, 0x0
	.amdhsa_kernel _ZN2at6native32elementwise_kernel_manual_unrollILi128ELi4EZNS0_22gpu_kernel_impl_nocastIZZZNS0_12_GLOBAL__N_119airy_ai_kernel_cudaERNS_18TensorIteratorBaseEENKUlvE_clEvENKUlvE0_clEvEUlfE_EEvS5_RKT_EUlibE_EEviT1_
		.amdhsa_group_segment_fixed_size 0
		.amdhsa_private_segment_fixed_size 0
		.amdhsa_kernarg_size 360
		.amdhsa_user_sgpr_count 2
		.amdhsa_user_sgpr_dispatch_ptr 0
		.amdhsa_user_sgpr_queue_ptr 0
		.amdhsa_user_sgpr_kernarg_segment_ptr 1
		.amdhsa_user_sgpr_dispatch_id 0
		.amdhsa_user_sgpr_kernarg_preload_length 0
		.amdhsa_user_sgpr_kernarg_preload_offset 0
		.amdhsa_user_sgpr_private_segment_size 0
		.amdhsa_uses_dynamic_stack 0
		.amdhsa_enable_private_segment 0
		.amdhsa_system_sgpr_workgroup_id_x 1
		.amdhsa_system_sgpr_workgroup_id_y 0
		.amdhsa_system_sgpr_workgroup_id_z 0
		.amdhsa_system_sgpr_workgroup_info 0
		.amdhsa_system_vgpr_workitem_id 0
		.amdhsa_next_free_vgpr 30
		.amdhsa_next_free_sgpr 60
		.amdhsa_accum_offset 32
		.amdhsa_reserve_vcc 1
		.amdhsa_float_round_mode_32 0
		.amdhsa_float_round_mode_16_64 0
		.amdhsa_float_denorm_mode_32 3
		.amdhsa_float_denorm_mode_16_64 3
		.amdhsa_dx10_clamp 1
		.amdhsa_ieee_mode 1
		.amdhsa_fp16_overflow 0
		.amdhsa_tg_split 0
		.amdhsa_exception_fp_ieee_invalid_op 0
		.amdhsa_exception_fp_denorm_src 0
		.amdhsa_exception_fp_ieee_div_zero 0
		.amdhsa_exception_fp_ieee_overflow 0
		.amdhsa_exception_fp_ieee_underflow 0
		.amdhsa_exception_fp_ieee_inexact 0
		.amdhsa_exception_int_div_zero 0
	.end_amdhsa_kernel
	.section	.text._ZN2at6native32elementwise_kernel_manual_unrollILi128ELi4EZNS0_22gpu_kernel_impl_nocastIZZZNS0_12_GLOBAL__N_119airy_ai_kernel_cudaERNS_18TensorIteratorBaseEENKUlvE_clEvENKUlvE0_clEvEUlfE_EEvS5_RKT_EUlibE_EEviT1_,"axG",@progbits,_ZN2at6native32elementwise_kernel_manual_unrollILi128ELi4EZNS0_22gpu_kernel_impl_nocastIZZZNS0_12_GLOBAL__N_119airy_ai_kernel_cudaERNS_18TensorIteratorBaseEENKUlvE_clEvENKUlvE0_clEvEUlfE_EEvS5_RKT_EUlibE_EEviT1_,comdat
.Lfunc_end19:
	.size	_ZN2at6native32elementwise_kernel_manual_unrollILi128ELi4EZNS0_22gpu_kernel_impl_nocastIZZZNS0_12_GLOBAL__N_119airy_ai_kernel_cudaERNS_18TensorIteratorBaseEENKUlvE_clEvENKUlvE0_clEvEUlfE_EEvS5_RKT_EUlibE_EEviT1_, .Lfunc_end19-_ZN2at6native32elementwise_kernel_manual_unrollILi128ELi4EZNS0_22gpu_kernel_impl_nocastIZZZNS0_12_GLOBAL__N_119airy_ai_kernel_cudaERNS_18TensorIteratorBaseEENKUlvE_clEvENKUlvE0_clEvEUlfE_EEvS5_RKT_EUlibE_EEviT1_
                                        ; -- End function
	.set _ZN2at6native32elementwise_kernel_manual_unrollILi128ELi4EZNS0_22gpu_kernel_impl_nocastIZZZNS0_12_GLOBAL__N_119airy_ai_kernel_cudaERNS_18TensorIteratorBaseEENKUlvE_clEvENKUlvE0_clEvEUlfE_EEvS5_RKT_EUlibE_EEviT1_.num_vgpr, 30
	.set _ZN2at6native32elementwise_kernel_manual_unrollILi128ELi4EZNS0_22gpu_kernel_impl_nocastIZZZNS0_12_GLOBAL__N_119airy_ai_kernel_cudaERNS_18TensorIteratorBaseEENKUlvE_clEvENKUlvE0_clEvEUlfE_EEvS5_RKT_EUlibE_EEviT1_.num_agpr, 0
	.set _ZN2at6native32elementwise_kernel_manual_unrollILi128ELi4EZNS0_22gpu_kernel_impl_nocastIZZZNS0_12_GLOBAL__N_119airy_ai_kernel_cudaERNS_18TensorIteratorBaseEENKUlvE_clEvENKUlvE0_clEvEUlfE_EEvS5_RKT_EUlibE_EEviT1_.numbered_sgpr, 60
	.set _ZN2at6native32elementwise_kernel_manual_unrollILi128ELi4EZNS0_22gpu_kernel_impl_nocastIZZZNS0_12_GLOBAL__N_119airy_ai_kernel_cudaERNS_18TensorIteratorBaseEENKUlvE_clEvENKUlvE0_clEvEUlfE_EEvS5_RKT_EUlibE_EEviT1_.num_named_barrier, 0
	.set _ZN2at6native32elementwise_kernel_manual_unrollILi128ELi4EZNS0_22gpu_kernel_impl_nocastIZZZNS0_12_GLOBAL__N_119airy_ai_kernel_cudaERNS_18TensorIteratorBaseEENKUlvE_clEvENKUlvE0_clEvEUlfE_EEvS5_RKT_EUlibE_EEviT1_.private_seg_size, 0
	.set _ZN2at6native32elementwise_kernel_manual_unrollILi128ELi4EZNS0_22gpu_kernel_impl_nocastIZZZNS0_12_GLOBAL__N_119airy_ai_kernel_cudaERNS_18TensorIteratorBaseEENKUlvE_clEvENKUlvE0_clEvEUlfE_EEvS5_RKT_EUlibE_EEviT1_.uses_vcc, 1
	.set _ZN2at6native32elementwise_kernel_manual_unrollILi128ELi4EZNS0_22gpu_kernel_impl_nocastIZZZNS0_12_GLOBAL__N_119airy_ai_kernel_cudaERNS_18TensorIteratorBaseEENKUlvE_clEvENKUlvE0_clEvEUlfE_EEvS5_RKT_EUlibE_EEviT1_.uses_flat_scratch, 0
	.set _ZN2at6native32elementwise_kernel_manual_unrollILi128ELi4EZNS0_22gpu_kernel_impl_nocastIZZZNS0_12_GLOBAL__N_119airy_ai_kernel_cudaERNS_18TensorIteratorBaseEENKUlvE_clEvENKUlvE0_clEvEUlfE_EEvS5_RKT_EUlibE_EEviT1_.has_dyn_sized_stack, 0
	.set _ZN2at6native32elementwise_kernel_manual_unrollILi128ELi4EZNS0_22gpu_kernel_impl_nocastIZZZNS0_12_GLOBAL__N_119airy_ai_kernel_cudaERNS_18TensorIteratorBaseEENKUlvE_clEvENKUlvE0_clEvEUlfE_EEvS5_RKT_EUlibE_EEviT1_.has_recursion, 0
	.set _ZN2at6native32elementwise_kernel_manual_unrollILi128ELi4EZNS0_22gpu_kernel_impl_nocastIZZZNS0_12_GLOBAL__N_119airy_ai_kernel_cudaERNS_18TensorIteratorBaseEENKUlvE_clEvENKUlvE0_clEvEUlfE_EEvS5_RKT_EUlibE_EEviT1_.has_indirect_call, 0
	.section	.AMDGPU.csdata,"",@progbits
; Kernel info:
; codeLenInByte = 39288
; TotalNumSgprs: 66
; NumVgprs: 30
; NumAgprs: 0
; TotalNumVgprs: 30
; ScratchSize: 0
; MemoryBound: 0
; FloatMode: 240
; IeeeMode: 1
; LDSByteSize: 0 bytes/workgroup (compile time only)
; SGPRBlocks: 8
; VGPRBlocks: 3
; NumSGPRsForWavesPerEU: 66
; NumVGPRsForWavesPerEU: 30
; AccumOffset: 32
; Occupancy: 8
; WaveLimiterHint : 1
; COMPUTE_PGM_RSRC2:SCRATCH_EN: 0
; COMPUTE_PGM_RSRC2:USER_SGPR: 2
; COMPUTE_PGM_RSRC2:TRAP_HANDLER: 0
; COMPUTE_PGM_RSRC2:TGID_X_EN: 1
; COMPUTE_PGM_RSRC2:TGID_Y_EN: 0
; COMPUTE_PGM_RSRC2:TGID_Z_EN: 0
; COMPUTE_PGM_RSRC2:TIDIG_COMP_CNT: 0
; COMPUTE_PGM_RSRC3_GFX90A:ACCUM_OFFSET: 7
; COMPUTE_PGM_RSRC3_GFX90A:TG_SPLIT: 0
	.text
	.p2align	2                               ; -- Begin function _ZN2at6native6invokeIZZZNS0_12_GLOBAL__N_119airy_ai_kernel_cudaERNS_18TensorIteratorBaseEENKUlvE_clEvENKUlvE0_clEvEUlfE_i15function_traitsIS7_EEENT1_11result_typeERKT_PrKPcPKT0_PKN3c1010ScalarTypeEi
	.type	_ZN2at6native6invokeIZZZNS0_12_GLOBAL__N_119airy_ai_kernel_cudaERNS_18TensorIteratorBaseEENKUlvE_clEvENKUlvE0_clEvEUlfE_i15function_traitsIS7_EEENT1_11result_typeERKT_PrKPcPKT0_PKN3c1010ScalarTypeEi,@function
_ZN2at6native6invokeIZZZNS0_12_GLOBAL__N_119airy_ai_kernel_cudaERNS_18TensorIteratorBaseEENKUlvE_clEvENKUlvE0_clEvEUlfE_i15function_traitsIS7_EEENT1_11result_typeERKT_PrKPcPKT0_PKN3c1010ScalarTypeEi: ; @_ZN2at6native6invokeIZZZNS0_12_GLOBAL__N_119airy_ai_kernel_cudaERNS_18TensorIteratorBaseEENKUlvE_clEvENKUlvE0_clEvEUlfE_i15function_traitsIS7_EEENT1_11result_typeERKT_PrKPcPKT0_PKN3c1010ScalarTypeEi
; %bb.0:
	s_waitcnt vmcnt(0) expcnt(0) lgkmcnt(0)
	v_mul_lo_u32 v4, v4, v2
	v_ashrrev_i32_e32 v5, 31, v4
	v_mov_b32_e32 v2, 10
	v_lshl_add_u64 v[0:1], v[0:1], 0, v[4:5]
	v_cmp_gt_i16_sdwa s[0:1], v3, v2 src0_sel:BYTE_0 src1_sel:DWORD
	s_mov_b64 s[2:3], 0
                                        ; implicit-def: $vgpr5
	s_and_saveexec_b64 s[4:5], s[0:1]
	s_xor_b64 s[0:1], exec, s[4:5]
	s_cbranch_execz .LBB20_53
; %bb.1:
	v_mov_b32_e32 v2, 25
	v_cmp_gt_i16_sdwa s[6:7], v3, v2 src0_sel:BYTE_0 src1_sel:DWORD
	s_mov_b64 s[8:9], 0
	s_mov_b64 s[4:5], 0
                                        ; implicit-def: $vgpr5
	s_and_saveexec_b64 s[10:11], s[6:7]
	s_xor_b64 s[6:7], exec, s[10:11]
	s_cbranch_execz .LBB20_96
; %bb.2:
	v_mov_b32_e32 v2, 28
	v_cmp_gt_i16_sdwa s[4:5], v3, v2 src0_sel:BYTE_0 src1_sel:DWORD
	s_mov_b64 s[10:11], 0
                                        ; implicit-def: $vgpr5
	s_and_saveexec_b64 s[12:13], s[4:5]
	s_xor_b64 s[4:5], exec, s[12:13]
	s_cbranch_execz .LBB20_18
; %bb.3:
	v_mov_b32_e32 v2, 43
	v_cmp_gt_i16_sdwa s[8:9], v3, v2 src0_sel:BYTE_0 src1_sel:DWORD
	s_mov_b64 s[12:13], 0
	s_mov_b64 s[14:15], 0
                                        ; implicit-def: $vgpr5
	s_and_saveexec_b64 s[10:11], s[8:9]
	s_xor_b64 s[8:9], exec, s[10:11]
	s_cbranch_execz .LBB20_13
; %bb.4:
	v_mov_b32_e32 v2, 45
	v_cmp_gt_i16_sdwa s[14:15], v3, v2 src0_sel:BYTE_0 src1_sel:DWORD
	s_mov_b64 s[10:11], 0
                                        ; implicit-def: $vgpr5
	s_and_saveexec_b64 s[16:17], s[14:15]
	s_xor_b64 s[14:15], exec, s[16:17]
	s_cbranch_execz .LBB20_8
; %bb.5:
	v_mov_b32_e32 v2, 46
	v_cmp_eq_u16_sdwa s[18:19], v3, v2 src0_sel:BYTE_0 src1_sel:DWORD
	s_mov_b64 s[16:17], -1
                                        ; implicit-def: $vgpr5
	s_and_saveexec_b64 s[12:13], s[18:19]
	s_cbranch_execz .LBB20_7
; %bb.6:
	flat_load_dword v2, v[0:1]
	s_mov_b64 s[10:11], exec
	s_xor_b64 s[16:17], exec, -1
	s_waitcnt vmcnt(0) lgkmcnt(0)
	v_lshlrev_b32_e32 v5, 16, v2
.LBB20_7:
	s_or_b64 exec, exec, s[12:13]
	s_and_b64 s[12:13], s[10:11], exec
	s_and_b64 s[10:11], s[16:17], exec
                                        ; implicit-def: $vgpr3
.LBB20_8:
	s_andn2_saveexec_b64 s[14:15], s[14:15]
	s_cbranch_execz .LBB20_12
; %bb.9:
	v_mov_b32_e32 v2, 44
	v_cmp_eq_u16_sdwa s[22:23], v3, v2 src0_sel:BYTE_0 src1_sel:DWORD
	s_mov_b64 s[20:21], -1
	s_mov_b64 s[18:19], s[12:13]
                                        ; implicit-def: $vgpr5
	s_and_saveexec_b64 s[16:17], s[22:23]
	s_cbranch_execz .LBB20_11
; %bb.10:
	flat_load_ubyte v2, v[0:1]
	s_movk_i32 s20, 0xff
	v_mov_b32_e32 v3, 0x7f800001
	v_mov_b32_e32 v4, 0x400000
	s_or_b64 s[18:19], s[12:13], exec
	s_waitcnt vmcnt(0) lgkmcnt(0)
	v_lshlrev_b32_e32 v5, 23, v2
	v_cmp_ne_u32_e32 vcc, s20, v2
	s_xor_b64 s[20:21], exec, -1
	s_nop 0
	v_cndmask_b32_e32 v3, v3, v5, vcc
	v_cmp_ne_u32_e32 vcc, 0, v2
	s_nop 1
	v_cndmask_b32_e32 v5, v4, v3, vcc
.LBB20_11:
	s_or_b64 exec, exec, s[16:17]
	s_andn2_b64 s[12:13], s[12:13], exec
	s_and_b64 s[16:17], s[18:19], exec
	s_or_b64 s[12:13], s[12:13], s[16:17]
	s_andn2_b64 s[10:11], s[10:11], exec
	s_and_b64 s[16:17], s[20:21], exec
	s_or_b64 s[10:11], s[10:11], s[16:17]
.LBB20_12:
	s_or_b64 exec, exec, s[14:15]
	s_and_b64 s[14:15], s[12:13], exec
	s_and_b64 s[12:13], s[10:11], exec
                                        ; implicit-def: $vgpr3
.LBB20_13:
	s_andn2_saveexec_b64 s[8:9], s[8:9]
	s_cbranch_execz .LBB20_17
; %bb.14:
	v_mov_b32_e32 v2, 29
	v_cmp_eq_u16_sdwa s[20:21], v3, v2 src0_sel:BYTE_0 src1_sel:DWORD
	s_mov_b64 s[16:17], -1
	s_mov_b64 s[18:19], s[14:15]
                                        ; implicit-def: $vgpr5
	s_and_saveexec_b64 s[10:11], s[20:21]
	s_cbranch_execz .LBB20_16
; %bb.15:
	flat_load_dwordx2 v[2:3], v[0:1]
	s_or_b64 s[18:19], s[14:15], exec
	s_xor_b64 s[16:17], exec, -1
	s_waitcnt vmcnt(0) lgkmcnt(0)
	v_ffbh_u32_e32 v4, v3
	v_min_u32_e32 v4, 32, v4
	v_lshlrev_b64 v[2:3], v4, v[2:3]
	v_min_u32_e32 v2, 1, v2
	v_or_b32_e32 v2, v3, v2
	v_cvt_f32_u32_e32 v2, v2
	v_sub_u32_e32 v3, 32, v4
	v_ldexp_f32 v5, v2, v3
.LBB20_16:
	s_or_b64 exec, exec, s[10:11]
	s_andn2_b64 s[10:11], s[14:15], exec
	s_and_b64 s[14:15], s[18:19], exec
	s_or_b64 s[14:15], s[10:11], s[14:15]
	s_andn2_b64 s[10:11], s[12:13], exec
	s_and_b64 s[12:13], s[16:17], exec
	s_or_b64 s[12:13], s[10:11], s[12:13]
.LBB20_17:
	s_or_b64 exec, exec, s[8:9]
	s_and_b64 s[10:11], s[14:15], exec
	s_and_b64 s[8:9], s[12:13], exec
                                        ; implicit-def: $vgpr3
.LBB20_18:
	s_andn2_saveexec_b64 s[4:5], s[4:5]
	s_cbranch_execz .LBB20_34
; %bb.19:
	v_mov_b32_e32 v2, 26
	v_cmp_gt_i16_sdwa s[12:13], v3, v2 src0_sel:BYTE_0 src1_sel:DWORD
                                        ; implicit-def: $vgpr5
	s_and_saveexec_b64 s[14:15], s[12:13]
	s_xor_b64 s[12:13], exec, s[14:15]
	s_cbranch_execz .LBB20_25
; %bb.20:
	v_mov_b32_e32 v2, 27
	v_cmp_gt_i16_sdwa s[14:15], v3, v2 src0_sel:BYTE_0 src1_sel:DWORD
                                        ; implicit-def: $vgpr5
	s_and_saveexec_b64 s[16:17], s[14:15]
	s_xor_b64 s[14:15], exec, s[16:17]
	s_cbranch_execz .LBB20_22
; %bb.21:
	flat_load_dword v2, v[0:1]
	s_waitcnt vmcnt(0) lgkmcnt(0)
	v_cvt_f32_u32_e32 v5, v2
.LBB20_22:
	s_andn2_saveexec_b64 s[14:15], s[14:15]
	s_cbranch_execz .LBB20_24
; %bb.23:
	flat_load_ushort v2, v[0:1]
	s_waitcnt vmcnt(0) lgkmcnt(0)
	v_cvt_f32_u32_e32 v5, v2
.LBB20_24:
	s_or_b64 exec, exec, s[14:15]
.LBB20_25:
	s_andn2_saveexec_b64 s[12:13], s[12:13]
	s_cbranch_execz .LBB20_33
; %bb.26:
	flat_load_ubyte v2, v[0:1]
	s_movk_i32 s14, 0x7f
	s_waitcnt vmcnt(0) lgkmcnt(0)
	v_cmp_lt_i16_e32 vcc, s14, v2
	s_mov_b64 s[14:15], 0
	s_and_saveexec_b64 s[16:17], vcc
	s_xor_b64 s[16:17], exec, s[16:17]
	s_cbranch_execz .LBB20_123
; %bb.27:
	s_movk_i32 s14, 0x80
	v_cmp_eq_u16_e32 vcc, s14, v2
	s_mov_b64 s[14:15], -1
	s_and_saveexec_b64 s[18:19], vcc
; %bb.28:
	s_xor_b64 s[14:15], exec, -1
; %bb.29:
	s_or_b64 exec, exec, s[18:19]
	s_and_b64 s[14:15], s[14:15], exec
	s_or_saveexec_b64 s[16:17], s[16:17]
	v_mov_b32_e32 v5, 0x7f800001
	s_xor_b64 exec, exec, s[16:17]
	s_cbranch_execnz .LBB20_124
.LBB20_30:
	s_or_b64 exec, exec, s[16:17]
	s_and_saveexec_b64 s[16:17], s[14:15]
	s_cbranch_execz .LBB20_32
.LBB20_31:
	v_lshlrev_b32_e32 v3, 24, v2
	v_and_b32_e32 v2, 0xffff, v2
	v_and_b32_e32 v4, 7, v2
	v_ffbh_u32_e32 v6, v4
	v_min_u32_e32 v6, 32, v6
	v_subrev_u32_e32 v7, 28, v6
	v_bfe_u32 v5, v2, 3, 4
	v_lshlrev_b32_e32 v2, v7, v2
	v_sub_u32_e32 v6, 29, v6
	v_and_b32_e32 v2, 7, v2
	v_cmp_eq_u32_e32 vcc, 0, v5
	v_and_b32_e32 v3, 0x80000000, v3
	s_nop 0
	v_cndmask_b32_e32 v5, v5, v6, vcc
	v_cndmask_b32_e32 v2, v4, v2, vcc
	v_mov_b32_e32 v4, 0x3b800000
	v_lshlrev_b32_e32 v2, 20, v2
	v_lshl_add_u32 v4, v5, 23, v4
	v_or3_b32 v5, v3, v4, v2
.LBB20_32:
	s_or_b64 exec, exec, s[16:17]
.LBB20_33:
	s_or_b64 exec, exec, s[12:13]
	s_or_b64 s[10:11], s[10:11], exec
.LBB20_34:
	s_or_b64 exec, exec, s[4:5]
	s_and_b64 s[4:5], s[10:11], exec
	s_and_b64 s[8:9], s[8:9], exec
                                        ; implicit-def: $vgpr3
	s_andn2_saveexec_b64 s[6:7], s[6:7]
	s_cbranch_execnz .LBB20_97
.LBB20_35:
	s_or_b64 exec, exec, s[6:7]
	s_and_saveexec_b64 s[6:7], s[8:9]
	s_cbranch_execnz .LBB20_122
.LBB20_36:
	s_or_b64 exec, exec, s[6:7]
	s_and_saveexec_b64 s[6:7], s[2:3]
	s_xor_b64 s[2:3], exec, s[6:7]
	s_cbranch_execz .LBB20_38
.LBB20_37:
	flat_load_ubyte v0, v[0:1]
	s_or_b64 s[4:5], s[4:5], exec
	s_waitcnt vmcnt(0) lgkmcnt(0)
	v_cmp_ne_u16_e32 vcc, 0, v0
	s_nop 1
	v_cndmask_b32_e64 v5, 0, 1.0, vcc
.LBB20_38:
	s_or_b64 exec, exec, s[2:3]
	s_and_b64 s[2:3], s[4:5], exec
                                        ; implicit-def: $vgpr3
                                        ; implicit-def: $vgpr0_vgpr1
	s_andn2_saveexec_b64 s[0:1], s[0:1]
	s_cbranch_execnz .LBB20_54
.LBB20_39:
	s_or_b64 exec, exec, s[0:1]
                                        ; implicit-def: $vgpr0
	s_and_saveexec_b64 s[6:7], s[2:3]
	s_cbranch_execz .LBB20_95
.LBB20_40:
	s_mov_b32 s0, 0x7f800000
	s_waitcnt vmcnt(0) lgkmcnt(0)
	v_cmp_neq_f32_e64 s[0:1], |v5|, s0
	v_mov_b32_e32 v0, 0x7fc00000
	s_and_saveexec_b64 s[8:9], s[0:1]
	s_cbranch_execz .LBB20_134
; %bb.41:
	s_mov_b32 s0, 0x42cfc8b4
	v_cmp_nlt_f32_e32 vcc, s0, v5
	v_mov_b32_e32 v0, 0
	s_and_saveexec_b64 s[10:11], vcc
	s_cbranch_execz .LBB20_133
; %bb.42:
	s_mov_b32 s0, 0xc005c28f
	v_cmp_ngt_f32_e32 vcc, s0, v5
                                        ; implicit-def: $vgpr0
	s_and_saveexec_b64 s[0:1], vcc
	s_xor_b64 s[2:3], exec, s[0:1]
	s_cbranch_execz .LBB20_50
; %bb.43:
	s_mov_b32 s0, 0x4005c28f
	v_cmp_nle_f32_e64 s[4:5], s0, v5
	v_cmp_le_f32_e32 vcc, s0, v5
	v_mov_b32_e32 v0, 0
	s_mov_b64 s[0:1], s[4:5]
	s_and_saveexec_b64 s[12:13], vcc
	s_cbranch_execz .LBB20_45
; %bb.44:
	s_mov_b32 s14, 0xf800000
	v_mul_f32_e32 v0, 0x4f800000, v5
	v_cmp_gt_f32_e32 vcc, s14, v5
	v_add_f32_e32 v2, v5, v5
	s_mov_b32 s15, 0x40400000
	v_cndmask_b32_e32 v0, v5, v0, vcc
	v_sqrt_f32_e32 v1, v0
	s_nop 0
	v_add_u32_e32 v3, -1, v1
	v_fma_f32 v4, -v3, v1, v0
	v_cmp_ge_f32_e64 s[0:1], 0, v4
	v_add_u32_e32 v4, 1, v1
	s_nop 0
	v_cndmask_b32_e64 v3, v1, v3, s[0:1]
	v_fma_f32 v1, -v4, v1, v0
	v_cmp_lt_f32_e64 s[0:1], 0, v1
	s_nop 1
	v_cndmask_b32_e64 v1, v3, v4, s[0:1]
	v_mul_f32_e32 v3, 0x37800000, v1
	v_mov_b32_e32 v4, 0x260
	v_cndmask_b32_e32 v1, v1, v3, vcc
	v_cmp_class_f32_e32 vcc, v0, v4
	s_nop 1
	v_cndmask_b32_e32 v6, v1, v0, vcc
	v_mul_f32_e32 v0, v2, v6
	v_div_scale_f32 v1, s[0:1], s15, s15, v0
	v_rcp_f32_e32 v2, v1
	s_nop 0
	v_fma_f32 v3, -v1, v2, 1.0
	v_fmac_f32_e32 v2, v3, v2
	v_div_scale_f32 v3, vcc, v0, s15, v0
	v_mul_f32_e32 v7, v3, v2
	v_fma_f32 v8, -v1, v7, v3
	v_fmac_f32_e32 v7, v8, v2
	v_fma_f32 v1, -v1, v7, v3
	v_div_fmas_f32 v1, v1, v2, v7
	v_div_fixup_f32 v7, v1, s15, v0
	v_div_scale_f32 v0, s[0:1], v7, v7, 1.0
	v_rcp_f32_e32 v1, v0
	s_mov_b32 s0, 0x3eb16d71
	s_mov_b32 s1, 0x3f114de0
	v_fma_f32 v2, -v0, v1, 1.0
	v_fmac_f32_e32 v1, v2, v1
	v_div_scale_f32 v2, vcc, 1.0, v7, 1.0
	v_mul_f32_e32 v3, v2, v1
	v_fma_f32 v8, -v0, v3, v2
	v_fmac_f32_e32 v3, v8, v1
	v_fma_f32 v0, -v0, v3, v2
	v_div_fmas_f32 v0, v0, v1, v3
	v_div_fixup_f32 v0, v0, v7, 1.0
	v_mul_f32_e32 v2, 0, v0
	v_pk_add_f32 v[2:3], v[2:3], s[0:1] op_sel_hi:[0,1]
	s_mov_b32 s0, 0x41401f1c
	s_mov_b32 s1, 0x416c19a0
	v_pk_fma_f32 v[2:3], v[0:1], v[2:3], s[0:1] op_sel_hi:[0,1,1]
	s_mov_b32 s0, 0x42988f28
	s_mov_b32 s1, 0x42a9071e
	v_pk_fma_f32 v[2:3], v[0:1], v[2:3], s[0:1] op_sel_hi:[0,1,1]
	;; [unrolled: 3-line block ×6, first 2 shown]
	v_pk_fma_f32 v[0:1], v[0:1], v[2:3], 1.0 op_sel_hi:[0,1,0]
	v_div_scale_f32 v2, s[0:1], v1, v1, v0
	v_rcp_f32_e32 v3, v2
	v_cmp_gt_f32_e64 s[0:1], s14, v6
	v_fma_f32 v8, -v2, v3, 1.0
	v_fmac_f32_e32 v3, v8, v3
	v_div_scale_f32 v8, vcc, v0, v1, v0
	v_mul_f32_e32 v9, v8, v3
	v_fma_f32 v10, -v2, v9, v8
	v_fmac_f32_e32 v9, v10, v3
	v_fma_f32 v2, -v2, v9, v8
	v_mul_f32_e32 v8, 0x4f800000, v6
	v_cndmask_b32_e64 v6, v6, v8, s[0:1]
	v_sqrt_f32_e32 v8, v6
	v_div_fmas_f32 v2, v2, v3, v9
	v_div_fixup_f32 v0, v2, v1, v0
	v_add_u32_e32 v1, -1, v8
	v_fma_f32 v2, -v1, v8, v6
	v_cmp_ge_f32_e32 vcc, 0, v2
	v_add_u32_e32 v2, 1, v8
	v_fma_f32 v3, -v2, v8, v6
	v_cndmask_b32_e32 v1, v8, v1, vcc
	v_cmp_lt_f32_e32 vcc, 0, v3
	s_nop 1
	v_cndmask_b32_e32 v1, v1, v2, vcc
	v_mul_f32_e32 v2, 0x37800000, v1
	v_cndmask_b32_e64 v1, v1, v2, s[0:1]
	s_mov_b32 s0, 0x3fb8aa3b
	v_mul_f32_e32 v2, 0x3fb8aa3b, v7
	v_cmp_class_f32_e32 vcc, v6, v4
	v_fma_f32 v3, v7, s0, -v2
	v_rndne_f32_e32 v4, v2
	v_fmamk_f32 v3, v7, 0x32a5705f, v3
	v_sub_f32_e32 v2, v2, v4
	v_add_f32_e32 v2, v2, v3
	v_exp_f32_e32 v2, v2
	v_cvt_i32_f32_e32 v3, v4
	s_mov_b32 s0, 0x3f106ebb
	v_cndmask_b32_e32 v1, v1, v6, vcc
	s_mov_b32 s1, 2.0
	v_pk_mul_f32 v[0:1], v[0:1], s[0:1]
	s_mov_b32 s0, 0xc2ce8ed0
	v_ldexp_f32 v2, v2, v3
	v_cmp_ngt_f32_e32 vcc, s0, v7
	s_mov_b32 s0, 0x42b17218
	v_mov_b32_e32 v3, 0x7f800000
	v_cndmask_b32_e32 v2, 0, v2, vcc
	v_cmp_nlt_f32_e32 vcc, s0, v7
	s_nop 1
	v_cndmask_b32_e32 v2, v3, v2, vcc
	v_mul_f32_e32 v1, v1, v2
	v_div_scale_f32 v2, s[0:1], v1, v1, v0
	v_rcp_f32_e32 v3, v2
	s_mov_b32 s0, 0x41052018
	v_fma_f32 v4, -v2, v3, 1.0
	v_fmac_f32_e32 v3, v4, v3
	v_div_scale_f32 v4, vcc, v0, v1, v0
	v_mul_f32_e32 v6, v4, v3
	v_fma_f32 v7, -v2, v6, v4
	v_fmac_f32_e32 v6, v7, v3
	v_fma_f32 v2, -v2, v6, v4
	v_div_fmas_f32 v2, v2, v3, v6
	v_cmp_nlt_f32_e32 vcc, s0, v5
	s_andn2_b64 s[0:1], s[4:5], exec
	s_and_b64 s[14:15], vcc, exec
	v_div_fixup_f32 v0, v2, v1, v0
	s_or_b64 s[0:1], s[0:1], s[14:15]
.LBB20_45:
	s_or_b64 exec, exec, s[12:13]
	s_and_saveexec_b64 s[12:13], s[0:1]
	s_cbranch_execz .LBB20_49
; %bb.46:
	v_mul_f32_e32 v1, v5, v5
	v_mul_f32_e32 v2, v5, v1
	v_mov_b32_e32 v3, v2
	s_mov_b64 s[14:15], 0
	v_mov_b32_e32 v1, 1.0
	v_mov_b32_e32 v4, 1.0
	;; [unrolled: 1-line block ×3, first 2 shown]
	s_brev_b32 s16, 44
	v_mov_b32_e32 v7, v5
.LBB20_47:                              ; =>This Inner Loop Header: Depth=1
	v_pk_mul_f32 v[6:7], v[2:3], v[6:7]
	v_add_f32_e32 v8, 1.0, v1
	v_add_f32_e32 v9, 1.0, v8
	v_div_scale_f32 v10, s[0:1], v8, v8, v6
	v_rcp_f32_e32 v12, v10
	v_div_scale_f32 v13, s[0:1], v9, v9, v7
	v_rcp_f32_e32 v15, v13
	v_fma_f32 v16, -v10, v12, 1.0
	v_div_scale_f32 v11, vcc, v6, v8, v6
	v_fmac_f32_e32 v12, v16, v12
	v_fma_f32 v16, -v13, v15, 1.0
	v_div_scale_f32 v14, s[0:1], v7, v9, v7
	v_mul_f32_e32 v17, v11, v12
	v_fmac_f32_e32 v15, v16, v15
	v_fma_f32 v16, -v10, v17, v11
	v_mul_f32_e32 v18, v14, v15
	v_fmac_f32_e32 v17, v16, v12
	v_fma_f32 v16, -v13, v18, v14
	v_fma_f32 v10, -v10, v17, v11
	v_fmac_f32_e32 v18, v16, v15
	v_div_fmas_f32 v10, v10, v12, v17
	v_fma_f32 v11, -v13, v18, v14
	s_mov_b64 vcc, s[0:1]
	v_div_fixup_f32 v6, v10, v8, v6
	v_div_fmas_f32 v8, v11, v15, v18
	v_add_f32_e32 v1, 1.0, v9
	v_div_fixup_f32 v7, v8, v9, v7
	v_div_scale_f32 v8, s[0:1], v9, v9, v6
	v_div_scale_f32 v11, s[18:19], v1, v1, v7
	v_rcp_f32_e32 v13, v8
	v_rcp_f32_e32 v14, v11
	v_div_scale_f32 v10, s[0:1], v6, v9, v6
	v_fma_f32 v15, -v8, v13, 1.0
	v_fma_f32 v16, -v11, v14, 1.0
	v_div_scale_f32 v12, vcc, v7, v1, v7
	v_fmac_f32_e32 v13, v15, v13
	v_fmac_f32_e32 v14, v16, v14
	v_mul_f32_e32 v15, v10, v13
	v_mul_f32_e32 v16, v12, v14
	v_fma_f32 v17, -v8, v15, v10
	v_fma_f32 v18, -v11, v16, v12
	v_fmac_f32_e32 v15, v17, v13
	v_fmac_f32_e32 v16, v18, v14
	v_fma_f32 v8, -v8, v15, v10
	v_fma_f32 v10, -v11, v16, v12
	v_div_fmas_f32 v10, v10, v14, v16
	s_mov_b64 vcc, s[0:1]
	v_div_fmas_f32 v8, v8, v13, v15
	v_div_fixup_f32 v7, v10, v1, v7
	v_div_fixup_f32 v6, v8, v9, v6
	v_pk_add_f32 v[4:5], v[4:5], v[6:7]
	s_nop 0
	v_div_scale_f32 v8, s[0:1], v4, v4, v6
	v_rcp_f32_e32 v9, v8
	v_div_scale_f32 v10, vcc, v6, v4, v6
	v_fma_f32 v11, -v8, v9, 1.0
	v_fmac_f32_e32 v9, v11, v9
	v_mul_f32_e32 v11, v10, v9
	v_fma_f32 v12, -v8, v11, v10
	v_fmac_f32_e32 v11, v12, v9
	v_fma_f32 v8, -v8, v11, v10
	v_div_fmas_f32 v8, v8, v9, v11
	v_div_fixup_f32 v8, v8, v4, v6
	v_cmp_ngt_f32_e64 s[0:1], |v8|, s16
	s_or_b64 s[14:15], s[0:1], s[14:15]
	s_andn2_b64 exec, exec, s[14:15]
	s_cbranch_execnz .LBB20_47
; %bb.48:
	s_or_b64 exec, exec, s[14:15]
	s_mov_b32 s0, 0x3eb5c63d
	s_mov_b32 s1, 0x3e8483fa
	v_pk_mul_f32 v[2:3], v[4:5], s[0:1]
	s_nop 0
	v_sub_f32_e32 v1, v2, v3
	v_cndmask_b32_e64 v0, v0, v1, s[4:5]
.LBB20_49:
	s_or_b64 exec, exec, s[12:13]
                                        ; implicit-def: $vgpr5
.LBB20_50:
	s_andn2_saveexec_b64 s[12:13], s[2:3]
	s_cbranch_execz .LBB20_132
; %bb.51:
	s_mov_b32 s0, 0x8f800000
	v_mul_f32_e32 v0, 0xcf800000, v5
	v_cmp_lt_f32_e32 vcc, s0, v5
	v_mul_f32_e32 v2, -2.0, v5
	s_mov_b32 s2, 0x40400000
	v_cndmask_b32_e64 v0, -v5, v0, vcc
	v_sqrt_f32_e32 v1, v0
	s_nop 0
	v_add_u32_e32 v3, -1, v1
	v_fma_f32 v4, -v3, v1, v0
	v_cmp_ge_f32_e64 s[0:1], 0, v4
	v_add_u32_e32 v4, 1, v1
	s_nop 0
	v_cndmask_b32_e64 v3, v1, v3, s[0:1]
	v_fma_f32 v1, -v4, v1, v0
	v_cmp_lt_f32_e64 s[0:1], 0, v1
	s_nop 1
	v_cndmask_b32_e64 v1, v3, v4, s[0:1]
	v_mul_f32_e32 v3, 0x37800000, v1
	v_cndmask_b32_e32 v1, v1, v3, vcc
	v_mov_b32_e32 v3, 0x260
	v_cmp_class_f32_e32 vcc, v0, v3
	s_nop 1
	v_cndmask_b32_e32 v0, v1, v0, vcc
	v_mul_f32_e32 v1, v2, v0
	v_div_scale_f32 v2, s[0:1], s2, s2, v1
	v_rcp_f32_e32 v3, v2
	s_brev_b32 s0, 18
	v_fma_f32 v4, -v2, v3, 1.0
	v_fmac_f32_e32 v3, v4, v3
	v_div_scale_f32 v4, vcc, v1, s2, v1
	v_mul_f32_e32 v5, v4, v3
	v_fma_f32 v6, -v2, v5, v4
	v_fmac_f32_e32 v5, v6, v3
	v_fma_f32 v2, -v2, v5, v4
	v_div_fmas_f32 v2, v2, v3, v5
	v_div_fixup_f32 v3, v2, s2, v1
	v_add_f32_e32 v1, 0x3f490fdb, v3
	v_and_b32_e32 v2, 0x7fffffff, v1
	v_cmp_nlt_f32_e64 s[14:15], |v1|, s0
	v_lshrrev_b32_e32 v8, 23, v2
                                        ; implicit-def: $vgpr4
                                        ; implicit-def: $vgpr5
	s_and_saveexec_b64 s[0:1], s[14:15]
	s_xor_b64 s[16:17], exec, s[0:1]
	s_cbranch_execz .LBB20_125
; %bb.52:
	v_add_u32_e32 v4, 0xffffff88, v8
	v_not_b32_e32 v5, 63
	v_cmp_lt_u32_e32 vcc, 63, v4
	s_mov_b32 s4, 0xfe5163ab
	v_mov_b32_e32 v7, 0
	v_cndmask_b32_e32 v5, 0, v5, vcc
	v_add_u32_e32 v4, v5, v4
	v_not_b32_e32 v5, 31
	v_cmp_lt_u32_e64 s[0:1], 31, v4
	s_nop 1
	v_cndmask_b32_e64 v6, 0, v5, s[0:1]
	v_add_u32_e32 v4, v6, v4
	v_cmp_lt_u32_e64 s[2:3], 31, v4
	s_nop 1
	v_cndmask_b32_e64 v5, 0, v5, s[2:3]
	v_add_u32_e32 v9, v5, v4
	v_and_b32_e32 v4, 0x7fffff, v2
	v_or_b32_e32 v20, 0x800000, v4
	v_mad_u64_u32 v[4:5], s[4:5], v20, s4, 0
	v_mov_b32_e32 v6, v5
	s_mov_b32 s4, 0x3c439041
	v_mad_u64_u32 v[10:11], s[4:5], v20, s4, v[6:7]
	v_mov_b32_e32 v6, v11
	s_mov_b32 s4, 0xdb629599
	;; [unrolled: 3-line block ×6, first 2 shown]
	v_mad_u64_u32 v[6:7], s[4:5], v20, s4, v[6:7]
	v_cndmask_b32_e32 v5, v18, v14, vcc
	v_cndmask_b32_e32 v6, v6, v16, vcc
	;; [unrolled: 1-line block ×3, first 2 shown]
	v_cndmask_b32_e64 v11, v6, v5, s[0:1]
	v_cndmask_b32_e64 v6, v7, v6, s[0:1]
	v_cndmask_b32_e32 v7, v16, v12, vcc
	v_cndmask_b32_e64 v5, v5, v7, s[0:1]
	v_sub_u32_e32 v13, 32, v9
	v_cmp_eq_u32_e64 s[4:5], 0, v9
	v_cndmask_b32_e32 v9, v14, v10, vcc
	v_cndmask_b32_e64 v6, v6, v11, s[2:3]
	v_cndmask_b32_e64 v11, v11, v5, s[2:3]
	;; [unrolled: 1-line block ×3, first 2 shown]
	v_alignbit_b32 v15, v6, v11, v13
	v_cndmask_b32_e64 v5, v5, v7, s[2:3]
	v_cndmask_b32_e64 v6, v15, v6, s[4:5]
	v_alignbit_b32 v10, v11, v5, v13
	v_cndmask_b32_e32 v4, v12, v4, vcc
	v_cndmask_b32_e64 v10, v10, v11, s[4:5]
	v_bfe_u32 v15, v6, 29, 1
	v_cndmask_b32_e64 v4, v9, v4, s[0:1]
	v_alignbit_b32 v11, v6, v10, 30
	v_sub_u32_e32 v16, 0, v15
	v_cndmask_b32_e64 v4, v7, v4, s[2:3]
	v_xor_b32_e32 v11, v11, v16
	v_alignbit_b32 v7, v5, v4, v13
	v_cndmask_b32_e64 v5, v7, v5, s[4:5]
	v_ffbh_u32_e32 v9, v11
	v_alignbit_b32 v7, v10, v5, 30
	v_min_u32_e32 v9, 32, v9
	v_alignbit_b32 v4, v5, v4, 30
	v_xor_b32_e32 v7, v7, v16
	v_sub_u32_e32 v10, 31, v9
	v_xor_b32_e32 v4, v4, v16
	v_alignbit_b32 v11, v11, v7, v10
	v_alignbit_b32 v4, v7, v4, v10
	;; [unrolled: 1-line block ×3, first 2 shown]
	v_ffbh_u32_e32 v7, v5
	v_min_u32_e32 v7, 32, v7
	v_lshrrev_b32_e32 v14, 29, v6
	v_not_b32_e32 v10, v7
	v_alignbit_b32 v4, v5, v4, v10
	v_lshlrev_b32_e32 v5, 31, v14
	v_or_b32_e32 v10, 0x33000000, v5
	v_add_lshl_u32 v7, v7, v9, 23
	v_lshrrev_b32_e32 v4, 9, v4
	v_sub_u32_e32 v7, v10, v7
	v_or_b32_e32 v5, 0.5, v5
	v_lshlrev_b32_e32 v9, 23, v9
	v_or_b32_e32 v4, v7, v4
	v_lshrrev_b32_e32 v7, 9, v11
	v_sub_u32_e32 v5, v5, v9
	v_or_b32_e32 v5, v7, v5
	s_mov_b32 s0, 0x3fc90fda
	v_mul_f32_e32 v7, 0x3fc90fda, v5
	v_fma_f32 v9, v5, s0, -v7
	v_fmamk_f32 v5, v5, 0x33a22168, v9
	v_fmac_f32_e32 v5, 0x3fc90fda, v4
	v_lshrrev_b32_e32 v4, 30, v6
	v_add_f32_e32 v5, v7, v5
	v_add_u32_e32 v4, v15, v4
	s_andn2_saveexec_b64 s[0:1], s[16:17]
	s_cbranch_execz .LBB20_127
	s_branch .LBB20_126
.LBB20_53:
	s_andn2_saveexec_b64 s[0:1], s[0:1]
	s_cbranch_execz .LBB20_39
.LBB20_54:
	v_mov_b32_e32 v2, 4
	v_cmp_gt_i16_sdwa s[4:5], v3, v2 src0_sel:BYTE_0 src1_sel:DWORD
                                        ; implicit-def: $vgpr5
	s_and_saveexec_b64 s[6:7], s[4:5]
	s_xor_b64 s[4:5], exec, s[6:7]
	s_cbranch_execz .LBB20_76
; %bb.55:
	v_mov_b32_e32 v2, 7
	v_cmp_gt_i16_sdwa s[6:7], v3, v2 src0_sel:BYTE_0 src1_sel:DWORD
                                        ; implicit-def: $vgpr5
	s_and_saveexec_b64 s[8:9], s[6:7]
	s_xor_b64 s[6:7], exec, s[8:9]
	s_cbranch_execz .LBB20_65
; %bb.56:
	;; [unrolled: 7-line block ×4, first 2 shown]
	flat_load_dwordx2 v[0:1], v[0:1]
	s_waitcnt vmcnt(0) lgkmcnt(0)
	v_cvt_f32_f64_e32 v5, v[0:1]
                                        ; implicit-def: $vgpr0_vgpr1
.LBB20_59:
	s_andn2_saveexec_b64 s[10:11], s[10:11]
	s_cbranch_execz .LBB20_61
; %bb.60:
	flat_load_dword v5, v[0:1]
.LBB20_61:
	s_or_b64 exec, exec, s[10:11]
                                        ; implicit-def: $vgpr0_vgpr1
.LBB20_62:
	s_andn2_saveexec_b64 s[8:9], s[8:9]
	s_cbranch_execz .LBB20_64
; %bb.63:
	flat_load_dword v0, v[0:1]
	s_waitcnt vmcnt(0) lgkmcnt(0)
	v_cvt_f32_f16_e32 v5, v0
.LBB20_64:
	s_or_b64 exec, exec, s[8:9]
                                        ; implicit-def: $vgpr0_vgpr1
                                        ; implicit-def: $vgpr3
.LBB20_65:
	s_andn2_saveexec_b64 s[6:7], s[6:7]
	s_cbranch_execz .LBB20_75
; %bb.66:
	v_mov_b32_e32 v2, 5
	v_cmp_gt_i16_sdwa s[8:9], v3, v2 src0_sel:BYTE_0 src1_sel:DWORD
                                        ; implicit-def: $vgpr5
	s_and_saveexec_b64 s[10:11], s[8:9]
	s_xor_b64 s[8:9], exec, s[10:11]
	s_cbranch_execz .LBB20_72
; %bb.67:
	v_mov_b32_e32 v2, 6
	v_cmp_gt_i16_sdwa s[10:11], v3, v2 src0_sel:BYTE_0 src1_sel:DWORD
                                        ; implicit-def: $vgpr5
	s_and_saveexec_b64 s[12:13], s[10:11]
	s_xor_b64 s[10:11], exec, s[12:13]
	s_cbranch_execz .LBB20_69
; %bb.68:
	flat_load_dwordx2 v[0:1], v[0:1]
	s_waitcnt vmcnt(0) lgkmcnt(0)
	v_cvt_f32_f64_e32 v5, v[0:1]
                                        ; implicit-def: $vgpr0_vgpr1
.LBB20_69:
	s_andn2_saveexec_b64 s[10:11], s[10:11]
	s_cbranch_execz .LBB20_71
; %bb.70:
	s_waitcnt vmcnt(0) lgkmcnt(0)
	flat_load_dword v5, v[0:1]
.LBB20_71:
	s_or_b64 exec, exec, s[10:11]
                                        ; implicit-def: $vgpr0_vgpr1
.LBB20_72:
	s_andn2_saveexec_b64 s[8:9], s[8:9]
	s_cbranch_execz .LBB20_74
; %bb.73:
	flat_load_ushort v0, v[0:1]
	s_waitcnt vmcnt(0) lgkmcnt(0)
	v_cvt_f32_f16_e32 v5, v0
.LBB20_74:
	s_or_b64 exec, exec, s[8:9]
.LBB20_75:
	s_or_b64 exec, exec, s[6:7]
                                        ; implicit-def: $vgpr3
                                        ; implicit-def: $vgpr0_vgpr1
.LBB20_76:
	s_andn2_saveexec_b64 s[4:5], s[4:5]
	s_cbranch_execz .LBB20_94
; %bb.77:
	v_mov_b32_e32 v2, 1
	v_cmp_gt_i16_sdwa s[6:7], v3, v2 src0_sel:BYTE_0 src1_sel:DWORD
                                        ; implicit-def: $vgpr5
	s_and_saveexec_b64 s[8:9], s[6:7]
	s_xor_b64 s[6:7], exec, s[8:9]
	s_cbranch_execz .LBB20_87
; %bb.78:
	v_mov_b32_e32 v2, 2
	v_cmp_gt_i16_sdwa s[8:9], v3, v2 src0_sel:BYTE_0 src1_sel:DWORD
                                        ; implicit-def: $vgpr5
	s_and_saveexec_b64 s[10:11], s[8:9]
	s_xor_b64 s[8:9], exec, s[10:11]
	;; [unrolled: 7-line block ×3, first 2 shown]
	s_cbranch_execz .LBB20_81
; %bb.80:
	flat_load_dwordx2 v[0:1], v[0:1]
	s_waitcnt vmcnt(0) lgkmcnt(0)
	v_xor_b32_e32 v3, v0, v1
	v_ffbh_i32_e32 v2, v1
	v_ashrrev_i32_e32 v3, 31, v3
	v_add_u32_e32 v2, -1, v2
	v_add_u32_e32 v3, 32, v3
	v_min_u32_e32 v2, v2, v3
	v_lshlrev_b64 v[0:1], v2, v[0:1]
	v_min_u32_e32 v0, 1, v0
	v_or_b32_e32 v0, v1, v0
	v_cvt_f32_i32_e32 v0, v0
	v_sub_u32_e32 v1, 32, v2
	v_ldexp_f32 v5, v0, v1
                                        ; implicit-def: $vgpr0_vgpr1
.LBB20_81:
	s_andn2_saveexec_b64 s[10:11], s[10:11]
	s_cbranch_execz .LBB20_83
; %bb.82:
	flat_load_dword v0, v[0:1]
	s_waitcnt vmcnt(0) lgkmcnt(0)
	v_cvt_f32_i32_e32 v5, v0
.LBB20_83:
	s_or_b64 exec, exec, s[10:11]
                                        ; implicit-def: $vgpr0_vgpr1
.LBB20_84:
	s_andn2_saveexec_b64 s[8:9], s[8:9]
	s_cbranch_execz .LBB20_86
; %bb.85:
	flat_load_sshort v0, v[0:1]
	s_waitcnt vmcnt(0) lgkmcnt(0)
	v_cvt_f32_i32_e32 v5, v0
.LBB20_86:
	s_or_b64 exec, exec, s[8:9]
                                        ; implicit-def: $vgpr0_vgpr1
                                        ; implicit-def: $vgpr3
.LBB20_87:
	s_andn2_saveexec_b64 s[6:7], s[6:7]
	s_cbranch_execz .LBB20_93
; %bb.88:
	v_mov_b32_e32 v2, 0
	v_cmp_gt_i16_sdwa s[8:9], v3, v2 src0_sel:BYTE_0 src1_sel:DWORD
                                        ; implicit-def: $vgpr5
	s_and_saveexec_b64 s[10:11], s[8:9]
	s_xor_b64 s[8:9], exec, s[10:11]
	s_cbranch_execz .LBB20_90
; %bb.89:
	flat_load_sbyte v0, v[0:1]
	s_waitcnt vmcnt(0) lgkmcnt(0)
	v_cvt_f32_i32_e32 v5, v0
                                        ; implicit-def: $vgpr0_vgpr1
.LBB20_90:
	s_andn2_saveexec_b64 s[8:9], s[8:9]
	s_cbranch_execz .LBB20_92
; %bb.91:
	flat_load_ubyte v0, v[0:1]
	s_waitcnt vmcnt(0) lgkmcnt(0)
	v_cvt_f32_ubyte0_e32 v5, v0
.LBB20_92:
	s_or_b64 exec, exec, s[8:9]
.LBB20_93:
	s_or_b64 exec, exec, s[6:7]
.LBB20_94:
	s_or_b64 exec, exec, s[4:5]
	s_or_b64 s[2:3], s[2:3], exec
	s_or_b64 exec, exec, s[0:1]
                                        ; implicit-def: $vgpr0
	s_and_saveexec_b64 s[6:7], s[2:3]
	s_cbranch_execnz .LBB20_40
.LBB20_95:
	s_or_b64 exec, exec, s[6:7]
	s_waitcnt vmcnt(0) lgkmcnt(0)
	s_setpc_b64 s[30:31]
.LBB20_96:
	s_andn2_saveexec_b64 s[6:7], s[6:7]
	s_cbranch_execz .LBB20_35
.LBB20_97:
	v_mov_b32_e32 v2, 22
	v_cmp_gt_i16_sdwa s[2:3], v3, v2 src0_sel:BYTE_0 src1_sel:DWORD
	s_mov_b64 s[10:11], s[4:5]
                                        ; implicit-def: $vgpr5
	s_and_saveexec_b64 s[12:13], s[2:3]
	s_xor_b64 s[2:3], exec, s[12:13]
	s_cbranch_execz .LBB20_113
; %bb.98:
	v_mov_b32_e32 v2, 23
	v_cmp_gt_i16_sdwa s[10:11], v3, v2 src0_sel:BYTE_0 src1_sel:DWORD
                                        ; implicit-def: $vgpr5
	s_and_saveexec_b64 s[12:13], s[10:11]
	s_xor_b64 s[10:11], exec, s[12:13]
	s_cbranch_execz .LBB20_110
; %bb.99:
	v_mov_b32_e32 v2, 24
	v_cmp_gt_i16_sdwa s[12:13], v3, v2 src0_sel:BYTE_0 src1_sel:DWORD
                                        ; implicit-def: $vgpr5
	s_and_saveexec_b64 s[14:15], s[12:13]
	s_xor_b64 s[12:13], exec, s[14:15]
	s_cbranch_execz .LBB20_107
; %bb.100:
	flat_load_ubyte v2, v[0:1]
	s_movk_i32 s14, 0x7f
	s_waitcnt vmcnt(0) lgkmcnt(0)
	v_cmp_lt_i16_e32 vcc, s14, v2
	s_mov_b64 s[14:15], 0
	s_and_saveexec_b64 s[16:17], vcc
	s_xor_b64 s[16:17], exec, s[16:17]
	s_cbranch_execz .LBB20_135
; %bb.101:
	s_movk_i32 s14, 0x80
	v_cmp_eq_u16_e32 vcc, s14, v2
	s_mov_b64 s[14:15], -1
	s_and_saveexec_b64 s[18:19], vcc
; %bb.102:
	s_xor_b64 s[14:15], exec, -1
; %bb.103:
	s_or_b64 exec, exec, s[18:19]
	s_and_b64 s[14:15], s[14:15], exec
	s_or_saveexec_b64 s[16:17], s[16:17]
	v_mov_b32_e32 v5, 0x7f800001
	s_xor_b64 exec, exec, s[16:17]
	s_cbranch_execnz .LBB20_136
.LBB20_104:
	s_or_b64 exec, exec, s[16:17]
	s_and_saveexec_b64 s[16:17], s[14:15]
	s_cbranch_execz .LBB20_106
.LBB20_105:
	v_lshlrev_b32_e32 v3, 24, v2
	v_and_b32_e32 v2, 0xffff, v2
	v_and_b32_e32 v4, 3, v2
	v_ffbh_u32_e32 v6, v4
	v_min_u32_e32 v6, 32, v6
	v_subrev_u32_e32 v7, 29, v6
	v_bfe_u32 v5, v2, 2, 5
	v_lshlrev_b32_e32 v2, v7, v2
	v_sub_u32_e32 v6, 30, v6
	v_and_b32_e32 v2, 3, v2
	v_cmp_eq_u32_e32 vcc, 0, v5
	v_and_b32_e32 v3, 0x80000000, v3
	s_nop 0
	v_cndmask_b32_e32 v5, v5, v6, vcc
	v_cndmask_b32_e32 v2, v4, v2, vcc
	v_mov_b32_e32 v4, 0x37800000
	v_lshlrev_b32_e32 v2, 21, v2
	v_lshl_add_u32 v4, v5, 23, v4
	v_or3_b32 v5, v3, v4, v2
.LBB20_106:
	s_or_b64 exec, exec, s[16:17]
.LBB20_107:
	s_andn2_saveexec_b64 s[12:13], s[12:13]
	s_cbranch_execz .LBB20_109
; %bb.108:
	flat_load_ubyte v2, v[0:1]
	s_mov_b32 s14, 0x7f800000
	s_waitcnt vmcnt(0) lgkmcnt(0)
	v_lshlrev_b32_e32 v2, 24, v2
	v_and_b32_e32 v3, 0x7f000000, v2
	v_ffbh_u32_e32 v4, v3
	v_min_u32_e32 v4, 32, v4
	v_sub_u32_e64 v4, v4, 4 clamp
	v_lshlrev_b32_e32 v6, v4, v3
	v_lshlrev_b32_e32 v4, 23, v4
	v_lshrrev_b32_e32 v6, 4, v6
	v_add_u32_e32 v5, 0x1000000, v3
	v_sub_u32_e32 v4, v6, v4
	v_ashrrev_i32_e32 v5, 8, v5
	v_add_u32_e32 v4, 0x3c000000, v4
	v_and_or_b32 v4, v5, s14, v4
	v_cmp_ne_u32_e32 vcc, 0, v3
	s_brev_b32 s14, 1
	s_nop 0
	v_cndmask_b32_e32 v3, 0, v4, vcc
	v_and_or_b32 v5, v2, s14, v3
.LBB20_109:
	s_or_b64 exec, exec, s[12:13]
.LBB20_110:
	s_andn2_saveexec_b64 s[10:11], s[10:11]
	s_cbranch_execz .LBB20_112
; %bb.111:
	flat_load_ubyte v2, v[0:1]
	s_movk_i32 s12, 0x7f00
	s_brev_b32 s13, 16
	s_waitcnt vmcnt(0) lgkmcnt(0)
	v_lshlrev_b16_e32 v3, 8, v2
	v_lshlrev_b32_e32 v2, 25, v2
	v_lshrrev_b32_e32 v4, 4, v2
	v_and_or_b32 v5, v3, s12, 0.5
	v_or_b32_e32 v4, 0x70000000, v4
	v_add_f32_e32 v5, -0.5, v5
	v_mul_f32_e32 v4, 0x7800000, v4
	v_cmp_gt_u32_e32 vcc, s13, v2
	v_bfe_i32 v3, v3, 0, 16
	s_brev_b32 s12, 1
	v_cndmask_b32_e32 v2, v4, v5, vcc
	v_and_or_b32 v5, v3, s12, v2
.LBB20_112:
	s_or_b64 exec, exec, s[10:11]
	s_or_b64 s[10:11], s[4:5], exec
                                        ; implicit-def: $vgpr3
.LBB20_113:
	s_or_saveexec_b64 s[2:3], s[2:3]
	s_mov_b64 s[14:15], 0
	s_mov_b64 s[12:13], s[8:9]
	s_xor_b64 exec, exec, s[2:3]
	s_cbranch_execz .LBB20_121
; %bb.114:
	v_mov_b32_e32 v2, 14
	v_cmp_gt_i16_sdwa s[16:17], v3, v2 src0_sel:BYTE_0 src1_sel:DWORD
	s_mov_b64 s[12:13], s[8:9]
	s_mov_b64 s[14:15], s[10:11]
                                        ; implicit-def: $vgpr5
	s_and_saveexec_b64 s[18:19], s[16:17]
	s_xor_b64 s[16:17], exec, s[18:19]
	s_cbranch_execz .LBB20_118
; %bb.115:
	v_mov_b32_e32 v2, 15
	v_cmp_eq_u16_sdwa s[20:21], v3, v2 src0_sel:BYTE_0 src1_sel:DWORD
	s_mov_b64 s[12:13], -1
	s_mov_b64 s[14:15], s[10:11]
                                        ; implicit-def: $vgpr5
	s_and_saveexec_b64 s[18:19], s[20:21]
	s_cbranch_execz .LBB20_117
; %bb.116:
	flat_load_ushort v2, v[0:1]
	s_or_b64 s[14:15], s[10:11], exec
	s_xor_b64 s[12:13], exec, -1
	s_waitcnt vmcnt(0) lgkmcnt(0)
	v_lshlrev_b32_e32 v5, 16, v2
.LBB20_117:
	s_or_b64 exec, exec, s[18:19]
	s_andn2_b64 s[18:19], s[10:11], exec
	s_and_b64 s[14:15], s[14:15], exec
	s_or_b64 s[14:15], s[18:19], s[14:15]
	s_andn2_b64 s[18:19], s[8:9], exec
	s_and_b64 s[12:13], s[12:13], exec
	s_or_b64 s[12:13], s[18:19], s[12:13]
                                        ; implicit-def: $vgpr3
.LBB20_118:
	s_or_saveexec_b64 s[16:17], s[16:17]
	s_mov_b64 s[18:19], 0
	s_xor_b64 exec, exec, s[16:17]
; %bb.119:
	v_mov_b32_e32 v2, 11
	v_cmp_ne_u16_sdwa s[20:21], v3, v2 src0_sel:BYTE_0 src1_sel:DWORD
	s_andn2_b64 s[12:13], s[12:13], exec
	s_and_b64 s[20:21], s[20:21], exec
	s_mov_b64 s[18:19], exec
	s_or_b64 s[12:13], s[12:13], s[20:21]
; %bb.120:
	s_or_b64 exec, exec, s[16:17]
	s_andn2_b64 s[10:11], s[10:11], exec
	s_and_b64 s[14:15], s[14:15], exec
	s_andn2_b64 s[16:17], s[8:9], exec
	s_and_b64 s[12:13], s[12:13], exec
	s_or_b64 s[10:11], s[10:11], s[14:15]
	s_and_b64 s[14:15], s[18:19], exec
	s_or_b64 s[12:13], s[16:17], s[12:13]
.LBB20_121:
	s_or_b64 exec, exec, s[2:3]
	s_andn2_b64 s[2:3], s[4:5], exec
	s_and_b64 s[4:5], s[10:11], exec
	s_andn2_b64 s[8:9], s[8:9], exec
	s_and_b64 s[10:11], s[12:13], exec
	s_or_b64 s[4:5], s[2:3], s[4:5]
	s_and_b64 s[2:3], s[14:15], exec
	s_or_b64 s[8:9], s[8:9], s[10:11]
	s_or_b64 exec, exec, s[6:7]
	s_and_saveexec_b64 s[6:7], s[8:9]
	s_cbranch_execz .LBB20_36
.LBB20_122:
	s_trap 2
	; divergent unreachable
	s_andn2_b64 s[2:3], s[2:3], exec
	s_or_b64 exec, exec, s[6:7]
	s_and_saveexec_b64 s[6:7], s[2:3]
	s_xor_b64 s[2:3], exec, s[6:7]
	s_cbranch_execnz .LBB20_37
	s_branch .LBB20_38
.LBB20_123:
	s_or_saveexec_b64 s[16:17], s[16:17]
	v_mov_b32_e32 v5, 0x7f800001
	s_xor_b64 exec, exec, s[16:17]
	s_cbranch_execz .LBB20_30
.LBB20_124:
	v_cmp_ne_u16_e32 vcc, 0, v2
	s_andn2_b64 s[14:15], s[14:15], exec
	s_and_b64 s[18:19], vcc, exec
	v_mov_b32_e32 v5, 0
	s_or_b64 s[14:15], s[14:15], s[18:19]
	s_or_b64 exec, exec, s[16:17]
	s_and_saveexec_b64 s[16:17], s[14:15]
	s_cbranch_execnz .LBB20_31
	s_branch .LBB20_32
.LBB20_125:
	s_andn2_saveexec_b64 s[0:1], s[16:17]
	s_cbranch_execz .LBB20_127
.LBB20_126:
	s_mov_b32 s2, 0x3f22f983
	v_mul_f32_e64 v4, |v1|, s2
	v_rndne_f32_e32 v5, v4
	s_mov_b32 s2, 0xbfc90fda
	v_cvt_i32_f32_e32 v4, v5
	v_fma_f32 v6, v5, s2, |v1|
	v_fmamk_f32 v6, v5, 0xb3a22168, v6
	v_fmamk_f32 v5, v5, 0xa7c234c4, v6
.LBB20_127:
	s_or_b64 exec, exec, s[0:1]
                                        ; implicit-def: $vgpr6
                                        ; implicit-def: $vgpr7
	s_and_saveexec_b64 s[0:1], s[14:15]
	s_xor_b64 s[14:15], exec, s[0:1]
	s_cbranch_execz .LBB20_129
; %bb.128:
	v_add_u32_e32 v6, 0xffffff88, v8
	v_not_b32_e32 v7, 63
	v_cmp_lt_u32_e32 vcc, 63, v6
	s_mov_b32 s4, 0xfe5163ab
	v_mov_b32_e32 v9, 0
	v_cndmask_b32_e32 v7, 0, v7, vcc
	v_add_u32_e32 v6, v7, v6
	v_not_b32_e32 v7, 31
	v_cmp_lt_u32_e64 s[0:1], 31, v6
	s_nop 1
	v_cndmask_b32_e64 v8, 0, v7, s[0:1]
	v_add_u32_e32 v6, v8, v6
	v_cmp_lt_u32_e64 s[2:3], 31, v6
	s_nop 1
	v_cndmask_b32_e64 v7, 0, v7, s[2:3]
	v_add_u32_e32 v20, v7, v6
	v_and_b32_e32 v6, 0x7fffff, v2
	v_or_b32_e32 v21, 0x800000, v6
	v_mad_u64_u32 v[6:7], s[4:5], v21, s4, 0
	v_mov_b32_e32 v8, v7
	s_mov_b32 s4, 0x3c439041
	v_mad_u64_u32 v[10:11], s[4:5], v21, s4, v[8:9]
	v_mov_b32_e32 v8, v11
	s_mov_b32 s4, 0xdb629599
	;; [unrolled: 3-line block ×6, first 2 shown]
	v_mad_u64_u32 v[8:9], s[4:5], v21, s4, v[8:9]
	v_cndmask_b32_e32 v7, v18, v14, vcc
	v_cndmask_b32_e32 v8, v8, v16, vcc
	;; [unrolled: 1-line block ×3, first 2 shown]
	v_cndmask_b32_e64 v11, v8, v7, s[0:1]
	v_cndmask_b32_e64 v8, v9, v8, s[0:1]
	v_cndmask_b32_e32 v9, v16, v12, vcc
	v_cndmask_b32_e64 v7, v7, v9, s[0:1]
	v_cndmask_b32_e32 v10, v14, v10, vcc
	v_cndmask_b32_e64 v8, v8, v11, s[2:3]
	v_cndmask_b32_e64 v11, v11, v7, s[2:3]
	v_sub_u32_e32 v13, 32, v20
	v_cndmask_b32_e64 v9, v9, v10, s[0:1]
	v_alignbit_b32 v15, v8, v11, v13
	v_cmp_eq_u32_e64 s[4:5], 0, v20
	v_cndmask_b32_e64 v7, v7, v9, s[2:3]
	v_alignbit_b32 v14, v11, v7, v13
	v_cndmask_b32_e64 v8, v15, v8, s[4:5]
	v_cndmask_b32_e32 v6, v12, v6, vcc
	v_cndmask_b32_e64 v11, v14, v11, s[4:5]
	v_bfe_u32 v16, v8, 29, 1
	v_cndmask_b32_e64 v6, v10, v6, s[0:1]
	v_alignbit_b32 v14, v8, v11, 30
	v_sub_u32_e32 v17, 0, v16
	v_cndmask_b32_e64 v6, v9, v6, s[2:3]
	v_xor_b32_e32 v14, v14, v17
	v_alignbit_b32 v9, v7, v6, v13
	v_cndmask_b32_e64 v7, v9, v7, s[4:5]
	v_ffbh_u32_e32 v10, v14
	v_alignbit_b32 v9, v11, v7, 30
	v_min_u32_e32 v10, 32, v10
	v_alignbit_b32 v6, v7, v6, 30
	v_xor_b32_e32 v9, v9, v17
	v_sub_u32_e32 v11, 31, v10
	v_xor_b32_e32 v6, v6, v17
	v_alignbit_b32 v12, v14, v9, v11
	v_alignbit_b32 v6, v9, v6, v11
	;; [unrolled: 1-line block ×3, first 2 shown]
	v_ffbh_u32_e32 v9, v7
	v_min_u32_e32 v9, 32, v9
	v_lshrrev_b32_e32 v15, 29, v8
	v_not_b32_e32 v11, v9
	v_alignbit_b32 v6, v7, v6, v11
	v_lshlrev_b32_e32 v7, 31, v15
	v_or_b32_e32 v11, 0x33000000, v7
	v_add_lshl_u32 v9, v9, v10, 23
	v_lshrrev_b32_e32 v6, 9, v6
	v_sub_u32_e32 v9, v11, v9
	v_or_b32_e32 v7, 0.5, v7
	v_lshlrev_b32_e32 v10, 23, v10
	v_or_b32_e32 v6, v9, v6
	v_lshrrev_b32_e32 v9, 9, v12
	v_sub_u32_e32 v7, v7, v10
	v_or_b32_e32 v7, v9, v7
	s_mov_b32 s0, 0x3fc90fda
	v_mul_f32_e32 v9, 0x3fc90fda, v7
	v_fma_f32 v10, v7, s0, -v9
	v_fmamk_f32 v7, v7, 0x33a22168, v10
	v_fmac_f32_e32 v7, 0x3fc90fda, v6
	v_lshrrev_b32_e32 v6, 30, v8
	v_add_f32_e32 v7, v9, v7
	v_add_u32_e32 v6, v16, v6
	s_andn2_saveexec_b64 s[0:1], s[14:15]
	s_cbranch_execnz .LBB20_130
	s_branch .LBB20_131
.LBB20_129:
	s_andn2_saveexec_b64 s[0:1], s[14:15]
	s_cbranch_execz .LBB20_131
.LBB20_130:
	s_mov_b32 s2, 0x3f22f983
	v_mul_f32_e64 v6, |v1|, s2
	v_rndne_f32_e32 v7, v6
	s_mov_b32 s2, 0xbfc90fda
	v_cvt_i32_f32_e32 v6, v7
	v_fma_f32 v8, v7, s2, |v1|
	v_fmamk_f32 v8, v7, 0xb3a22168, v8
	v_fmamk_f32 v7, v7, 0xa7c234c4, v8
.LBB20_131:
	s_or_b64 exec, exec, s[0:1]
	v_div_scale_f32 v8, s[0:1], v3, v3, 1.0
	v_rcp_f32_e32 v9, v8
	v_div_scale_f32 v10, vcc, 1.0, v3, 1.0
	v_xor_b32_e32 v2, v2, v1
	v_fma_f32 v11, -v8, v9, 1.0
	v_fmac_f32_e32 v9, v11, v9
	v_mul_f32_e32 v11, v10, v9
	v_fma_f32 v12, -v8, v11, v10
	v_fmac_f32_e32 v11, v12, v9
	v_fma_f32 v8, -v8, v11, v10
	v_div_fmas_f32 v8, v8, v9, v11
	v_div_fixup_f32 v3, v8, v3, 1.0
	v_mul_f32_e32 v8, v3, v3
	v_mov_b32_e32 v9, 0xbe06db67
	v_mul_f32_e32 v11, v5, v5
	v_mov_b32_e32 v12, 0x3c0881c4
	v_fmac_f32_e32 v9, 0, v8
	v_mov_b32_e32 v10, 0x4155b259
	v_fmamk_f32 v13, v11, 0xb94c1982, v12
	v_fmaak_f32 v9, v8, v9, 0xbf205f75
	v_fmac_f32_e32 v10, 0, v8
	v_fmaak_f32 v13, v11, v13, 0xbe2aaa9d
	v_fmaak_f32 v9, v8, v9, 0xbf3172ce
	;; [unrolled: 1-line block ×3, first 2 shown]
	v_mul_f32_e32 v13, v11, v13
	v_fmaak_f32 v9, v8, v9, 0xbe8f3f52
	v_fmaak_f32 v10, v8, v10, 0x41d5e4c5
	v_fmac_f32_e32 v5, v5, v13
	v_mov_b32_e32 v13, 0xbab64f3b
	v_fmaak_f32 v9, v8, v9, 0xbd497b78
	v_fmaak_f32 v10, v8, v10, 0x4112fe41
	v_fmamk_f32 v15, v11, 0x37d75334, v13
	v_fmaak_f32 v9, v8, v9, 0xbb85200e
	v_fmaak_f32 v10, v8, v10, 0x3fbcd65a
	v_fmaak_f32 v15, v11, v15, 0x3d2aabf7
	v_fmaak_f32 v9, v8, v9, 0xb9270375
	v_fmaak_f32 v10, v8, v10, 0x3deced66
	v_fmaak_f32 v15, v11, v15, 0xbf000004
	v_fmaak_f32 v9, v8, v9, 0xb63a53c1
	v_fmaak_f32 v10, v8, v10, 0x3b904657
	v_fma_f32 v11, v11, v15, 1.0
	v_and_b32_e32 v15, 1, v4
	v_lshlrev_b32_e32 v4, 30, v4
	v_fmaak_f32 v10, v8, v10, 0x389e46bd
	v_fmaak_f32 v9, v8, v9, 0xb29020e8
	v_cmp_eq_u32_e32 vcc, 0, v15
	v_and_b32_e32 v4, 0x80000000, v4
	v_fmaak_f32 v10, v8, v10, 0x34f295ce
	v_cndmask_b32_e32 v5, v11, v5, vcc
	v_xor_b32_e32 v2, v2, v4
	v_mul_f32_e32 v4, v8, v9
	v_xor_b32_e32 v2, v2, v5
	v_div_scale_f32 v5, s[0:1], v10, v10, v4
	v_rcp_f32_e32 v9, v5
	s_movk_i32 s2, 0x1f8
	v_mov_b32_e32 v11, 0x7fc00000
	v_cmp_class_f32_e64 s[0:1], v1, s2
	s_mov_b32 s2, 0xf800000
	s_mov_b32 s5, 0x3f106ebb
	v_cndmask_b32_e64 v1, v11, v2, s[0:1]
	v_fma_f32 v2, -v5, v9, 1.0
	v_fmac_f32_e32 v9, v2, v9
	v_div_scale_f32 v2, vcc, v4, v10, v4
	v_mul_f32_e32 v15, v2, v9
	v_fma_f32 v18, -v5, v15, v2
	v_fmac_f32_e32 v15, v18, v9
	v_fma_f32 v2, -v5, v15, v2
	v_div_fmas_f32 v2, v2, v9, v15
	v_mul_f32_e32 v9, 0x4f800000, v0
	v_cmp_gt_f32_e32 vcc, s2, v0
	v_div_fixup_f32 v2, v2, v10, v4
	v_mov_b32_e32 v4, 0x3ca1a92f
	v_cndmask_b32_e32 v0, v0, v9, vcc
	v_sqrt_f32_e32 v9, v0
	v_fmac_f32_e32 v4, 0, v8
	v_mov_b32_e32 v5, 0x4114f160
	v_fmaak_f32 v4, v8, v4, 0x3ec83ea8
	v_add_u32_e32 v10, -1, v9
	v_fma_f32 v15, -v10, v9, v0
	v_cmp_ge_f32_e64 s[2:3], 0, v15
	v_add_u32_e32 v15, 1, v9
	v_fmac_f32_e32 v5, 0, v8
	v_cndmask_b32_e64 v10, v9, v10, s[2:3]
	v_fma_f32 v9, -v15, v9, v0
	v_cmp_lt_f32_e64 s[2:3], 0, v9
	v_fmaak_f32 v4, v8, v4, 0x3f886c1a
	v_fmaak_f32 v5, v8, v5, 0x419eaeae
	v_cndmask_b32_e64 v9, v10, v15, s[2:3]
	v_mul_f32_e32 v10, 0x37800000, v9
	v_cndmask_b32_e32 v9, v9, v10, vcc
	v_mov_b32_e32 v10, 0x260
	v_fmaak_f32 v4, v8, v4, 0x3f706d65
	v_fmaak_f32 v5, v8, v5, 0x417908dc
	v_cmp_class_f32_e32 vcc, v0, v10
	v_fmaak_f32 v4, v8, v4, 0x3eb3f34e
	v_fmaak_f32 v5, v8, v5, 0x40af4271
	v_cndmask_b32_e32 v0, v9, v0, vcc
	v_fmaak_f32 v4, v8, v4, 0x3d81d209
	v_fmaak_f32 v5, v8, v5, 0x3f744c96
	v_div_scale_f32 v9, s[2:3], v0, v0, s5
	v_fmaak_f32 v4, v8, v4, 0x3bbff4d0
	v_fmaak_f32 v5, v8, v5, 0x3db110ef
	v_rcp_f32_e32 v10, v9
	v_fmaak_f32 v4, v8, v4, 0x39944bb3
	v_fmaak_f32 v5, v8, v5, 0x3b873823
	;; [unrolled: 1-line block ×8, first 2 shown]
	v_fma_f32 v8, -v9, v10, 1.0
	v_fmac_f32_e32 v10, v8, v10
	v_div_scale_f32 v8, vcc, s5, v0, s5
	v_mul_f32_e32 v15, v8, v10
	v_fma_f32 v18, -v9, v15, v8
	v_fmac_f32_e32 v15, v18, v10
	v_fma_f32 v8, -v9, v15, v8
	v_div_fmas_f32 v8, v8, v10, v15
	v_div_fixup_f32 v0, v8, v0, s5
	v_mul_f32_e32 v8, v7, v7
	v_mov_b32_e32 v14, 0xbe2aaa9d
	v_fmac_f32_e32 v12, 0xb94c1982, v8
	v_mov_b32_e32 v16, 0x3d2aabf7
	v_fmac_f32_e32 v14, v8, v12
	v_fmac_f32_e32 v13, 0x37d75334, v8
	v_mov_b32_e32 v17, 0xbf000004
	v_mul_f32_e32 v9, v8, v14
	v_fmac_f32_e32 v16, v8, v13
	v_fmac_f32_e32 v7, v7, v9
	;; [unrolled: 1-line block ×3, first 2 shown]
	v_and_b32_e32 v9, 1, v6
	v_mul_f32_e32 v3, v3, v4
	v_fma_f32 v8, v8, v17, 1.0
	v_cmp_eq_u32_e32 vcc, 0, v9
	v_div_scale_f32 v4, s[2:3], v5, v5, v3
	s_nop 0
	v_cndmask_b32_e64 v7, -v7, v8, vcc
	v_rcp_f32_e32 v8, v4
	s_brev_b32 s4, 1
	v_lshlrev_b32_e32 v6, 30, v6
	v_bitop3_b32 v6, v6, v7, s4 bitop3:0x6c
	v_fma_f32 v7, -v4, v8, 1.0
	v_fmac_f32_e32 v8, v7, v8
	v_div_scale_f32 v7, vcc, v3, v5, v3
	v_mul_f32_e32 v9, v7, v8
	v_fma_f32 v10, -v4, v9, v7
	v_fmac_f32_e32 v9, v10, v8
	v_fma_f32 v4, -v4, v9, v7
	v_div_fmas_f32 v4, v4, v8, v9
	v_cndmask_b32_e64 v6, v11, v6, s[0:1]
	v_div_fixup_f32 v3, v4, v5, v3
	v_add_f32_e32 v2, 1.0, v2
	v_mul_f32_e32 v3, v3, v6
	v_fma_f32 v1, v2, v1, -v3
	v_mul_f32_e32 v0, v0, v1
.LBB20_132:
	s_or_b64 exec, exec, s[12:13]
.LBB20_133:
	s_or_b64 exec, exec, s[10:11]
.LBB20_134:
	s_or_b64 exec, exec, s[8:9]
	s_or_b64 exec, exec, s[6:7]
	s_setpc_b64 s[30:31]
.LBB20_135:
	s_or_saveexec_b64 s[16:17], s[16:17]
	v_mov_b32_e32 v5, 0x7f800001
	s_xor_b64 exec, exec, s[16:17]
	s_cbranch_execz .LBB20_104
.LBB20_136:
	v_cmp_ne_u16_e32 vcc, 0, v2
	s_andn2_b64 s[14:15], s[14:15], exec
	s_and_b64 s[18:19], vcc, exec
	v_mov_b32_e32 v5, 0
	s_or_b64 s[14:15], s[14:15], s[18:19]
	s_or_b64 exec, exec, s[16:17]
	s_and_saveexec_b64 s[16:17], s[14:15]
	s_cbranch_execnz .LBB20_105
	s_branch .LBB20_106
.Lfunc_end20:
	.size	_ZN2at6native6invokeIZZZNS0_12_GLOBAL__N_119airy_ai_kernel_cudaERNS_18TensorIteratorBaseEENKUlvE_clEvENKUlvE0_clEvEUlfE_i15function_traitsIS7_EEENT1_11result_typeERKT_PrKPcPKT0_PKN3c1010ScalarTypeEi, .Lfunc_end20-_ZN2at6native6invokeIZZZNS0_12_GLOBAL__N_119airy_ai_kernel_cudaERNS_18TensorIteratorBaseEENKUlvE_clEvENKUlvE0_clEvEUlfE_i15function_traitsIS7_EEENT1_11result_typeERKT_PrKPcPKT0_PKN3c1010ScalarTypeEi
                                        ; -- End function
	.set .L_ZN2at6native6invokeIZZZNS0_12_GLOBAL__N_119airy_ai_kernel_cudaERNS_18TensorIteratorBaseEENKUlvE_clEvENKUlvE0_clEvEUlfE_i15function_traitsIS7_EEENT1_11result_typeERKT_PrKPcPKT0_PKN3c1010ScalarTypeEi.num_vgpr, 22
	.set .L_ZN2at6native6invokeIZZZNS0_12_GLOBAL__N_119airy_ai_kernel_cudaERNS_18TensorIteratorBaseEENKUlvE_clEvENKUlvE0_clEvEUlfE_i15function_traitsIS7_EEENT1_11result_typeERKT_PrKPcPKT0_PKN3c1010ScalarTypeEi.num_agpr, 0
	.set .L_ZN2at6native6invokeIZZZNS0_12_GLOBAL__N_119airy_ai_kernel_cudaERNS_18TensorIteratorBaseEENKUlvE_clEvENKUlvE0_clEvEUlfE_i15function_traitsIS7_EEENT1_11result_typeERKT_PrKPcPKT0_PKN3c1010ScalarTypeEi.numbered_sgpr, 32
	.set .L_ZN2at6native6invokeIZZZNS0_12_GLOBAL__N_119airy_ai_kernel_cudaERNS_18TensorIteratorBaseEENKUlvE_clEvENKUlvE0_clEvEUlfE_i15function_traitsIS7_EEENT1_11result_typeERKT_PrKPcPKT0_PKN3c1010ScalarTypeEi.num_named_barrier, 0
	.set .L_ZN2at6native6invokeIZZZNS0_12_GLOBAL__N_119airy_ai_kernel_cudaERNS_18TensorIteratorBaseEENKUlvE_clEvENKUlvE0_clEvEUlfE_i15function_traitsIS7_EEENT1_11result_typeERKT_PrKPcPKT0_PKN3c1010ScalarTypeEi.private_seg_size, 0
	.set .L_ZN2at6native6invokeIZZZNS0_12_GLOBAL__N_119airy_ai_kernel_cudaERNS_18TensorIteratorBaseEENKUlvE_clEvENKUlvE0_clEvEUlfE_i15function_traitsIS7_EEENT1_11result_typeERKT_PrKPcPKT0_PKN3c1010ScalarTypeEi.uses_vcc, 1
	.set .L_ZN2at6native6invokeIZZZNS0_12_GLOBAL__N_119airy_ai_kernel_cudaERNS_18TensorIteratorBaseEENKUlvE_clEvENKUlvE0_clEvEUlfE_i15function_traitsIS7_EEENT1_11result_typeERKT_PrKPcPKT0_PKN3c1010ScalarTypeEi.uses_flat_scratch, 0
	.set .L_ZN2at6native6invokeIZZZNS0_12_GLOBAL__N_119airy_ai_kernel_cudaERNS_18TensorIteratorBaseEENKUlvE_clEvENKUlvE0_clEvEUlfE_i15function_traitsIS7_EEENT1_11result_typeERKT_PrKPcPKT0_PKN3c1010ScalarTypeEi.has_dyn_sized_stack, 0
	.set .L_ZN2at6native6invokeIZZZNS0_12_GLOBAL__N_119airy_ai_kernel_cudaERNS_18TensorIteratorBaseEENKUlvE_clEvENKUlvE0_clEvEUlfE_i15function_traitsIS7_EEENT1_11result_typeERKT_PrKPcPKT0_PKN3c1010ScalarTypeEi.has_recursion, 0
	.set .L_ZN2at6native6invokeIZZZNS0_12_GLOBAL__N_119airy_ai_kernel_cudaERNS_18TensorIteratorBaseEENKUlvE_clEvENKUlvE0_clEvEUlfE_i15function_traitsIS7_EEENT1_11result_typeERKT_PrKPcPKT0_PKN3c1010ScalarTypeEi.has_indirect_call, 0
	.section	.AMDGPU.csdata,"",@progbits
; Function info:
; codeLenInByte = 6640
; TotalNumSgprs: 38
; NumVgprs: 22
; NumAgprs: 0
; TotalNumVgprs: 22
; ScratchSize: 0
; MemoryBound: 1
	.section	.text._ZN2at6native32elementwise_kernel_manual_unrollILi128ELi4EZNS0_15gpu_kernel_implIZZZNS0_12_GLOBAL__N_119airy_ai_kernel_cudaERNS_18TensorIteratorBaseEENKUlvE_clEvENKUlvE0_clEvEUlfE_EEvS5_RKT_EUlibE_EEviT1_,"axG",@progbits,_ZN2at6native32elementwise_kernel_manual_unrollILi128ELi4EZNS0_15gpu_kernel_implIZZZNS0_12_GLOBAL__N_119airy_ai_kernel_cudaERNS_18TensorIteratorBaseEENKUlvE_clEvENKUlvE0_clEvEUlfE_EEvS5_RKT_EUlibE_EEviT1_,comdat
	.globl	_ZN2at6native32elementwise_kernel_manual_unrollILi128ELi4EZNS0_15gpu_kernel_implIZZZNS0_12_GLOBAL__N_119airy_ai_kernel_cudaERNS_18TensorIteratorBaseEENKUlvE_clEvENKUlvE0_clEvEUlfE_EEvS5_RKT_EUlibE_EEviT1_ ; -- Begin function _ZN2at6native32elementwise_kernel_manual_unrollILi128ELi4EZNS0_15gpu_kernel_implIZZZNS0_12_GLOBAL__N_119airy_ai_kernel_cudaERNS_18TensorIteratorBaseEENKUlvE_clEvENKUlvE0_clEvEUlfE_EEvS5_RKT_EUlibE_EEviT1_
	.p2align	8
	.type	_ZN2at6native32elementwise_kernel_manual_unrollILi128ELi4EZNS0_15gpu_kernel_implIZZZNS0_12_GLOBAL__N_119airy_ai_kernel_cudaERNS_18TensorIteratorBaseEENKUlvE_clEvENKUlvE0_clEvEUlfE_EEvS5_RKT_EUlibE_EEviT1_,@function
_ZN2at6native32elementwise_kernel_manual_unrollILi128ELi4EZNS0_15gpu_kernel_implIZZZNS0_12_GLOBAL__N_119airy_ai_kernel_cudaERNS_18TensorIteratorBaseEENKUlvE_clEvENKUlvE0_clEvEUlfE_EEvS5_RKT_EUlibE_EEviT1_: ; @_ZN2at6native32elementwise_kernel_manual_unrollILi128ELi4EZNS0_15gpu_kernel_implIZZZNS0_12_GLOBAL__N_119airy_ai_kernel_cudaERNS_18TensorIteratorBaseEENKUlvE_clEvENKUlvE0_clEvEUlfE_EEvS5_RKT_EUlibE_EEviT1_
; %bb.0:
	v_mov_b32_e32 v1, 0
	global_load_ushort v1, v1, s[0:1] offset:33
	s_load_dword s50, s[0:1], 0x0
	s_load_dwordx2 s[28:29], s[0:1], 0x18
	s_load_dwordx4 s[24:27], s[0:1], 0x8
	v_lshl_or_b32 v23, s2, 9, v0
	v_mov_b32_e32 v2, 8
	v_or_b32_e32 v27, 0x180, v23
	s_mov_b64 s[34:35], 0
	s_waitcnt lgkmcnt(0)
	v_cmp_le_i32_e32 vcc, s50, v27
	s_mov_b64 s[38:39], 0
	s_mov_b32 s32, 0
	s_waitcnt vmcnt(0)
	v_readfirstlane_b32 s33, v1
	v_lshrrev_b32_sdwa v25, v2, v1 dst_sel:DWORD dst_unused:UNUSED_PAD src0_sel:DWORD src1_sel:WORD_0
	s_and_saveexec_b64 s[0:1], vcc
	s_xor_b64 s[36:37], exec, s[0:1]
	s_cbranch_execz .LBB21_508
; %bb.1:
	v_cmp_gt_i32_e32 vcc, s50, v23
	s_mov_b64 s[0:1], -1
	s_mov_b64 s[44:45], 0
	s_and_saveexec_b64 s[40:41], vcc
	s_cbranch_execz .LBB21_124
; %bb.2:
	s_getpc_b64 s[0:1]
	s_add_u32 s0, s0, _ZN2at6native6invokeIZZZNS0_12_GLOBAL__N_119airy_ai_kernel_cudaERNS_18TensorIteratorBaseEENKUlvE_clEvENKUlvE0_clEvEUlfE_i15function_traitsIS7_EEENT1_11result_typeERKT_PrKPcPKT0_PKN3c1010ScalarTypeEi@rel32@lo+4
	s_addc_u32 s1, s1, _ZN2at6native6invokeIZZZNS0_12_GLOBAL__N_119airy_ai_kernel_cudaERNS_18TensorIteratorBaseEENKUlvE_clEvENKUlvE0_clEvEUlfE_i15function_traitsIS7_EEENT1_11result_typeERKT_PrKPcPKT0_PKN3c1010ScalarTypeEi@rel32@hi+12
	v_mov_b32_e32 v0, s26
	v_mov_b32_e32 v1, s27
	;; [unrolled: 1-line block ×5, first 2 shown]
	s_swappc_b64 s[30:31], s[0:1]
	v_mul_lo_u32 v2, v23, s28
	v_ashrrev_i32_e32 v3, 31, v2
	s_and_b32 s8, s33, 0xff
	s_cmp_lt_i32 s8, 11
	v_lshl_add_u64 v[2:3], s[24:25], 0, v[2:3]
	s_cbranch_scc1 .LBB21_9
; %bb.3:
	s_and_b32 s9, 0xffff, s8
	s_cmp_gt_i32 s9, 25
	s_cbranch_scc0 .LBB21_12
; %bb.4:
	s_cmp_gt_i32 s9, 28
	s_cbranch_scc0 .LBB21_13
; %bb.5:
	s_cmp_gt_i32 s9, 43
	s_cbranch_scc0 .LBB21_14
; %bb.6:
	s_cmp_gt_i32 s9, 45
	s_cbranch_scc0 .LBB21_15
; %bb.7:
	s_mov_b64 s[4:5], 0
	s_mov_b64 s[0:1], -1
	s_cmp_eq_u32 s9, 46
	s_mov_b64 s[2:3], 0
	s_cbranch_scc0 .LBB21_16
; %bb.8:
	v_bfe_u32 v1, v0, 16, 1
	s_movk_i32 s0, 0x7fff
	v_add3_u32 v1, v0, v1, s0
	v_cmp_o_f32_e32 vcc, v0, v0
	v_mov_b32_e32 v4, 0x7fc0
	s_mov_b64 s[2:3], -1
	v_cndmask_b32_sdwa v1, v4, v1, vcc dst_sel:DWORD dst_unused:UNUSED_PAD src0_sel:DWORD src1_sel:WORD_1
	global_store_dword v[2:3], v1, off
	s_mov_b64 s[0:1], 0
	s_branch .LBB21_16
.LBB21_9:
	s_mov_b64 s[0:1], 0
	s_mov_b64 s[2:3], 0
	s_cbranch_execnz .LBB21_84
.LBB21_10:
	s_andn2_b64 vcc, exec, s[2:3]
	s_cbranch_vccnz .LBB21_122
.LBB21_11:
	v_add_u32_e32 v23, 0x80, v23
	s_mov_b64 s[2:3], -1
	s_branch .LBB21_123
.LBB21_12:
	s_mov_b64 s[0:1], 0
	s_mov_b64 s[2:3], 0
	s_cbranch_execnz .LBB21_43
	s_branch .LBB21_83
.LBB21_13:
	s_mov_b64 s[4:5], -1
	s_mov_b64 s[0:1], 0
	s_mov_b64 s[2:3], 0
	s_branch .LBB21_26
.LBB21_14:
	s_mov_b64 s[4:5], -1
	s_mov_b64 s[0:1], 0
	s_mov_b64 s[2:3], 0
	s_branch .LBB21_22
.LBB21_15:
	s_mov_b64 s[4:5], -1
	s_mov_b64 s[0:1], 0
	s_mov_b64 s[2:3], 0
.LBB21_16:
	s_and_b64 vcc, exec, s[4:5]
	s_cbranch_vccz .LBB21_21
; %bb.17:
	s_cmp_eq_u32 s9, 44
	s_mov_b64 s[0:1], -1
	s_cbranch_scc0 .LBB21_21
; %bb.18:
	v_bfe_u32 v1, v0, 23, 8
	s_movk_i32 s0, 0xff
	v_cmp_ne_u32_e32 vcc, s0, v1
	v_mov_b32_e32 v4, 0xff
	s_and_saveexec_b64 s[2:3], vcc
; %bb.19:
	s_mov_b32 s0, 0x3fffff
	v_and_b32_e32 v5, 0x400000, v0
	v_and_or_b32 v1, v0, s0, v1
	v_cmp_ne_u32_e32 vcc, 0, v5
	v_cmp_ne_u32_e64 s[0:1], 0, v1
	s_and_b64 s[0:1], vcc, s[0:1]
	v_lshrrev_b32_e32 v4, 23, v0
	v_cndmask_b32_e64 v1, 0, 1, s[0:1]
	v_add_u32_e32 v4, v4, v1
; %bb.20:
	s_or_b64 exec, exec, s[2:3]
	s_mov_b64 s[2:3], -1
	s_mov_b64 s[0:1], 0
	global_store_byte v[2:3], v4, off
.LBB21_21:
	s_mov_b64 s[4:5], 0
.LBB21_22:
	s_and_b64 vcc, exec, s[4:5]
	s_cbranch_vccz .LBB21_25
; %bb.23:
	s_cmp_eq_u32 s9, 29
	s_mov_b64 s[0:1], -1
	s_cbranch_scc0 .LBB21_25
; %bb.24:
	v_trunc_f32_e32 v1, v0
	v_mul_f32_e32 v4, 0x2f800000, v1
	v_floor_f32_e32 v4, v4
	v_fmamk_f32 v1, v4, 0xcf800000, v1
	v_cvt_u32_f32_e32 v5, v4
	v_cvt_u32_f32_e32 v4, v1
	s_mov_b64 s[2:3], -1
	s_mov_b64 s[0:1], 0
	s_mov_b64 s[4:5], 0
	global_store_dwordx2 v[2:3], v[4:5], off
	s_branch .LBB21_26
.LBB21_25:
	s_mov_b64 s[4:5], 0
.LBB21_26:
	s_and_b64 vcc, exec, s[4:5]
	s_cbranch_vccz .LBB21_42
; %bb.27:
	s_cmp_lt_i32 s9, 27
	s_mov_b64 s[2:3], -1
	s_cbranch_scc1 .LBB21_33
; %bb.28:
	v_cvt_u32_f32_e32 v1, v0
	s_cmp_gt_i32 s9, 27
	s_cbranch_scc0 .LBB21_30
; %bb.29:
	s_mov_b64 s[2:3], 0
	global_store_dword v[2:3], v1, off
.LBB21_30:
	s_andn2_b64 vcc, exec, s[2:3]
	s_cbranch_vccnz .LBB21_32
; %bb.31:
	global_store_short v[2:3], v1, off
.LBB21_32:
	s_mov_b64 s[2:3], 0
.LBB21_33:
	s_andn2_b64 vcc, exec, s[2:3]
	s_cbranch_vccnz .LBB21_41
; %bb.34:
	v_and_b32_e32 v1, 0x7fffffff, v0
	s_mov_b32 s2, 0x43800000
	v_cmp_gt_u32_e32 vcc, s2, v1
	v_mov_b32_e32 v4, 0x80
	s_and_saveexec_b64 s[2:3], vcc
	s_cbranch_execz .LBB21_40
; %bb.35:
	s_mov_b32 s4, 0x3bffffff
	v_cmp_lt_u32_e32 vcc, s4, v1
	s_mov_b64 s[4:5], 0
                                        ; implicit-def: $vgpr1
	s_and_saveexec_b64 s[6:7], vcc
	s_xor_b64 s[6:7], exec, s[6:7]
	s_cbranch_execz .LBB21_141
; %bb.36:
	v_bfe_u32 v1, v0, 20, 1
	s_mov_b32 s10, 0x487ffff
	v_add3_u32 v1, v0, v1, s10
	s_mov_b64 s[4:5], exec
	v_lshrrev_b32_e32 v1, 20, v1
	s_andn2_saveexec_b64 s[6:7], s[6:7]
	s_cbranch_execnz .LBB21_142
.LBB21_37:
	s_or_b64 exec, exec, s[6:7]
	v_mov_b32_e32 v4, 0
	s_and_saveexec_b64 s[6:7], s[4:5]
.LBB21_38:
	v_lshrrev_b32_e32 v4, 24, v0
	s_movk_i32 s4, 0x80
	v_and_or_b32 v4, v4, s4, v1
.LBB21_39:
	s_or_b64 exec, exec, s[6:7]
.LBB21_40:
	s_or_b64 exec, exec, s[2:3]
	global_store_byte v[2:3], v4, off
.LBB21_41:
	s_mov_b64 s[2:3], -1
.LBB21_42:
	s_branch .LBB21_83
.LBB21_43:
	s_cmp_gt_i32 s9, 22
	s_mov_b64 s[4:5], -1
	s_cbranch_scc0 .LBB21_75
; %bb.44:
	s_cmp_lt_i32 s9, 24
	s_mov_b64 s[2:3], -1
	s_cbranch_scc1 .LBB21_64
; %bb.45:
	s_cmp_gt_i32 s9, 24
	s_cbranch_scc0 .LBB21_53
; %bb.46:
	v_and_b32_e32 v1, 0x7fffffff, v0
	s_mov_b32 s2, 0x47800000
	v_cmp_gt_u32_e32 vcc, s2, v1
	v_mov_b32_e32 v4, 0x80
	s_and_saveexec_b64 s[2:3], vcc
	s_cbranch_execz .LBB21_52
; %bb.47:
	s_mov_b32 s4, 0x37ffffff
	v_cmp_lt_u32_e32 vcc, s4, v1
	s_mov_b64 s[4:5], 0
                                        ; implicit-def: $vgpr1
	s_and_saveexec_b64 s[6:7], vcc
	s_xor_b64 s[6:7], exec, s[6:7]
	s_cbranch_execz .LBB21_144
; %bb.48:
	v_bfe_u32 v1, v0, 21, 1
	s_mov_b32 s10, 0x88fffff
	v_add3_u32 v1, v0, v1, s10
	s_mov_b64 s[4:5], exec
	v_lshrrev_b32_e32 v1, 21, v1
	s_andn2_saveexec_b64 s[6:7], s[6:7]
	s_cbranch_execnz .LBB21_145
.LBB21_49:
	s_or_b64 exec, exec, s[6:7]
	v_mov_b32_e32 v4, 0
	s_and_saveexec_b64 s[6:7], s[4:5]
.LBB21_50:
	v_lshrrev_b32_e32 v4, 24, v0
	s_movk_i32 s4, 0x80
	v_and_or_b32 v4, v4, s4, v1
.LBB21_51:
	s_or_b64 exec, exec, s[6:7]
.LBB21_52:
	s_or_b64 exec, exec, s[2:3]
	s_mov_b64 s[2:3], 0
	global_store_byte v[2:3], v4, off
.LBB21_53:
	s_and_b64 vcc, exec, s[2:3]
	s_cbranch_vccz .LBB21_63
; %bb.54:
	v_and_b32_e32 v4, 0x7fffffff, v0
	s_mov_b32 s2, 0x43f00000
	v_cmp_gt_u32_e32 vcc, s2, v4
                                        ; implicit-def: $vgpr1
	s_and_saveexec_b64 s[2:3], vcc
	s_xor_b64 s[2:3], exec, s[2:3]
	s_cbranch_execz .LBB21_60
; %bb.55:
	s_mov_b32 s4, 0x3c7fffff
	v_cmp_lt_u32_e32 vcc, s4, v4
                                        ; implicit-def: $vgpr1
	s_and_saveexec_b64 s[4:5], vcc
	s_xor_b64 s[4:5], exec, s[4:5]
; %bb.56:
	v_bfe_u32 v1, v0, 20, 1
	s_mov_b32 s6, 0x407ffff
	v_add3_u32 v1, v0, v1, s6
	v_lshrrev_b32_e32 v4, 20, v1
	v_and_b32_e32 v1, 0xff00000, v1
	s_mov_b32 s6, 0x7f00000
	v_mov_b32_e32 v5, 0x7e
	v_cmp_ne_u32_e32 vcc, s6, v1
	s_nop 1
	v_cndmask_b32_e32 v1, v5, v4, vcc
; %bb.57:
	s_andn2_saveexec_b64 s[4:5], s[4:5]
; %bb.58:
	s_mov_b32 s6, 0x46800000
	v_add_f32_e64 v1, |v0|, s6
; %bb.59:
	s_or_b64 exec, exec, s[4:5]
                                        ; implicit-def: $vgpr4
.LBB21_60:
	s_andn2_saveexec_b64 s[2:3], s[2:3]
; %bb.61:
	s_mov_b32 s4, 0x7f800000
	v_mov_b32_e32 v1, 0x7e
	v_mov_b32_e32 v5, 0x7f
	v_cmp_lt_u32_e32 vcc, s4, v4
	s_nop 1
	v_cndmask_b32_e32 v1, v1, v5, vcc
; %bb.62:
	s_or_b64 exec, exec, s[2:3]
	v_lshrrev_b32_e32 v4, 24, v0
	s_movk_i32 s2, 0x80
	v_and_or_b32 v1, v4, s2, v1
	global_store_byte v[2:3], v1, off
.LBB21_63:
	s_mov_b64 s[2:3], 0
.LBB21_64:
	s_andn2_b64 vcc, exec, s[2:3]
	s_cbranch_vccnz .LBB21_74
; %bb.65:
	v_and_b32_e32 v4, 0x7fffffff, v0
	s_mov_b32 s2, 0x47800000
	v_cmp_gt_u32_e32 vcc, s2, v4
                                        ; implicit-def: $vgpr1
	s_and_saveexec_b64 s[2:3], vcc
	s_xor_b64 s[2:3], exec, s[2:3]
	s_cbranch_execz .LBB21_71
; %bb.66:
	s_mov_b32 s4, 0x387fffff
	v_cmp_lt_u32_e32 vcc, s4, v4
                                        ; implicit-def: $vgpr1
	s_and_saveexec_b64 s[4:5], vcc
	s_xor_b64 s[4:5], exec, s[4:5]
; %bb.67:
	v_bfe_u32 v1, v0, 21, 1
	s_mov_b32 s6, 0x80fffff
	v_add3_u32 v1, v0, v1, s6
	v_lshrrev_b32_e32 v1, 21, v1
; %bb.68:
	s_andn2_saveexec_b64 s[4:5], s[4:5]
; %bb.69:
	s_mov_b32 s6, 0x43000000
	v_add_f32_e64 v1, |v0|, s6
; %bb.70:
	s_or_b64 exec, exec, s[4:5]
                                        ; implicit-def: $vgpr4
.LBB21_71:
	s_andn2_saveexec_b64 s[2:3], s[2:3]
; %bb.72:
	s_mov_b32 s4, 0x7f800000
	v_mov_b32_e32 v1, 0x7c
	v_mov_b32_e32 v5, 0x7f
	v_cmp_lt_u32_e32 vcc, s4, v4
	s_nop 1
	v_cndmask_b32_e32 v1, v1, v5, vcc
; %bb.73:
	s_or_b64 exec, exec, s[2:3]
	v_lshrrev_b32_e32 v4, 24, v0
	s_movk_i32 s2, 0x80
	v_and_or_b32 v1, v4, s2, v1
	global_store_byte v[2:3], v1, off
.LBB21_74:
	s_mov_b64 s[4:5], 0
	s_mov_b64 s[2:3], -1
.LBB21_75:
	s_andn2_b64 vcc, exec, s[4:5]
	s_cbranch_vccnz .LBB21_83
; %bb.76:
	s_cmp_gt_i32 s9, 14
	s_mov_b64 s[4:5], -1
	s_cbranch_scc0 .LBB21_80
; %bb.77:
	s_cmp_eq_u32 s9, 15
	s_mov_b64 s[0:1], -1
	s_cbranch_scc0 .LBB21_79
; %bb.78:
	v_bfe_u32 v1, v0, 16, 1
	s_movk_i32 s0, 0x7fff
	v_add3_u32 v1, v0, v1, s0
	v_cmp_o_f32_e32 vcc, v0, v0
	v_mov_b32_e32 v4, 0x7fc0
	s_mov_b64 s[2:3], -1
	v_cndmask_b32_sdwa v1, v4, v1, vcc dst_sel:DWORD dst_unused:UNUSED_PAD src0_sel:DWORD src1_sel:WORD_1
	global_store_short v[2:3], v1, off
	s_mov_b64 s[0:1], 0
.LBB21_79:
	s_mov_b64 s[4:5], 0
.LBB21_80:
	s_and_b64 vcc, exec, s[4:5]
	s_cbranch_vccz .LBB21_83
; %bb.81:
	s_cmp_eq_u32 s9, 11
	s_mov_b64 s[0:1], -1
	s_cbranch_scc0 .LBB21_83
; %bb.82:
	v_cmp_neq_f32_e32 vcc, 0, v0
	s_mov_b64 s[2:3], -1
	s_mov_b64 s[0:1], 0
	v_cndmask_b32_e64 v1, 0, 1, vcc
	global_store_byte v[2:3], v1, off
.LBB21_83:
	s_branch .LBB21_10
.LBB21_84:
	s_and_b32 s4, 0xffff, s8
	s_cmp_lt_i32 s4, 5
	s_mov_b64 s[2:3], -1
	s_cbranch_scc1 .LBB21_105
; %bb.85:
	s_cmp_lt_i32 s4, 8
	s_cbranch_scc1 .LBB21_95
; %bb.86:
	s_cmp_lt_i32 s4, 9
	s_cbranch_scc1 .LBB21_92
; %bb.87:
	s_cmp_gt_i32 s4, 9
	s_cbranch_scc0 .LBB21_89
; %bb.88:
	v_mov_b32_e32 v6, 0
	v_cvt_f64_f32_e32 v[4:5], v0
	v_mov_b32_e32 v7, v6
	global_store_dwordx4 v[2:3], v[4:7], off
	s_mov_b64 s[2:3], 0
.LBB21_89:
	s_andn2_b64 vcc, exec, s[2:3]
	s_cbranch_vccnz .LBB21_91
; %bb.90:
	v_mov_b32_e32 v1, 0
	global_store_dwordx2 v[2:3], v[0:1], off
.LBB21_91:
	s_mov_b64 s[2:3], 0
.LBB21_92:
	s_andn2_b64 vcc, exec, s[2:3]
	s_cbranch_vccnz .LBB21_94
; %bb.93:
	v_cvt_f16_f32_e32 v1, v0
	global_store_dword v[2:3], v1, off
.LBB21_94:
	s_mov_b64 s[2:3], 0
.LBB21_95:
	s_andn2_b64 vcc, exec, s[2:3]
	s_cbranch_vccnz .LBB21_104
; %bb.96:
	s_cmp_lt_i32 s4, 6
	s_mov_b64 s[2:3], -1
	s_cbranch_scc1 .LBB21_102
; %bb.97:
	s_cmp_gt_i32 s4, 6
	s_cbranch_scc0 .LBB21_99
; %bb.98:
	v_cvt_f64_f32_e32 v[4:5], v0
	global_store_dwordx2 v[2:3], v[4:5], off
	s_mov_b64 s[2:3], 0
.LBB21_99:
	s_andn2_b64 vcc, exec, s[2:3]
	s_cbranch_vccnz .LBB21_101
; %bb.100:
	global_store_dword v[2:3], v0, off
.LBB21_101:
	s_mov_b64 s[2:3], 0
.LBB21_102:
	s_andn2_b64 vcc, exec, s[2:3]
	s_cbranch_vccnz .LBB21_104
; %bb.103:
	v_cvt_f16_f32_e32 v1, v0
	global_store_short v[2:3], v1, off
.LBB21_104:
	s_mov_b64 s[2:3], 0
.LBB21_105:
	s_andn2_b64 vcc, exec, s[2:3]
	s_cbranch_vccnz .LBB21_121
; %bb.106:
	s_cmp_lt_i32 s4, 2
	s_mov_b64 s[2:3], -1
	s_cbranch_scc1 .LBB21_116
; %bb.107:
	s_cmp_lt_i32 s4, 3
	s_cbranch_scc1 .LBB21_113
; %bb.108:
	s_cmp_gt_i32 s4, 3
	s_cbranch_scc0 .LBB21_110
; %bb.109:
	v_trunc_f32_e32 v1, v0
	s_mov_b32 s2, 0x2f800000
	v_mul_f32_e64 v4, |v1|, s2
	v_floor_f32_e32 v4, v4
	s_mov_b32 s2, 0xcf800000
	v_cvt_u32_f32_e32 v5, v4
	v_fma_f32 v4, v4, s2, |v1|
	v_cvt_u32_f32_e32 v4, v4
	v_ashrrev_i32_e32 v1, 31, v1
	v_xor_b32_e32 v5, v5, v1
	s_mov_b64 s[2:3], 0
	v_xor_b32_e32 v4, v4, v1
	v_sub_co_u32_e32 v4, vcc, v4, v1
	s_nop 1
	v_subb_co_u32_e32 v5, vcc, v5, v1, vcc
	global_store_dwordx2 v[2:3], v[4:5], off
.LBB21_110:
	s_andn2_b64 vcc, exec, s[2:3]
	s_cbranch_vccnz .LBB21_112
; %bb.111:
	v_cvt_i32_f32_e32 v1, v0
	global_store_dword v[2:3], v1, off
.LBB21_112:
	s_mov_b64 s[2:3], 0
.LBB21_113:
	s_andn2_b64 vcc, exec, s[2:3]
	s_cbranch_vccnz .LBB21_115
; %bb.114:
	v_cvt_i32_f32_e32 v1, v0
	global_store_short v[2:3], v1, off
.LBB21_115:
	s_mov_b64 s[2:3], 0
.LBB21_116:
	s_andn2_b64 vcc, exec, s[2:3]
	s_cbranch_vccnz .LBB21_121
; %bb.117:
	s_cmp_gt_i32 s4, 0
	s_mov_b64 s[2:3], -1
	s_cbranch_scc0 .LBB21_119
; %bb.118:
	v_cvt_i32_f32_e32 v1, v0
	s_mov_b64 s[2:3], 0
	global_store_byte v[2:3], v1, off
.LBB21_119:
	s_andn2_b64 vcc, exec, s[2:3]
	s_cbranch_vccnz .LBB21_121
; %bb.120:
	v_trunc_f32_e32 v0, v0
	s_mov_b32 s2, 0x2f800000
	v_mul_f32_e64 v1, |v0|, s2
	v_floor_f32_e32 v1, v1
	s_mov_b32 s2, 0xcf800000
	v_fma_f32 v1, v1, s2, |v0|
	v_cvt_u32_f32_e32 v1, v1
	v_ashrrev_i32_e32 v0, 31, v0
	v_xor_b32_e32 v1, v1, v0
	v_sub_u32_e32 v0, v1, v0
	global_store_byte v[2:3], v0, off
.LBB21_121:
	s_branch .LBB21_11
.LBB21_122:
	s_mov_b64 s[2:3], 0
                                        ; implicit-def: $vgpr23
.LBB21_123:
	s_and_b64 s[38:39], s[0:1], exec
	s_orn2_b64 s[0:1], s[2:3], exec
.LBB21_124:
	s_or_b64 exec, exec, s[40:41]
	s_mov_b64 s[2:3], 0
                                        ; implicit-def: $sgpr10
                                        ; implicit-def: $vgpr2_vgpr3
                                        ; implicit-def: $vgpr0
	s_and_saveexec_b64 s[40:41], s[0:1]
	s_cbranch_execz .LBB21_133
; %bb.125:
	v_cmp_gt_i32_e32 vcc, s50, v23
	s_mov_b64 s[4:5], -1
	s_mov_b64 s[42:43], s[38:39]
	s_and_saveexec_b64 s[44:45], vcc
	s_cbranch_execz .LBB21_256
; %bb.126:
	s_getpc_b64 s[0:1]
	s_add_u32 s0, s0, _ZN2at6native6invokeIZZZNS0_12_GLOBAL__N_119airy_ai_kernel_cudaERNS_18TensorIteratorBaseEENKUlvE_clEvENKUlvE0_clEvEUlfE_i15function_traitsIS7_EEENT1_11result_typeERKT_PrKPcPKT0_PKN3c1010ScalarTypeEi@rel32@lo+4
	s_addc_u32 s1, s1, _ZN2at6native6invokeIZZZNS0_12_GLOBAL__N_119airy_ai_kernel_cudaERNS_18TensorIteratorBaseEENKUlvE_clEvENKUlvE0_clEvEUlfE_i15function_traitsIS7_EEENT1_11result_typeERKT_PrKPcPKT0_PKN3c1010ScalarTypeEi@rel32@hi+12
	v_mov_b32_e32 v0, s26
	v_mov_b32_e32 v1, s27
	;; [unrolled: 1-line block ×5, first 2 shown]
	s_swappc_b64 s[30:31], s[0:1]
	v_mul_lo_u32 v2, v23, s28
	v_ashrrev_i32_e32 v3, 31, v2
	s_and_b32 s8, s33, 0xff
	s_cmp_lt_i32 s8, 11
	v_lshl_add_u64 v[2:3], s[24:25], 0, v[2:3]
	s_cbranch_scc1 .LBB21_136
; %bb.127:
	s_and_b32 s9, 0xffff, s8
	s_cmp_gt_i32 s9, 25
	s_cbranch_scc0 .LBB21_139
; %bb.128:
	s_cmp_gt_i32 s9, 28
	s_cbranch_scc0 .LBB21_140
; %bb.129:
	;; [unrolled: 3-line block ×4, first 2 shown]
	s_mov_b64 s[4:5], 0
	s_mov_b64 s[0:1], -1
	s_cmp_eq_u32 s9, 46
	s_mov_b64 s[2:3], 0
	s_cbranch_scc0 .LBB21_147
; %bb.132:
	v_bfe_u32 v1, v0, 16, 1
	s_movk_i32 s0, 0x7fff
	v_add3_u32 v1, v0, v1, s0
	v_cmp_o_f32_e32 vcc, v0, v0
	v_mov_b32_e32 v4, 0x7fc0
	s_mov_b64 s[2:3], -1
	v_cndmask_b32_sdwa v1, v4, v1, vcc dst_sel:DWORD dst_unused:UNUSED_PAD src0_sel:DWORD src1_sel:WORD_1
	global_store_dword v[2:3], v1, off
	s_mov_b64 s[0:1], 0
	s_branch .LBB21_147
.LBB21_133:
	s_or_b64 exec, exec, s[40:41]
	s_mov_b64 s[0:1], 0
	s_and_saveexec_b64 s[4:5], s[38:39]
	s_cbranch_execnz .LBB21_468
.LBB21_134:
	s_or_b64 exec, exec, s[4:5]
	s_and_saveexec_b64 s[4:5], s[44:45]
	s_xor_b64 s[4:5], exec, s[4:5]
	s_cbranch_execz .LBB21_469
.LBB21_135:
	v_cmp_neq_f32_e32 vcc, 0, v0
	s_nop 1
	v_cndmask_b32_e64 v1, 0, 1, vcc
	global_store_byte v[2:3], v1, off
	s_or_b64 exec, exec, s[4:5]
	s_and_saveexec_b64 s[4:5], s[2:3]
	s_xor_b64 s[2:3], exec, s[4:5]
	s_cbranch_execz .LBB21_507
	s_branch .LBB21_470
.LBB21_136:
	s_mov_b64 s[2:3], 0
	s_mov_b64 s[0:1], s[38:39]
	s_cbranch_execnz .LBB21_216
.LBB21_137:
	s_andn2_b64 vcc, exec, s[2:3]
	s_cbranch_vccnz .LBB21_254
.LBB21_138:
	v_add_u32_e32 v23, 0x80, v23
	s_mov_b64 s[2:3], -1
	s_branch .LBB21_255
.LBB21_139:
	s_mov_b64 s[4:5], -1
	s_mov_b64 s[2:3], 0
	s_mov_b64 s[0:1], s[38:39]
	s_branch .LBB21_174
.LBB21_140:
	s_mov_b64 s[4:5], -1
	s_mov_b64 s[2:3], 0
	s_mov_b64 s[0:1], s[38:39]
	s_branch .LBB21_157
.LBB21_141:
	s_andn2_saveexec_b64 s[6:7], s[6:7]
	s_cbranch_execz .LBB21_37
.LBB21_142:
	s_mov_b32 s10, 0x46000000
	v_add_f32_e64 v1, |v0|, s10
	v_and_b32_e32 v1, 0xff, v1
	v_cmp_ne_u32_e32 vcc, 0, v1
	s_andn2_b64 s[4:5], s[4:5], exec
	s_and_b64 s[10:11], vcc, exec
	s_or_b64 s[4:5], s[4:5], s[10:11]
	s_or_b64 exec, exec, s[6:7]
	v_mov_b32_e32 v4, 0
	s_and_saveexec_b64 s[6:7], s[4:5]
	s_cbranch_execnz .LBB21_38
	s_branch .LBB21_39
.LBB21_143:
	s_mov_b64 s[4:5], -1
	s_mov_b64 s[2:3], 0
	s_mov_b64 s[0:1], s[38:39]
	s_branch .LBB21_153
.LBB21_144:
	s_andn2_saveexec_b64 s[6:7], s[6:7]
	s_cbranch_execz .LBB21_49
.LBB21_145:
	s_mov_b32 s10, 0x42800000
	v_add_f32_e64 v1, |v0|, s10
	v_and_b32_e32 v1, 0xff, v1
	v_cmp_ne_u32_e32 vcc, 0, v1
	s_andn2_b64 s[4:5], s[4:5], exec
	s_and_b64 s[10:11], vcc, exec
	s_or_b64 s[4:5], s[4:5], s[10:11]
	s_or_b64 exec, exec, s[6:7]
	v_mov_b32_e32 v4, 0
	s_and_saveexec_b64 s[6:7], s[4:5]
	s_cbranch_execnz .LBB21_50
	s_branch .LBB21_51
.LBB21_146:
	s_mov_b64 s[4:5], -1
	s_mov_b64 s[2:3], 0
	s_mov_b64 s[0:1], s[38:39]
.LBB21_147:
	s_and_b64 vcc, exec, s[4:5]
	s_cbranch_vccz .LBB21_152
; %bb.148:
	s_cmp_eq_u32 s9, 44
	s_mov_b64 s[0:1], -1
	s_cbranch_scc0 .LBB21_152
; %bb.149:
	v_bfe_u32 v1, v0, 23, 8
	s_movk_i32 s0, 0xff
	v_cmp_ne_u32_e32 vcc, s0, v1
	v_mov_b32_e32 v4, 0xff
	s_and_saveexec_b64 s[2:3], vcc
; %bb.150:
	s_mov_b32 s0, 0x3fffff
	v_and_b32_e32 v5, 0x400000, v0
	v_and_or_b32 v1, v0, s0, v1
	v_cmp_ne_u32_e32 vcc, 0, v5
	v_cmp_ne_u32_e64 s[0:1], 0, v1
	s_and_b64 s[0:1], vcc, s[0:1]
	v_lshrrev_b32_e32 v4, 23, v0
	v_cndmask_b32_e64 v1, 0, 1, s[0:1]
	v_add_u32_e32 v4, v4, v1
; %bb.151:
	s_or_b64 exec, exec, s[2:3]
	s_mov_b64 s[2:3], -1
	s_mov_b64 s[0:1], 0
	global_store_byte v[2:3], v4, off
.LBB21_152:
	s_mov_b64 s[4:5], 0
.LBB21_153:
	s_and_b64 vcc, exec, s[4:5]
	s_cbranch_vccz .LBB21_156
; %bb.154:
	s_cmp_eq_u32 s9, 29
	s_mov_b64 s[0:1], -1
	s_cbranch_scc0 .LBB21_156
; %bb.155:
	v_trunc_f32_e32 v1, v0
	v_mul_f32_e32 v4, 0x2f800000, v1
	v_floor_f32_e32 v4, v4
	v_fmamk_f32 v1, v4, 0xcf800000, v1
	v_cvt_u32_f32_e32 v5, v4
	v_cvt_u32_f32_e32 v4, v1
	s_mov_b64 s[2:3], -1
	s_mov_b64 s[0:1], 0
	s_mov_b64 s[4:5], 0
	global_store_dwordx2 v[2:3], v[4:5], off
	s_branch .LBB21_157
.LBB21_156:
	s_mov_b64 s[4:5], 0
.LBB21_157:
	s_and_b64 vcc, exec, s[4:5]
	s_cbranch_vccz .LBB21_173
; %bb.158:
	s_cmp_lt_i32 s9, 27
	s_mov_b64 s[2:3], -1
	s_cbranch_scc1 .LBB21_164
; %bb.159:
	v_cvt_u32_f32_e32 v1, v0
	s_cmp_gt_i32 s9, 27
	s_cbranch_scc0 .LBB21_161
; %bb.160:
	s_mov_b64 s[2:3], 0
	global_store_dword v[2:3], v1, off
.LBB21_161:
	s_andn2_b64 vcc, exec, s[2:3]
	s_cbranch_vccnz .LBB21_163
; %bb.162:
	global_store_short v[2:3], v1, off
.LBB21_163:
	s_mov_b64 s[2:3], 0
.LBB21_164:
	s_andn2_b64 vcc, exec, s[2:3]
	s_cbranch_vccnz .LBB21_172
; %bb.165:
	v_and_b32_e32 v1, 0x7fffffff, v0
	s_mov_b32 s2, 0x43800000
	v_cmp_gt_u32_e32 vcc, s2, v1
	v_mov_b32_e32 v4, 0x80
	s_and_saveexec_b64 s[2:3], vcc
	s_cbranch_execz .LBB21_171
; %bb.166:
	s_mov_b32 s4, 0x3bffffff
	v_cmp_lt_u32_e32 vcc, s4, v1
	s_mov_b64 s[4:5], 0
                                        ; implicit-def: $vgpr1
	s_and_saveexec_b64 s[6:7], vcc
	s_xor_b64 s[6:7], exec, s[6:7]
	s_cbranch_execz .LBB21_268
; %bb.167:
	v_bfe_u32 v1, v0, 20, 1
	s_mov_b32 s10, 0x487ffff
	v_add3_u32 v1, v0, v1, s10
	s_mov_b64 s[4:5], exec
	v_lshrrev_b32_e32 v1, 20, v1
	s_andn2_saveexec_b64 s[6:7], s[6:7]
	s_cbranch_execnz .LBB21_269
.LBB21_168:
	s_or_b64 exec, exec, s[6:7]
	v_mov_b32_e32 v4, 0
	s_and_saveexec_b64 s[6:7], s[4:5]
.LBB21_169:
	v_lshrrev_b32_e32 v4, 24, v0
	s_movk_i32 s4, 0x80
	v_and_or_b32 v4, v4, s4, v1
.LBB21_170:
	s_or_b64 exec, exec, s[6:7]
.LBB21_171:
	s_or_b64 exec, exec, s[2:3]
	global_store_byte v[2:3], v4, off
.LBB21_172:
	s_mov_b64 s[2:3], -1
.LBB21_173:
	s_mov_b64 s[4:5], 0
.LBB21_174:
	s_and_b64 vcc, exec, s[4:5]
	s_cbranch_vccz .LBB21_215
; %bb.175:
	s_cmp_gt_i32 s9, 22
	s_mov_b64 s[4:5], -1
	s_cbranch_scc0 .LBB21_207
; %bb.176:
	s_cmp_lt_i32 s9, 24
	s_mov_b64 s[2:3], -1
	s_cbranch_scc1 .LBB21_196
; %bb.177:
	s_cmp_gt_i32 s9, 24
	s_cbranch_scc0 .LBB21_185
; %bb.178:
	v_and_b32_e32 v1, 0x7fffffff, v0
	s_mov_b32 s2, 0x47800000
	v_cmp_gt_u32_e32 vcc, s2, v1
	v_mov_b32_e32 v4, 0x80
	s_and_saveexec_b64 s[2:3], vcc
	s_cbranch_execz .LBB21_184
; %bb.179:
	s_mov_b32 s4, 0x37ffffff
	v_cmp_lt_u32_e32 vcc, s4, v1
	s_mov_b64 s[4:5], 0
                                        ; implicit-def: $vgpr1
	s_and_saveexec_b64 s[6:7], vcc
	s_xor_b64 s[6:7], exec, s[6:7]
	s_cbranch_execz .LBB21_271
; %bb.180:
	v_bfe_u32 v1, v0, 21, 1
	s_mov_b32 s10, 0x88fffff
	v_add3_u32 v1, v0, v1, s10
	s_mov_b64 s[4:5], exec
	v_lshrrev_b32_e32 v1, 21, v1
	s_andn2_saveexec_b64 s[6:7], s[6:7]
	s_cbranch_execnz .LBB21_272
.LBB21_181:
	s_or_b64 exec, exec, s[6:7]
	v_mov_b32_e32 v4, 0
	s_and_saveexec_b64 s[6:7], s[4:5]
.LBB21_182:
	v_lshrrev_b32_e32 v4, 24, v0
	s_movk_i32 s4, 0x80
	v_and_or_b32 v4, v4, s4, v1
.LBB21_183:
	s_or_b64 exec, exec, s[6:7]
.LBB21_184:
	s_or_b64 exec, exec, s[2:3]
	s_mov_b64 s[2:3], 0
	global_store_byte v[2:3], v4, off
.LBB21_185:
	s_and_b64 vcc, exec, s[2:3]
	s_cbranch_vccz .LBB21_195
; %bb.186:
	v_and_b32_e32 v4, 0x7fffffff, v0
	s_mov_b32 s2, 0x43f00000
	v_cmp_gt_u32_e32 vcc, s2, v4
                                        ; implicit-def: $vgpr1
	s_and_saveexec_b64 s[2:3], vcc
	s_xor_b64 s[2:3], exec, s[2:3]
	s_cbranch_execz .LBB21_192
; %bb.187:
	s_mov_b32 s4, 0x3c7fffff
	v_cmp_lt_u32_e32 vcc, s4, v4
                                        ; implicit-def: $vgpr1
	s_and_saveexec_b64 s[4:5], vcc
	s_xor_b64 s[4:5], exec, s[4:5]
; %bb.188:
	v_bfe_u32 v1, v0, 20, 1
	s_mov_b32 s6, 0x407ffff
	v_add3_u32 v1, v0, v1, s6
	v_lshrrev_b32_e32 v4, 20, v1
	v_and_b32_e32 v1, 0xff00000, v1
	s_mov_b32 s6, 0x7f00000
	v_mov_b32_e32 v5, 0x7e
	v_cmp_ne_u32_e32 vcc, s6, v1
	s_nop 1
	v_cndmask_b32_e32 v1, v5, v4, vcc
; %bb.189:
	s_andn2_saveexec_b64 s[4:5], s[4:5]
; %bb.190:
	s_mov_b32 s6, 0x46800000
	v_add_f32_e64 v1, |v0|, s6
; %bb.191:
	s_or_b64 exec, exec, s[4:5]
                                        ; implicit-def: $vgpr4
.LBB21_192:
	s_andn2_saveexec_b64 s[2:3], s[2:3]
; %bb.193:
	s_mov_b32 s4, 0x7f800000
	v_mov_b32_e32 v1, 0x7e
	v_mov_b32_e32 v5, 0x7f
	v_cmp_lt_u32_e32 vcc, s4, v4
	s_nop 1
	v_cndmask_b32_e32 v1, v1, v5, vcc
; %bb.194:
	s_or_b64 exec, exec, s[2:3]
	v_lshrrev_b32_e32 v4, 24, v0
	s_movk_i32 s2, 0x80
	v_and_or_b32 v1, v4, s2, v1
	global_store_byte v[2:3], v1, off
.LBB21_195:
	s_mov_b64 s[2:3], 0
.LBB21_196:
	s_andn2_b64 vcc, exec, s[2:3]
	s_cbranch_vccnz .LBB21_206
; %bb.197:
	v_and_b32_e32 v4, 0x7fffffff, v0
	s_mov_b32 s2, 0x47800000
	v_cmp_gt_u32_e32 vcc, s2, v4
                                        ; implicit-def: $vgpr1
	s_and_saveexec_b64 s[2:3], vcc
	s_xor_b64 s[2:3], exec, s[2:3]
	s_cbranch_execz .LBB21_203
; %bb.198:
	s_mov_b32 s4, 0x387fffff
	v_cmp_lt_u32_e32 vcc, s4, v4
                                        ; implicit-def: $vgpr1
	s_and_saveexec_b64 s[4:5], vcc
	s_xor_b64 s[4:5], exec, s[4:5]
; %bb.199:
	v_bfe_u32 v1, v0, 21, 1
	s_mov_b32 s6, 0x80fffff
	v_add3_u32 v1, v0, v1, s6
	v_lshrrev_b32_e32 v1, 21, v1
; %bb.200:
	s_andn2_saveexec_b64 s[4:5], s[4:5]
; %bb.201:
	s_mov_b32 s6, 0x43000000
	v_add_f32_e64 v1, |v0|, s6
; %bb.202:
	s_or_b64 exec, exec, s[4:5]
                                        ; implicit-def: $vgpr4
.LBB21_203:
	s_andn2_saveexec_b64 s[2:3], s[2:3]
; %bb.204:
	s_mov_b32 s4, 0x7f800000
	v_mov_b32_e32 v1, 0x7c
	v_mov_b32_e32 v5, 0x7f
	v_cmp_lt_u32_e32 vcc, s4, v4
	s_nop 1
	v_cndmask_b32_e32 v1, v1, v5, vcc
; %bb.205:
	s_or_b64 exec, exec, s[2:3]
	v_lshrrev_b32_e32 v4, 24, v0
	s_movk_i32 s2, 0x80
	v_and_or_b32 v1, v4, s2, v1
	global_store_byte v[2:3], v1, off
.LBB21_206:
	s_mov_b64 s[4:5], 0
	s_mov_b64 s[2:3], -1
.LBB21_207:
	s_andn2_b64 vcc, exec, s[4:5]
	s_cbranch_vccnz .LBB21_215
; %bb.208:
	s_cmp_gt_i32 s9, 14
	s_mov_b64 s[4:5], -1
	s_cbranch_scc0 .LBB21_212
; %bb.209:
	s_cmp_eq_u32 s9, 15
	s_mov_b64 s[0:1], -1
	s_cbranch_scc0 .LBB21_211
; %bb.210:
	v_bfe_u32 v1, v0, 16, 1
	s_movk_i32 s0, 0x7fff
	v_add3_u32 v1, v0, v1, s0
	v_cmp_o_f32_e32 vcc, v0, v0
	v_mov_b32_e32 v4, 0x7fc0
	s_mov_b64 s[2:3], -1
	v_cndmask_b32_sdwa v1, v4, v1, vcc dst_sel:DWORD dst_unused:UNUSED_PAD src0_sel:DWORD src1_sel:WORD_1
	global_store_short v[2:3], v1, off
	s_mov_b64 s[0:1], 0
.LBB21_211:
	s_mov_b64 s[4:5], 0
.LBB21_212:
	s_and_b64 vcc, exec, s[4:5]
	s_cbranch_vccz .LBB21_215
; %bb.213:
	s_cmp_eq_u32 s9, 11
	s_mov_b64 s[0:1], -1
	s_cbranch_scc0 .LBB21_215
; %bb.214:
	v_cmp_neq_f32_e32 vcc, 0, v0
	s_mov_b64 s[2:3], -1
	s_mov_b64 s[0:1], 0
	v_cndmask_b32_e64 v1, 0, 1, vcc
	global_store_byte v[2:3], v1, off
.LBB21_215:
	s_branch .LBB21_137
.LBB21_216:
	s_and_b32 s4, 0xffff, s8
	s_cmp_lt_i32 s4, 5
	s_mov_b64 s[2:3], -1
	s_cbranch_scc1 .LBB21_237
; %bb.217:
	s_cmp_lt_i32 s4, 8
	s_cbranch_scc1 .LBB21_227
; %bb.218:
	s_cmp_lt_i32 s4, 9
	s_cbranch_scc1 .LBB21_224
; %bb.219:
	s_cmp_gt_i32 s4, 9
	s_cbranch_scc0 .LBB21_221
; %bb.220:
	v_mov_b32_e32 v6, 0
	v_cvt_f64_f32_e32 v[4:5], v0
	v_mov_b32_e32 v7, v6
	s_mov_b64 s[2:3], 0
	global_store_dwordx4 v[2:3], v[4:7], off
.LBB21_221:
	s_andn2_b64 vcc, exec, s[2:3]
	s_cbranch_vccnz .LBB21_223
; %bb.222:
	v_mov_b32_e32 v1, 0
	global_store_dwordx2 v[2:3], v[0:1], off
.LBB21_223:
	s_mov_b64 s[2:3], 0
.LBB21_224:
	s_andn2_b64 vcc, exec, s[2:3]
	s_cbranch_vccnz .LBB21_226
; %bb.225:
	v_cvt_f16_f32_e32 v1, v0
	global_store_dword v[2:3], v1, off
.LBB21_226:
	s_mov_b64 s[2:3], 0
.LBB21_227:
	s_andn2_b64 vcc, exec, s[2:3]
	s_cbranch_vccnz .LBB21_236
; %bb.228:
	s_cmp_lt_i32 s4, 6
	s_mov_b64 s[2:3], -1
	s_cbranch_scc1 .LBB21_234
; %bb.229:
	s_cmp_gt_i32 s4, 6
	s_cbranch_scc0 .LBB21_231
; %bb.230:
	v_cvt_f64_f32_e32 v[4:5], v0
	s_mov_b64 s[2:3], 0
	global_store_dwordx2 v[2:3], v[4:5], off
.LBB21_231:
	s_andn2_b64 vcc, exec, s[2:3]
	s_cbranch_vccnz .LBB21_233
; %bb.232:
	global_store_dword v[2:3], v0, off
.LBB21_233:
	s_mov_b64 s[2:3], 0
.LBB21_234:
	s_andn2_b64 vcc, exec, s[2:3]
	s_cbranch_vccnz .LBB21_236
; %bb.235:
	v_cvt_f16_f32_e32 v1, v0
	global_store_short v[2:3], v1, off
.LBB21_236:
	s_mov_b64 s[2:3], 0
.LBB21_237:
	s_andn2_b64 vcc, exec, s[2:3]
	s_cbranch_vccnz .LBB21_253
; %bb.238:
	s_cmp_lt_i32 s4, 2
	s_mov_b64 s[2:3], -1
	s_cbranch_scc1 .LBB21_248
; %bb.239:
	s_cmp_lt_i32 s4, 3
	s_cbranch_scc1 .LBB21_245
; %bb.240:
	s_cmp_gt_i32 s4, 3
	s_cbranch_scc0 .LBB21_242
; %bb.241:
	v_trunc_f32_e32 v1, v0
	s_mov_b32 s2, 0x2f800000
	v_mul_f32_e64 v4, |v1|, s2
	v_floor_f32_e32 v4, v4
	s_mov_b32 s2, 0xcf800000
	v_cvt_u32_f32_e32 v5, v4
	v_fma_f32 v4, v4, s2, |v1|
	v_cvt_u32_f32_e32 v4, v4
	v_ashrrev_i32_e32 v1, 31, v1
	v_xor_b32_e32 v5, v5, v1
	s_mov_b64 s[2:3], 0
	v_xor_b32_e32 v4, v4, v1
	v_sub_co_u32_e32 v4, vcc, v4, v1
	s_nop 1
	v_subb_co_u32_e32 v5, vcc, v5, v1, vcc
	global_store_dwordx2 v[2:3], v[4:5], off
.LBB21_242:
	s_andn2_b64 vcc, exec, s[2:3]
	s_cbranch_vccnz .LBB21_244
; %bb.243:
	v_cvt_i32_f32_e32 v1, v0
	global_store_dword v[2:3], v1, off
.LBB21_244:
	s_mov_b64 s[2:3], 0
.LBB21_245:
	s_andn2_b64 vcc, exec, s[2:3]
	s_cbranch_vccnz .LBB21_247
; %bb.246:
	v_cvt_i32_f32_e32 v1, v0
	global_store_short v[2:3], v1, off
.LBB21_247:
	s_mov_b64 s[2:3], 0
.LBB21_248:
	s_andn2_b64 vcc, exec, s[2:3]
	s_cbranch_vccnz .LBB21_253
; %bb.249:
	s_cmp_gt_i32 s4, 0
	s_mov_b64 s[2:3], -1
	s_cbranch_scc0 .LBB21_251
; %bb.250:
	v_cvt_i32_f32_e32 v1, v0
	s_mov_b64 s[2:3], 0
	global_store_byte v[2:3], v1, off
.LBB21_251:
	s_andn2_b64 vcc, exec, s[2:3]
	s_cbranch_vccnz .LBB21_253
; %bb.252:
	v_trunc_f32_e32 v0, v0
	s_mov_b32 s2, 0x2f800000
	v_mul_f32_e64 v1, |v0|, s2
	v_floor_f32_e32 v1, v1
	s_mov_b32 s2, 0xcf800000
	v_fma_f32 v1, v1, s2, |v0|
	v_cvt_u32_f32_e32 v1, v1
	v_ashrrev_i32_e32 v0, 31, v0
	v_xor_b32_e32 v1, v1, v0
	v_sub_u32_e32 v0, v1, v0
	global_store_byte v[2:3], v0, off
.LBB21_253:
	s_branch .LBB21_138
.LBB21_254:
	s_mov_b64 s[2:3], 0
                                        ; implicit-def: $vgpr23
.LBB21_255:
	s_andn2_b64 s[4:5], s[38:39], exec
	s_and_b64 s[0:1], s[0:1], exec
	s_or_b64 s[42:43], s[4:5], s[0:1]
	s_orn2_b64 s[4:5], s[2:3], exec
.LBB21_256:
	s_or_b64 exec, exec, s[44:45]
	s_mov_b64 s[0:1], 0
	s_mov_b64 s[2:3], 0
                                        ; implicit-def: $sgpr10
                                        ; implicit-def: $vgpr2_vgpr3
                                        ; implicit-def: $vgpr0
	s_and_saveexec_b64 s[44:45], s[4:5]
	s_cbranch_execz .LBB21_467
; %bb.257:
	v_cmp_gt_i32_e32 vcc, s50, v23
	s_mov_b64 s[2:3], -1
	s_mov_b64 s[48:49], s[42:43]
	s_and_saveexec_b64 s[46:47], vcc
	s_cbranch_execz .LBB21_386
; %bb.258:
	s_getpc_b64 s[0:1]
	s_add_u32 s0, s0, _ZN2at6native6invokeIZZZNS0_12_GLOBAL__N_119airy_ai_kernel_cudaERNS_18TensorIteratorBaseEENKUlvE_clEvENKUlvE0_clEvEUlfE_i15function_traitsIS7_EEENT1_11result_typeERKT_PrKPcPKT0_PKN3c1010ScalarTypeEi@rel32@lo+4
	s_addc_u32 s1, s1, _ZN2at6native6invokeIZZZNS0_12_GLOBAL__N_119airy_ai_kernel_cudaERNS_18TensorIteratorBaseEENKUlvE_clEvENKUlvE0_clEvEUlfE_i15function_traitsIS7_EEENT1_11result_typeERKT_PrKPcPKT0_PKN3c1010ScalarTypeEi@rel32@hi+12
	v_mov_b32_e32 v0, s26
	v_mov_b32_e32 v1, s27
	;; [unrolled: 1-line block ×5, first 2 shown]
	s_swappc_b64 s[30:31], s[0:1]
	v_mul_lo_u32 v2, v23, s28
	v_ashrrev_i32_e32 v3, 31, v2
	s_and_b32 s8, s33, 0xff
	s_cmp_lt_i32 s8, 11
	v_lshl_add_u64 v[2:3], s[24:25], 0, v[2:3]
	s_cbranch_scc1 .LBB21_265
; %bb.259:
	s_and_b32 s9, 0xffff, s8
	s_cmp_gt_i32 s9, 25
	s_cbranch_scc0 .LBB21_266
; %bb.260:
	s_cmp_gt_i32 s9, 28
	s_cbranch_scc0 .LBB21_267
; %bb.261:
	;; [unrolled: 3-line block ×4, first 2 shown]
	s_mov_b64 s[4:5], 0
	s_mov_b64 s[0:1], -1
	s_cmp_eq_u32 s9, 46
	s_mov_b64 s[2:3], 0
	s_cbranch_scc0 .LBB21_274
; %bb.264:
	v_bfe_u32 v1, v0, 16, 1
	s_movk_i32 s0, 0x7fff
	v_add3_u32 v1, v0, v1, s0
	v_cmp_o_f32_e32 vcc, v0, v0
	v_mov_b32_e32 v4, 0x7fc0
	s_mov_b64 s[2:3], -1
	v_cndmask_b32_sdwa v1, v4, v1, vcc dst_sel:DWORD dst_unused:UNUSED_PAD src0_sel:DWORD src1_sel:WORD_1
	global_store_dword v[2:3], v1, off
	s_mov_b64 s[0:1], 0
	s_branch .LBB21_274
.LBB21_265:
	s_mov_b64 s[4:5], -1
	s_mov_b64 s[2:3], 0
	s_mov_b64 s[0:1], s[42:43]
	s_branch .LBB21_343
.LBB21_266:
	s_mov_b64 s[4:5], -1
	s_mov_b64 s[2:3], 0
	s_mov_b64 s[0:1], s[42:43]
	s_branch .LBB21_301
.LBB21_267:
	s_mov_b64 s[4:5], -1
	s_mov_b64 s[2:3], 0
	s_mov_b64 s[0:1], s[42:43]
	s_branch .LBB21_284
.LBB21_268:
	s_andn2_saveexec_b64 s[6:7], s[6:7]
	s_cbranch_execz .LBB21_168
.LBB21_269:
	s_mov_b32 s10, 0x46000000
	v_add_f32_e64 v1, |v0|, s10
	v_and_b32_e32 v1, 0xff, v1
	v_cmp_ne_u32_e32 vcc, 0, v1
	s_andn2_b64 s[4:5], s[4:5], exec
	s_and_b64 s[10:11], vcc, exec
	s_or_b64 s[4:5], s[4:5], s[10:11]
	s_or_b64 exec, exec, s[6:7]
	v_mov_b32_e32 v4, 0
	s_and_saveexec_b64 s[6:7], s[4:5]
	s_cbranch_execnz .LBB21_169
	s_branch .LBB21_170
.LBB21_270:
	s_mov_b64 s[4:5], -1
	s_mov_b64 s[2:3], 0
	s_mov_b64 s[0:1], s[42:43]
	s_branch .LBB21_280
.LBB21_271:
	s_andn2_saveexec_b64 s[6:7], s[6:7]
	s_cbranch_execz .LBB21_181
.LBB21_272:
	s_mov_b32 s10, 0x42800000
	v_add_f32_e64 v1, |v0|, s10
	v_and_b32_e32 v1, 0xff, v1
	v_cmp_ne_u32_e32 vcc, 0, v1
	s_andn2_b64 s[4:5], s[4:5], exec
	s_and_b64 s[10:11], vcc, exec
	s_or_b64 s[4:5], s[4:5], s[10:11]
	s_or_b64 exec, exec, s[6:7]
	v_mov_b32_e32 v4, 0
	s_and_saveexec_b64 s[6:7], s[4:5]
	s_cbranch_execnz .LBB21_182
	s_branch .LBB21_183
.LBB21_273:
	s_mov_b64 s[4:5], -1
	s_mov_b64 s[2:3], 0
	s_mov_b64 s[0:1], s[42:43]
.LBB21_274:
	s_and_b64 vcc, exec, s[4:5]
	s_cbranch_vccz .LBB21_279
; %bb.275:
	s_cmp_eq_u32 s9, 44
	s_mov_b64 s[0:1], -1
	s_cbranch_scc0 .LBB21_279
; %bb.276:
	v_bfe_u32 v1, v0, 23, 8
	s_movk_i32 s0, 0xff
	v_cmp_ne_u32_e32 vcc, s0, v1
	v_mov_b32_e32 v4, 0xff
	s_and_saveexec_b64 s[2:3], vcc
; %bb.277:
	s_mov_b32 s0, 0x3fffff
	v_and_b32_e32 v5, 0x400000, v0
	v_and_or_b32 v1, v0, s0, v1
	v_cmp_ne_u32_e32 vcc, 0, v5
	v_cmp_ne_u32_e64 s[0:1], 0, v1
	s_and_b64 s[0:1], vcc, s[0:1]
	v_lshrrev_b32_e32 v4, 23, v0
	v_cndmask_b32_e64 v1, 0, 1, s[0:1]
	v_add_u32_e32 v4, v4, v1
; %bb.278:
	s_or_b64 exec, exec, s[2:3]
	s_mov_b64 s[2:3], -1
	s_mov_b64 s[0:1], 0
	global_store_byte v[2:3], v4, off
.LBB21_279:
	s_mov_b64 s[4:5], 0
.LBB21_280:
	s_and_b64 vcc, exec, s[4:5]
	s_cbranch_vccz .LBB21_283
; %bb.281:
	s_cmp_eq_u32 s9, 29
	s_mov_b64 s[0:1], -1
	s_cbranch_scc0 .LBB21_283
; %bb.282:
	v_trunc_f32_e32 v1, v0
	v_mul_f32_e32 v4, 0x2f800000, v1
	v_floor_f32_e32 v4, v4
	v_fmamk_f32 v1, v4, 0xcf800000, v1
	v_cvt_u32_f32_e32 v5, v4
	v_cvt_u32_f32_e32 v4, v1
	s_mov_b64 s[2:3], -1
	s_mov_b64 s[0:1], 0
	s_mov_b64 s[4:5], 0
	global_store_dwordx2 v[2:3], v[4:5], off
	s_branch .LBB21_284
.LBB21_283:
	s_mov_b64 s[4:5], 0
.LBB21_284:
	s_and_b64 vcc, exec, s[4:5]
	s_cbranch_vccz .LBB21_300
; %bb.285:
	s_cmp_lt_i32 s9, 27
	s_mov_b64 s[2:3], -1
	s_cbranch_scc1 .LBB21_291
; %bb.286:
	v_cvt_u32_f32_e32 v1, v0
	s_cmp_gt_i32 s9, 27
	s_cbranch_scc0 .LBB21_288
; %bb.287:
	s_mov_b64 s[2:3], 0
	global_store_dword v[2:3], v1, off
.LBB21_288:
	s_andn2_b64 vcc, exec, s[2:3]
	s_cbranch_vccnz .LBB21_290
; %bb.289:
	global_store_short v[2:3], v1, off
.LBB21_290:
	s_mov_b64 s[2:3], 0
.LBB21_291:
	s_andn2_b64 vcc, exec, s[2:3]
	s_cbranch_vccnz .LBB21_299
; %bb.292:
	v_and_b32_e32 v1, 0x7fffffff, v0
	s_mov_b32 s2, 0x43800000
	v_cmp_gt_u32_e32 vcc, s2, v1
	v_mov_b32_e32 v4, 0x80
	s_and_saveexec_b64 s[2:3], vcc
	s_cbranch_execz .LBB21_298
; %bb.293:
	s_mov_b32 s4, 0x3bffffff
	v_cmp_lt_u32_e32 vcc, s4, v1
	s_mov_b64 s[4:5], 0
                                        ; implicit-def: $vgpr1
	s_and_saveexec_b64 s[6:7], vcc
	s_xor_b64 s[6:7], exec, s[6:7]
	s_cbranch_execz .LBB21_998
; %bb.294:
	v_bfe_u32 v1, v0, 20, 1
	s_mov_b32 s10, 0x487ffff
	v_add3_u32 v1, v0, v1, s10
	s_mov_b64 s[4:5], exec
	v_lshrrev_b32_e32 v1, 20, v1
	s_andn2_saveexec_b64 s[6:7], s[6:7]
	s_cbranch_execnz .LBB21_999
.LBB21_295:
	s_or_b64 exec, exec, s[6:7]
	v_mov_b32_e32 v4, 0
	s_and_saveexec_b64 s[6:7], s[4:5]
.LBB21_296:
	v_lshrrev_b32_e32 v4, 24, v0
	s_movk_i32 s4, 0x80
	v_and_or_b32 v4, v4, s4, v1
.LBB21_297:
	s_or_b64 exec, exec, s[6:7]
.LBB21_298:
	s_or_b64 exec, exec, s[2:3]
	global_store_byte v[2:3], v4, off
.LBB21_299:
	s_mov_b64 s[2:3], -1
.LBB21_300:
	s_mov_b64 s[4:5], 0
.LBB21_301:
	s_and_b64 vcc, exec, s[4:5]
	s_cbranch_vccz .LBB21_342
; %bb.302:
	s_cmp_gt_i32 s9, 22
	s_mov_b64 s[4:5], -1
	s_cbranch_scc0 .LBB21_334
; %bb.303:
	s_cmp_lt_i32 s9, 24
	s_mov_b64 s[2:3], -1
	s_cbranch_scc1 .LBB21_323
; %bb.304:
	s_cmp_gt_i32 s9, 24
	s_cbranch_scc0 .LBB21_312
; %bb.305:
	v_and_b32_e32 v1, 0x7fffffff, v0
	s_mov_b32 s2, 0x47800000
	v_cmp_gt_u32_e32 vcc, s2, v1
	v_mov_b32_e32 v4, 0x80
	s_and_saveexec_b64 s[2:3], vcc
	s_cbranch_execz .LBB21_311
; %bb.306:
	s_mov_b32 s4, 0x37ffffff
	v_cmp_lt_u32_e32 vcc, s4, v1
	s_mov_b64 s[4:5], 0
                                        ; implicit-def: $vgpr1
	s_and_saveexec_b64 s[6:7], vcc
	s_xor_b64 s[6:7], exec, s[6:7]
	s_cbranch_execz .LBB21_1005
; %bb.307:
	v_bfe_u32 v1, v0, 21, 1
	s_mov_b32 s10, 0x88fffff
	v_add3_u32 v1, v0, v1, s10
	s_mov_b64 s[4:5], exec
	v_lshrrev_b32_e32 v1, 21, v1
	s_andn2_saveexec_b64 s[6:7], s[6:7]
	s_cbranch_execnz .LBB21_1006
.LBB21_308:
	s_or_b64 exec, exec, s[6:7]
	v_mov_b32_e32 v4, 0
	s_and_saveexec_b64 s[6:7], s[4:5]
.LBB21_309:
	v_lshrrev_b32_e32 v4, 24, v0
	s_movk_i32 s4, 0x80
	v_and_or_b32 v4, v4, s4, v1
.LBB21_310:
	s_or_b64 exec, exec, s[6:7]
.LBB21_311:
	s_or_b64 exec, exec, s[2:3]
	s_mov_b64 s[2:3], 0
	global_store_byte v[2:3], v4, off
.LBB21_312:
	s_and_b64 vcc, exec, s[2:3]
	s_cbranch_vccz .LBB21_322
; %bb.313:
	v_and_b32_e32 v4, 0x7fffffff, v0
	s_mov_b32 s2, 0x43f00000
	v_cmp_gt_u32_e32 vcc, s2, v4
                                        ; implicit-def: $vgpr1
	s_and_saveexec_b64 s[2:3], vcc
	s_xor_b64 s[2:3], exec, s[2:3]
	s_cbranch_execz .LBB21_319
; %bb.314:
	s_mov_b32 s4, 0x3c7fffff
	v_cmp_lt_u32_e32 vcc, s4, v4
                                        ; implicit-def: $vgpr1
	s_and_saveexec_b64 s[4:5], vcc
	s_xor_b64 s[4:5], exec, s[4:5]
; %bb.315:
	v_bfe_u32 v1, v0, 20, 1
	s_mov_b32 s6, 0x407ffff
	v_add3_u32 v1, v0, v1, s6
	v_lshrrev_b32_e32 v4, 20, v1
	v_and_b32_e32 v1, 0xff00000, v1
	s_mov_b32 s6, 0x7f00000
	v_mov_b32_e32 v5, 0x7e
	v_cmp_ne_u32_e32 vcc, s6, v1
	s_nop 1
	v_cndmask_b32_e32 v1, v5, v4, vcc
; %bb.316:
	s_andn2_saveexec_b64 s[4:5], s[4:5]
; %bb.317:
	s_mov_b32 s6, 0x46800000
	v_add_f32_e64 v1, |v0|, s6
; %bb.318:
	s_or_b64 exec, exec, s[4:5]
                                        ; implicit-def: $vgpr4
.LBB21_319:
	s_andn2_saveexec_b64 s[2:3], s[2:3]
; %bb.320:
	s_mov_b32 s4, 0x7f800000
	v_mov_b32_e32 v1, 0x7e
	v_mov_b32_e32 v5, 0x7f
	v_cmp_lt_u32_e32 vcc, s4, v4
	s_nop 1
	v_cndmask_b32_e32 v1, v1, v5, vcc
; %bb.321:
	s_or_b64 exec, exec, s[2:3]
	v_lshrrev_b32_e32 v4, 24, v0
	s_movk_i32 s2, 0x80
	v_and_or_b32 v1, v4, s2, v1
	global_store_byte v[2:3], v1, off
.LBB21_322:
	s_mov_b64 s[2:3], 0
.LBB21_323:
	s_andn2_b64 vcc, exec, s[2:3]
	s_cbranch_vccnz .LBB21_333
; %bb.324:
	v_and_b32_e32 v4, 0x7fffffff, v0
	s_mov_b32 s2, 0x47800000
	v_cmp_gt_u32_e32 vcc, s2, v4
                                        ; implicit-def: $vgpr1
	s_and_saveexec_b64 s[2:3], vcc
	s_xor_b64 s[2:3], exec, s[2:3]
	s_cbranch_execz .LBB21_330
; %bb.325:
	s_mov_b32 s4, 0x387fffff
	v_cmp_lt_u32_e32 vcc, s4, v4
                                        ; implicit-def: $vgpr1
	s_and_saveexec_b64 s[4:5], vcc
	s_xor_b64 s[4:5], exec, s[4:5]
; %bb.326:
	v_bfe_u32 v1, v0, 21, 1
	s_mov_b32 s6, 0x80fffff
	v_add3_u32 v1, v0, v1, s6
	v_lshrrev_b32_e32 v1, 21, v1
; %bb.327:
	s_andn2_saveexec_b64 s[4:5], s[4:5]
; %bb.328:
	s_mov_b32 s6, 0x43000000
	v_add_f32_e64 v1, |v0|, s6
; %bb.329:
	s_or_b64 exec, exec, s[4:5]
                                        ; implicit-def: $vgpr4
.LBB21_330:
	s_andn2_saveexec_b64 s[2:3], s[2:3]
; %bb.331:
	s_mov_b32 s4, 0x7f800000
	v_mov_b32_e32 v1, 0x7c
	v_mov_b32_e32 v5, 0x7f
	v_cmp_lt_u32_e32 vcc, s4, v4
	s_nop 1
	v_cndmask_b32_e32 v1, v1, v5, vcc
; %bb.332:
	s_or_b64 exec, exec, s[2:3]
	v_lshrrev_b32_e32 v4, 24, v0
	s_movk_i32 s2, 0x80
	v_and_or_b32 v1, v4, s2, v1
	global_store_byte v[2:3], v1, off
.LBB21_333:
	s_mov_b64 s[4:5], 0
	s_mov_b64 s[2:3], -1
.LBB21_334:
	s_andn2_b64 vcc, exec, s[4:5]
	s_cbranch_vccnz .LBB21_342
; %bb.335:
	s_cmp_gt_i32 s9, 14
	s_mov_b64 s[4:5], -1
	s_cbranch_scc0 .LBB21_339
; %bb.336:
	s_cmp_eq_u32 s9, 15
	s_mov_b64 s[0:1], -1
	s_cbranch_scc0 .LBB21_338
; %bb.337:
	v_bfe_u32 v1, v0, 16, 1
	s_movk_i32 s0, 0x7fff
	v_add3_u32 v1, v0, v1, s0
	v_cmp_o_f32_e32 vcc, v0, v0
	v_mov_b32_e32 v4, 0x7fc0
	s_mov_b64 s[2:3], -1
	v_cndmask_b32_sdwa v1, v4, v1, vcc dst_sel:DWORD dst_unused:UNUSED_PAD src0_sel:DWORD src1_sel:WORD_1
	global_store_short v[2:3], v1, off
	s_mov_b64 s[0:1], 0
.LBB21_338:
	s_mov_b64 s[4:5], 0
.LBB21_339:
	s_and_b64 vcc, exec, s[4:5]
	s_cbranch_vccz .LBB21_342
; %bb.340:
	s_cmp_eq_u32 s9, 11
	s_mov_b64 s[0:1], -1
	s_cbranch_scc0 .LBB21_342
; %bb.341:
	v_cmp_neq_f32_e32 vcc, 0, v0
	s_mov_b64 s[2:3], -1
	s_mov_b64 s[0:1], 0
	v_cndmask_b32_e64 v1, 0, 1, vcc
	global_store_byte v[2:3], v1, off
.LBB21_342:
	s_mov_b64 s[4:5], 0
.LBB21_343:
	s_and_b64 vcc, exec, s[4:5]
	s_cbranch_vccz .LBB21_382
; %bb.344:
	s_and_b32 s4, 0xffff, s8
	s_cmp_lt_i32 s4, 5
	s_mov_b64 s[2:3], -1
	s_cbranch_scc1 .LBB21_365
; %bb.345:
	s_cmp_lt_i32 s4, 8
	s_cbranch_scc1 .LBB21_355
; %bb.346:
	s_cmp_lt_i32 s4, 9
	s_cbranch_scc1 .LBB21_352
; %bb.347:
	s_cmp_gt_i32 s4, 9
	s_cbranch_scc0 .LBB21_349
; %bb.348:
	v_mov_b32_e32 v6, 0
	v_cvt_f64_f32_e32 v[4:5], v0
	v_mov_b32_e32 v7, v6
	s_mov_b64 s[2:3], 0
	global_store_dwordx4 v[2:3], v[4:7], off
.LBB21_349:
	s_andn2_b64 vcc, exec, s[2:3]
	s_cbranch_vccnz .LBB21_351
; %bb.350:
	v_mov_b32_e32 v1, 0
	global_store_dwordx2 v[2:3], v[0:1], off
.LBB21_351:
	s_mov_b64 s[2:3], 0
.LBB21_352:
	s_andn2_b64 vcc, exec, s[2:3]
	s_cbranch_vccnz .LBB21_354
; %bb.353:
	v_cvt_f16_f32_e32 v1, v0
	global_store_dword v[2:3], v1, off
.LBB21_354:
	s_mov_b64 s[2:3], 0
.LBB21_355:
	s_andn2_b64 vcc, exec, s[2:3]
	s_cbranch_vccnz .LBB21_364
; %bb.356:
	s_cmp_lt_i32 s4, 6
	s_mov_b64 s[2:3], -1
	s_cbranch_scc1 .LBB21_362
; %bb.357:
	s_cmp_gt_i32 s4, 6
	s_cbranch_scc0 .LBB21_359
; %bb.358:
	v_cvt_f64_f32_e32 v[4:5], v0
	s_mov_b64 s[2:3], 0
	global_store_dwordx2 v[2:3], v[4:5], off
.LBB21_359:
	s_andn2_b64 vcc, exec, s[2:3]
	s_cbranch_vccnz .LBB21_361
; %bb.360:
	global_store_dword v[2:3], v0, off
.LBB21_361:
	s_mov_b64 s[2:3], 0
.LBB21_362:
	s_andn2_b64 vcc, exec, s[2:3]
	s_cbranch_vccnz .LBB21_364
; %bb.363:
	v_cvt_f16_f32_e32 v1, v0
	global_store_short v[2:3], v1, off
.LBB21_364:
	s_mov_b64 s[2:3], 0
.LBB21_365:
	s_andn2_b64 vcc, exec, s[2:3]
	s_cbranch_vccnz .LBB21_381
; %bb.366:
	s_cmp_lt_i32 s4, 2
	s_mov_b64 s[2:3], -1
	s_cbranch_scc1 .LBB21_376
; %bb.367:
	s_cmp_lt_i32 s4, 3
	s_cbranch_scc1 .LBB21_373
; %bb.368:
	s_cmp_gt_i32 s4, 3
	s_cbranch_scc0 .LBB21_370
; %bb.369:
	v_trunc_f32_e32 v1, v0
	s_mov_b32 s2, 0x2f800000
	v_mul_f32_e64 v4, |v1|, s2
	v_floor_f32_e32 v4, v4
	s_mov_b32 s2, 0xcf800000
	v_cvt_u32_f32_e32 v5, v4
	v_fma_f32 v4, v4, s2, |v1|
	v_cvt_u32_f32_e32 v4, v4
	v_ashrrev_i32_e32 v1, 31, v1
	v_xor_b32_e32 v5, v5, v1
	s_mov_b64 s[2:3], 0
	v_xor_b32_e32 v4, v4, v1
	v_sub_co_u32_e32 v4, vcc, v4, v1
	s_nop 1
	v_subb_co_u32_e32 v5, vcc, v5, v1, vcc
	global_store_dwordx2 v[2:3], v[4:5], off
.LBB21_370:
	s_andn2_b64 vcc, exec, s[2:3]
	s_cbranch_vccnz .LBB21_372
; %bb.371:
	v_cvt_i32_f32_e32 v1, v0
	global_store_dword v[2:3], v1, off
.LBB21_372:
	s_mov_b64 s[2:3], 0
.LBB21_373:
	s_andn2_b64 vcc, exec, s[2:3]
	s_cbranch_vccnz .LBB21_375
; %bb.374:
	v_cvt_i32_f32_e32 v1, v0
	global_store_short v[2:3], v1, off
.LBB21_375:
	s_mov_b64 s[2:3], 0
.LBB21_376:
	s_andn2_b64 vcc, exec, s[2:3]
	s_cbranch_vccnz .LBB21_381
; %bb.377:
	s_cmp_gt_i32 s4, 0
	s_mov_b64 s[2:3], -1
	s_cbranch_scc0 .LBB21_379
; %bb.378:
	v_cvt_i32_f32_e32 v1, v0
	s_mov_b64 s[2:3], 0
	global_store_byte v[2:3], v1, off
.LBB21_379:
	s_andn2_b64 vcc, exec, s[2:3]
	s_cbranch_vccnz .LBB21_381
; %bb.380:
	v_trunc_f32_e32 v0, v0
	s_mov_b32 s2, 0x2f800000
	v_mul_f32_e64 v1, |v0|, s2
	v_floor_f32_e32 v1, v1
	s_mov_b32 s2, 0xcf800000
	v_fma_f32 v1, v1, s2, |v0|
	v_cvt_u32_f32_e32 v1, v1
	v_ashrrev_i32_e32 v0, 31, v0
	v_xor_b32_e32 v1, v1, v0
	v_sub_u32_e32 v0, v1, v0
	global_store_byte v[2:3], v0, off
.LBB21_381:
	s_mov_b64 s[2:3], -1
.LBB21_382:
	s_andn2_b64 vcc, exec, s[2:3]
	s_cbranch_vccnz .LBB21_384
; %bb.383:
	v_add_u32_e32 v23, 0x80, v23
	s_mov_b64 s[2:3], -1
	s_branch .LBB21_385
.LBB21_384:
	s_mov_b64 s[2:3], 0
                                        ; implicit-def: $vgpr23
.LBB21_385:
	s_andn2_b64 s[4:5], s[42:43], exec
	s_and_b64 s[0:1], s[0:1], exec
	s_or_b64 s[48:49], s[4:5], s[0:1]
	s_orn2_b64 s[2:3], s[2:3], exec
.LBB21_386:
	s_or_b64 exec, exec, s[46:47]
	s_mov_b64 s[0:1], 0
	s_mov_b64 s[6:7], 0
                                        ; implicit-def: $sgpr10
                                        ; implicit-def: $vgpr2_vgpr3
                                        ; implicit-def: $vgpr0
	s_and_saveexec_b64 s[46:47], s[2:3]
	s_cbranch_execz .LBB21_466
; %bb.387:
	v_cmp_gt_i32_e32 vcc, s50, v23
	s_mov_b64 s[2:3], 0
	s_mov_b64 s[4:5], s[48:49]
                                        ; implicit-def: $sgpr10
                                        ; implicit-def: $vgpr2_vgpr3
                                        ; implicit-def: $vgpr0
	s_and_saveexec_b64 s[50:51], vcc
	s_cbranch_execz .LBB21_465
; %bb.388:
	s_getpc_b64 s[0:1]
	s_add_u32 s0, s0, _ZN2at6native6invokeIZZZNS0_12_GLOBAL__N_119airy_ai_kernel_cudaERNS_18TensorIteratorBaseEENKUlvE_clEvENKUlvE0_clEvEUlfE_i15function_traitsIS7_EEENT1_11result_typeERKT_PrKPcPKT0_PKN3c1010ScalarTypeEi@rel32@lo+4
	s_addc_u32 s1, s1, _ZN2at6native6invokeIZZZNS0_12_GLOBAL__N_119airy_ai_kernel_cudaERNS_18TensorIteratorBaseEENKUlvE_clEvENKUlvE0_clEvEUlfE_i15function_traitsIS7_EEENT1_11result_typeERKT_PrKPcPKT0_PKN3c1010ScalarTypeEi@rel32@hi+12
	v_mov_b32_e32 v0, s26
	v_mov_b32_e32 v1, s27
	;; [unrolled: 1-line block ×5, first 2 shown]
	s_swappc_b64 s[30:31], s[0:1]
	v_mul_lo_u32 v2, v23, s28
	v_ashrrev_i32_e32 v3, 31, v2
	s_and_b32 s10, s33, 0xff
	s_cmp_lt_i32 s10, 11
	v_lshl_add_u64 v[2:3], s[24:25], 0, v[2:3]
	s_cbranch_scc1 .LBB21_405
; %bb.389:
	s_and_b32 s11, 0xffff, s10
	s_mov_b64 s[4:5], -1
	s_cmp_gt_i32 s11, 25
	s_mov_b64 s[0:1], s[48:49]
	s_cbranch_scc0 .LBB21_423
; %bb.390:
	s_mov_b64 s[2:3], -1
	s_cmp_gt_i32 s11, 28
	s_mov_b64 s[0:1], s[48:49]
	s_cbranch_scc0 .LBB21_407
; %bb.391:
	s_cmp_gt_i32 s11, 43
	s_mov_b64 s[0:1], s[48:49]
	s_cbranch_scc0 .LBB21_402
; %bb.392:
	;; [unrolled: 4-line block ×3, first 2 shown]
	s_cmp_eq_u32 s11, 46
	s_mov_b64 s[0:1], -1
	s_cbranch_scc0 .LBB21_395
; %bb.394:
	v_bfe_u32 v1, v0, 16, 1
	s_movk_i32 s0, 0x7fff
	v_add3_u32 v1, v0, v1, s0
	v_cmp_o_f32_e32 vcc, v0, v0
	v_mov_b32_e32 v4, 0x7fc0
	s_mov_b64 s[0:1], 0
	v_cndmask_b32_sdwa v1, v4, v1, vcc dst_sel:DWORD dst_unused:UNUSED_PAD src0_sel:DWORD src1_sel:WORD_1
	global_store_dword v[2:3], v1, off
.LBB21_395:
	s_mov_b64 s[2:3], 0
.LBB21_396:
	s_and_b64 vcc, exec, s[2:3]
	s_cbranch_vccz .LBB21_401
; %bb.397:
	s_cmp_eq_u32 s11, 44
	s_mov_b64 s[0:1], -1
	s_cbranch_scc0 .LBB21_401
; %bb.398:
	v_bfe_u32 v1, v0, 23, 8
	s_movk_i32 s0, 0xff
	v_cmp_ne_u32_e32 vcc, s0, v1
	v_mov_b32_e32 v4, 0xff
	s_and_saveexec_b64 s[2:3], vcc
; %bb.399:
	s_mov_b32 s0, 0x3fffff
	v_and_b32_e32 v5, 0x400000, v0
	v_and_or_b32 v1, v0, s0, v1
	v_cmp_ne_u32_e32 vcc, 0, v5
	v_cmp_ne_u32_e64 s[0:1], 0, v1
	s_and_b64 s[0:1], vcc, s[0:1]
	v_lshrrev_b32_e32 v4, 23, v0
	v_cndmask_b32_e64 v1, 0, 1, s[0:1]
	v_add_u32_e32 v4, v4, v1
; %bb.400:
	s_or_b64 exec, exec, s[2:3]
	s_mov_b64 s[0:1], 0
	global_store_byte v[2:3], v4, off
.LBB21_401:
	s_mov_b64 s[2:3], 0
.LBB21_402:
	s_and_b64 vcc, exec, s[2:3]
	s_cbranch_vccz .LBB21_406
; %bb.403:
	s_cmp_eq_u32 s11, 29
	s_mov_b64 s[0:1], -1
	s_cbranch_scc0 .LBB21_406
; %bb.404:
	v_trunc_f32_e32 v1, v0
	v_mul_f32_e32 v4, 0x2f800000, v1
	v_floor_f32_e32 v4, v4
	v_fmamk_f32 v1, v4, 0xcf800000, v1
	v_cvt_u32_f32_e32 v5, v4
	v_cvt_u32_f32_e32 v4, v1
	s_mov_b64 s[0:1], 0
	s_mov_b64 s[2:3], 0
	global_store_dwordx2 v[2:3], v[4:5], off
	s_branch .LBB21_407
.LBB21_405:
	s_mov_b64 s[4:5], 0
	s_mov_b64 s[2:3], -1
	s_mov_b64 s[0:1], s[48:49]
	s_branch .LBB21_464
.LBB21_406:
	s_mov_b64 s[2:3], 0
.LBB21_407:
	s_and_b64 vcc, exec, s[2:3]
	s_cbranch_vccz .LBB21_422
; %bb.408:
	s_cmp_lt_i32 s11, 27
	s_mov_b64 s[2:3], -1
	s_cbranch_scc1 .LBB21_414
; %bb.409:
	v_cvt_u32_f32_e32 v1, v0
	s_cmp_gt_i32 s11, 27
	s_cbranch_scc0 .LBB21_411
; %bb.410:
	s_mov_b64 s[2:3], 0
	global_store_dword v[2:3], v1, off
.LBB21_411:
	s_andn2_b64 vcc, exec, s[2:3]
	s_cbranch_vccnz .LBB21_413
; %bb.412:
	global_store_short v[2:3], v1, off
.LBB21_413:
	s_mov_b64 s[2:3], 0
.LBB21_414:
	s_andn2_b64 vcc, exec, s[2:3]
	s_cbranch_vccnz .LBB21_422
; %bb.415:
	v_and_b32_e32 v1, 0x7fffffff, v0
	s_mov_b32 s2, 0x43800000
	v_cmp_gt_u32_e32 vcc, s2, v1
	v_mov_b32_e32 v4, 0x80
	s_and_saveexec_b64 s[2:3], vcc
	s_cbranch_execz .LBB21_421
; %bb.416:
	s_mov_b32 s4, 0x3bffffff
	v_cmp_lt_u32_e32 vcc, s4, v1
	s_mov_b64 s[4:5], 0
                                        ; implicit-def: $vgpr1
	s_and_saveexec_b64 s[6:7], vcc
	s_xor_b64 s[6:7], exec, s[6:7]
	s_cbranch_execz .LBB21_1007
; %bb.417:
	v_bfe_u32 v1, v0, 20, 1
	s_mov_b32 s8, 0x487ffff
	v_add3_u32 v1, v0, v1, s8
	s_mov_b64 s[4:5], exec
	v_lshrrev_b32_e32 v1, 20, v1
	s_andn2_saveexec_b64 s[6:7], s[6:7]
	s_cbranch_execnz .LBB21_1008
.LBB21_418:
	s_or_b64 exec, exec, s[6:7]
	v_mov_b32_e32 v4, 0
	s_and_saveexec_b64 s[6:7], s[4:5]
.LBB21_419:
	v_lshrrev_b32_e32 v4, 24, v0
	s_movk_i32 s4, 0x80
	v_and_or_b32 v4, v4, s4, v1
.LBB21_420:
	s_or_b64 exec, exec, s[6:7]
.LBB21_421:
	s_or_b64 exec, exec, s[2:3]
	global_store_byte v[2:3], v4, off
.LBB21_422:
	s_mov_b64 s[4:5], 0
.LBB21_423:
	s_mov_b64 s[2:3], 0
	s_and_b64 vcc, exec, s[4:5]
	s_cbranch_vccz .LBB21_463
; %bb.424:
	s_cmp_gt_i32 s11, 22
	s_mov_b64 s[4:5], -1
	s_cbranch_scc0 .LBB21_456
; %bb.425:
	s_cmp_lt_i32 s11, 24
	s_cbranch_scc1 .LBB21_445
; %bb.426:
	s_cmp_gt_i32 s11, 24
	s_cbranch_scc0 .LBB21_434
; %bb.427:
	v_and_b32_e32 v1, 0x7fffffff, v0
	s_mov_b32 s4, 0x47800000
	v_cmp_gt_u32_e32 vcc, s4, v1
	v_mov_b32_e32 v4, 0x80
	s_and_saveexec_b64 s[4:5], vcc
	s_cbranch_execz .LBB21_433
; %bb.428:
	s_mov_b32 s6, 0x37ffffff
	v_cmp_lt_u32_e32 vcc, s6, v1
	s_mov_b64 s[6:7], 0
                                        ; implicit-def: $vgpr1
	s_and_saveexec_b64 s[8:9], vcc
	s_xor_b64 s[8:9], exec, s[8:9]
	s_cbranch_execz .LBB21_1011
; %bb.429:
	v_bfe_u32 v1, v0, 21, 1
	s_mov_b32 s12, 0x88fffff
	v_add3_u32 v1, v0, v1, s12
	s_mov_b64 s[6:7], exec
	v_lshrrev_b32_e32 v1, 21, v1
	s_andn2_saveexec_b64 s[8:9], s[8:9]
	s_cbranch_execnz .LBB21_1012
.LBB21_430:
	s_or_b64 exec, exec, s[8:9]
	v_mov_b32_e32 v4, 0
	s_and_saveexec_b64 s[8:9], s[6:7]
.LBB21_431:
	v_lshrrev_b32_e32 v4, 24, v0
	s_movk_i32 s6, 0x80
	v_and_or_b32 v4, v4, s6, v1
.LBB21_432:
	s_or_b64 exec, exec, s[8:9]
.LBB21_433:
	s_or_b64 exec, exec, s[4:5]
	s_mov_b64 s[4:5], 0
	global_store_byte v[2:3], v4, off
.LBB21_434:
	s_and_b64 vcc, exec, s[4:5]
	s_cbranch_vccz .LBB21_444
; %bb.435:
	v_and_b32_e32 v4, 0x7fffffff, v0
	s_mov_b32 s4, 0x43f00000
	v_cmp_gt_u32_e32 vcc, s4, v4
                                        ; implicit-def: $vgpr1
	s_and_saveexec_b64 s[4:5], vcc
	s_xor_b64 s[4:5], exec, s[4:5]
	s_cbranch_execz .LBB21_441
; %bb.436:
	s_mov_b32 s6, 0x3c7fffff
	v_cmp_lt_u32_e32 vcc, s6, v4
                                        ; implicit-def: $vgpr1
	s_and_saveexec_b64 s[6:7], vcc
	s_xor_b64 s[6:7], exec, s[6:7]
; %bb.437:
	v_bfe_u32 v1, v0, 20, 1
	s_mov_b32 s8, 0x407ffff
	v_add3_u32 v1, v0, v1, s8
	v_lshrrev_b32_e32 v4, 20, v1
	v_and_b32_e32 v1, 0xff00000, v1
	s_mov_b32 s8, 0x7f00000
	v_mov_b32_e32 v5, 0x7e
	v_cmp_ne_u32_e32 vcc, s8, v1
	s_nop 1
	v_cndmask_b32_e32 v1, v5, v4, vcc
; %bb.438:
	s_andn2_saveexec_b64 s[6:7], s[6:7]
; %bb.439:
	s_mov_b32 s8, 0x46800000
	v_add_f32_e64 v1, |v0|, s8
; %bb.440:
	s_or_b64 exec, exec, s[6:7]
                                        ; implicit-def: $vgpr4
.LBB21_441:
	s_andn2_saveexec_b64 s[4:5], s[4:5]
; %bb.442:
	s_mov_b32 s6, 0x7f800000
	v_mov_b32_e32 v1, 0x7e
	v_mov_b32_e32 v5, 0x7f
	v_cmp_lt_u32_e32 vcc, s6, v4
	s_nop 1
	v_cndmask_b32_e32 v1, v1, v5, vcc
; %bb.443:
	s_or_b64 exec, exec, s[4:5]
	v_lshrrev_b32_e32 v4, 24, v0
	s_movk_i32 s4, 0x80
	v_and_or_b32 v1, v4, s4, v1
	global_store_byte v[2:3], v1, off
.LBB21_444:
	s_mov_b64 s[4:5], 0
.LBB21_445:
	s_andn2_b64 vcc, exec, s[4:5]
	s_cbranch_vccnz .LBB21_455
; %bb.446:
	v_and_b32_e32 v4, 0x7fffffff, v0
	s_mov_b32 s4, 0x47800000
	v_cmp_gt_u32_e32 vcc, s4, v4
                                        ; implicit-def: $vgpr1
	s_and_saveexec_b64 s[4:5], vcc
	s_xor_b64 s[4:5], exec, s[4:5]
	s_cbranch_execz .LBB21_452
; %bb.447:
	s_mov_b32 s6, 0x387fffff
	v_cmp_lt_u32_e32 vcc, s6, v4
                                        ; implicit-def: $vgpr1
	s_and_saveexec_b64 s[6:7], vcc
	s_xor_b64 s[6:7], exec, s[6:7]
; %bb.448:
	v_bfe_u32 v1, v0, 21, 1
	s_mov_b32 s8, 0x80fffff
	v_add3_u32 v1, v0, v1, s8
	v_lshrrev_b32_e32 v1, 21, v1
; %bb.449:
	s_andn2_saveexec_b64 s[6:7], s[6:7]
; %bb.450:
	s_mov_b32 s8, 0x43000000
	v_add_f32_e64 v1, |v0|, s8
; %bb.451:
	s_or_b64 exec, exec, s[6:7]
                                        ; implicit-def: $vgpr4
.LBB21_452:
	s_andn2_saveexec_b64 s[4:5], s[4:5]
; %bb.453:
	s_mov_b32 s6, 0x7f800000
	v_mov_b32_e32 v1, 0x7c
	v_mov_b32_e32 v5, 0x7f
	v_cmp_lt_u32_e32 vcc, s6, v4
	s_nop 1
	v_cndmask_b32_e32 v1, v1, v5, vcc
; %bb.454:
	s_or_b64 exec, exec, s[4:5]
	v_lshrrev_b32_e32 v4, 24, v0
	s_movk_i32 s4, 0x80
	v_and_or_b32 v1, v4, s4, v1
	global_store_byte v[2:3], v1, off
.LBB21_455:
	s_mov_b64 s[4:5], 0
.LBB21_456:
	s_andn2_b64 vcc, exec, s[4:5]
	s_mov_b64 s[4:5], 0
	s_cbranch_vccnz .LBB21_464
; %bb.457:
	s_cmp_gt_i32 s11, 14
	s_mov_b64 s[6:7], -1
	s_cbranch_scc0 .LBB21_461
; %bb.458:
	s_cmp_eq_u32 s11, 15
	s_mov_b64 s[0:1], -1
	s_cbranch_scc0 .LBB21_460
; %bb.459:
	v_bfe_u32 v1, v0, 16, 1
	s_movk_i32 s0, 0x7fff
	v_add3_u32 v1, v0, v1, s0
	v_cmp_o_f32_e32 vcc, v0, v0
	v_mov_b32_e32 v4, 0x7fc0
	s_mov_b64 s[0:1], 0
	v_cndmask_b32_sdwa v1, v4, v1, vcc dst_sel:DWORD dst_unused:UNUSED_PAD src0_sel:DWORD src1_sel:WORD_1
	global_store_short v[2:3], v1, off
.LBB21_460:
	s_mov_b64 s[6:7], 0
.LBB21_461:
	s_and_b64 vcc, exec, s[6:7]
	s_cbranch_vccz .LBB21_464
; %bb.462:
	s_cmp_lg_u32 s11, 11
	s_cselect_b64 s[6:7], -1, 0
	s_andn2_b64 s[0:1], s[0:1], exec
	s_and_b64 s[6:7], s[6:7], exec
	s_mov_b64 s[4:5], -1
	s_or_b64 s[0:1], s[0:1], s[6:7]
	s_branch .LBB21_464
.LBB21_463:
	s_mov_b64 s[4:5], 0
.LBB21_464:
	s_and_b64 s[6:7], s[2:3], exec
	s_and_b64 s[2:3], s[4:5], exec
	s_andn2_b64 s[4:5], s[48:49], exec
	s_and_b64 s[0:1], s[0:1], exec
	s_or_b64 s[4:5], s[4:5], s[0:1]
.LBB21_465:
	s_or_b64 exec, exec, s[50:51]
	s_and_b64 s[0:1], s[2:3], exec
	s_andn2_b64 s[2:3], s[48:49], exec
	s_and_b64 s[4:5], s[4:5], exec
	s_and_b64 s[6:7], s[6:7], exec
	s_or_b64 s[48:49], s[2:3], s[4:5]
.LBB21_466:
	s_or_b64 exec, exec, s[46:47]
	s_and_b64 s[2:3], s[6:7], exec
	s_andn2_b64 s[4:5], s[42:43], exec
	s_and_b64 s[6:7], s[48:49], exec
	s_and_b64 s[0:1], s[0:1], exec
	s_or_b64 s[42:43], s[4:5], s[6:7]
.LBB21_467:
	s_or_b64 exec, exec, s[44:45]
	s_and_b64 s[44:45], s[0:1], exec
	s_andn2_b64 s[0:1], s[38:39], exec
	s_and_b64 s[4:5], s[42:43], exec
	s_and_b64 s[2:3], s[2:3], exec
	s_or_b64 s[38:39], s[0:1], s[4:5]
	s_or_b64 exec, exec, s[40:41]
	s_mov_b64 s[0:1], 0
	s_and_saveexec_b64 s[4:5], s[38:39]
	s_cbranch_execz .LBB21_134
.LBB21_468:
	s_mov_b64 s[0:1], exec
	s_andn2_b64 s[44:45], s[44:45], exec
	s_trap 2
	s_or_b64 exec, exec, s[4:5]
	s_and_saveexec_b64 s[4:5], s[44:45]
	s_xor_b64 s[4:5], exec, s[4:5]
	s_cbranch_execnz .LBB21_135
.LBB21_469:
	s_or_b64 exec, exec, s[4:5]
	s_and_saveexec_b64 s[4:5], s[2:3]
	s_xor_b64 s[2:3], exec, s[4:5]
	s_cbranch_execz .LBB21_507
.LBB21_470:
	s_sext_i32_i16 s6, s10
	s_cmp_lt_i32 s6, 5
	s_mov_b64 s[4:5], -1
	s_cbranch_scc1 .LBB21_491
; %bb.471:
	s_cmp_lt_i32 s6, 8
	s_cbranch_scc1 .LBB21_481
; %bb.472:
	s_cmp_lt_i32 s6, 9
	s_cbranch_scc1 .LBB21_478
; %bb.473:
	s_cmp_gt_i32 s6, 9
	s_cbranch_scc0 .LBB21_475
; %bb.474:
	v_mov_b32_e32 v6, 0
	v_cvt_f64_f32_e32 v[4:5], v0
	v_mov_b32_e32 v7, v6
	s_mov_b64 s[4:5], 0
	global_store_dwordx4 v[2:3], v[4:7], off
.LBB21_475:
	s_andn2_b64 vcc, exec, s[4:5]
	s_cbranch_vccnz .LBB21_477
; %bb.476:
	v_mov_b32_e32 v1, 0
	global_store_dwordx2 v[2:3], v[0:1], off
.LBB21_477:
	s_mov_b64 s[4:5], 0
.LBB21_478:
	s_andn2_b64 vcc, exec, s[4:5]
	s_cbranch_vccnz .LBB21_480
; %bb.479:
	v_cvt_f16_f32_e32 v1, v0
	global_store_dword v[2:3], v1, off
.LBB21_480:
	s_mov_b64 s[4:5], 0
.LBB21_481:
	s_andn2_b64 vcc, exec, s[4:5]
	s_cbranch_vccnz .LBB21_490
; %bb.482:
	s_sext_i32_i16 s6, s10
	s_cmp_lt_i32 s6, 6
	s_mov_b64 s[4:5], -1
	s_cbranch_scc1 .LBB21_488
; %bb.483:
	s_cmp_gt_i32 s6, 6
	s_cbranch_scc0 .LBB21_485
; %bb.484:
	v_cvt_f64_f32_e32 v[4:5], v0
	s_mov_b64 s[4:5], 0
	global_store_dwordx2 v[2:3], v[4:5], off
.LBB21_485:
	s_andn2_b64 vcc, exec, s[4:5]
	s_cbranch_vccnz .LBB21_487
; %bb.486:
	global_store_dword v[2:3], v0, off
.LBB21_487:
	s_mov_b64 s[4:5], 0
.LBB21_488:
	s_andn2_b64 vcc, exec, s[4:5]
	s_cbranch_vccnz .LBB21_490
; %bb.489:
	v_cvt_f16_f32_e32 v1, v0
	global_store_short v[2:3], v1, off
.LBB21_490:
	s_mov_b64 s[4:5], 0
.LBB21_491:
	s_andn2_b64 vcc, exec, s[4:5]
	s_cbranch_vccnz .LBB21_507
; %bb.492:
	s_sext_i32_i16 s6, s10
	s_cmp_lt_i32 s6, 2
	s_mov_b64 s[4:5], -1
	s_cbranch_scc1 .LBB21_502
; %bb.493:
	s_cmp_lt_i32 s6, 3
	s_cbranch_scc1 .LBB21_499
; %bb.494:
	s_cmp_gt_i32 s6, 3
	s_cbranch_scc0 .LBB21_496
; %bb.495:
	v_trunc_f32_e32 v1, v0
	s_mov_b32 s4, 0x2f800000
	v_mul_f32_e64 v4, |v1|, s4
	v_floor_f32_e32 v4, v4
	s_mov_b32 s4, 0xcf800000
	v_cvt_u32_f32_e32 v5, v4
	v_fma_f32 v4, v4, s4, |v1|
	v_cvt_u32_f32_e32 v4, v4
	v_ashrrev_i32_e32 v1, 31, v1
	v_xor_b32_e32 v5, v5, v1
	s_mov_b64 s[4:5], 0
	v_xor_b32_e32 v4, v4, v1
	v_sub_co_u32_e32 v4, vcc, v4, v1
	s_nop 1
	v_subb_co_u32_e32 v5, vcc, v5, v1, vcc
	global_store_dwordx2 v[2:3], v[4:5], off
.LBB21_496:
	s_andn2_b64 vcc, exec, s[4:5]
	s_cbranch_vccnz .LBB21_498
; %bb.497:
	v_cvt_i32_f32_e32 v1, v0
	global_store_dword v[2:3], v1, off
.LBB21_498:
	s_mov_b64 s[4:5], 0
.LBB21_499:
	s_andn2_b64 vcc, exec, s[4:5]
	s_cbranch_vccnz .LBB21_501
; %bb.500:
	v_cvt_i32_f32_e32 v1, v0
	global_store_short v[2:3], v1, off
.LBB21_501:
	s_mov_b64 s[4:5], 0
.LBB21_502:
	s_andn2_b64 vcc, exec, s[4:5]
	s_cbranch_vccnz .LBB21_507
; %bb.503:
	s_sext_i32_i16 s4, s10
	s_cmp_gt_i32 s4, 0
	s_mov_b64 s[4:5], -1
	s_cbranch_scc0 .LBB21_505
; %bb.504:
	v_cvt_i32_f32_e32 v1, v0
	s_mov_b64 s[4:5], 0
	global_store_byte v[2:3], v1, off
.LBB21_505:
	s_andn2_b64 vcc, exec, s[4:5]
	s_cbranch_vccnz .LBB21_507
; %bb.506:
	v_trunc_f32_e32 v0, v0
	s_mov_b32 s4, 0x2f800000
	v_mul_f32_e64 v1, |v0|, s4
	v_floor_f32_e32 v1, v1
	s_mov_b32 s4, 0xcf800000
	v_fma_f32 v1, v1, s4, |v0|
	v_cvt_u32_f32_e32 v1, v1
	v_ashrrev_i32_e32 v0, 31, v0
	v_xor_b32_e32 v1, v1, v0
	v_sub_u32_e32 v0, v1, v0
	global_store_byte v[2:3], v0, off
.LBB21_507:
	s_or_b64 exec, exec, s[2:3]
	s_and_b64 s[38:39], s[0:1], exec
                                        ; implicit-def: $vgpr23
                                        ; implicit-def: $vgpr25
                                        ; implicit-def: $vgpr27
.LBB21_508:
	s_or_saveexec_b64 s[36:37], s[36:37]
	s_mov_b64 s[0:1], 0
                                        ; implicit-def: $sgpr12
                                        ; implicit-def: $vgpr2_vgpr3
                                        ; implicit-def: $vgpr0
	s_xor_b64 exec, exec, s[36:37]
	s_cbranch_execz .LBB21_941
; %bb.509:
	s_getpc_b64 s[34:35]
	s_add_u32 s34, s34, _ZN2at6native6invokeIZZZNS0_12_GLOBAL__N_119airy_ai_kernel_cudaERNS_18TensorIteratorBaseEENKUlvE_clEvENKUlvE0_clEvEUlfE_i15function_traitsIS7_EEENT1_11result_typeERKT_PrKPcPKT0_PKN3c1010ScalarTypeEi@rel32@lo+4
	s_addc_u32 s35, s35, _ZN2at6native6invokeIZZZNS0_12_GLOBAL__N_119airy_ai_kernel_cudaERNS_18TensorIteratorBaseEENKUlvE_clEvENKUlvE0_clEvEUlfE_i15function_traitsIS7_EEENT1_11result_typeERKT_PrKPcPKT0_PKN3c1010ScalarTypeEi@rel32@hi+12
	v_mov_b32_e32 v0, s26
	v_mov_b32_e32 v1, s27
	;; [unrolled: 1-line block ×5, first 2 shown]
	v_add_u32_e32 v22, 0x80, v23
	v_add_u32_e32 v28, 0x100, v23
	s_swappc_b64 s[30:31], s[34:35]
	v_mov_b32_e32 v26, v0
	v_mov_b32_e32 v0, s26
	v_mov_b32_e32 v1, s27
	v_mov_b32_e32 v2, s29
	v_mov_b32_e32 v3, v25
	v_mov_b32_e32 v4, v22
	s_swappc_b64 s[30:31], s[34:35]
	v_mov_b32_e32 v24, v0
	v_mov_b32_e32 v0, s26
	v_mov_b32_e32 v1, s27
	v_mov_b32_e32 v2, s29
	v_mov_b32_e32 v3, v25
	v_mov_b32_e32 v4, v28
	;; [unrolled: 7-line block ×3, first 2 shown]
	s_swappc_b64 s[30:31], s[34:35]
	v_mul_lo_u32 v2, s28, v23
	v_ashrrev_i32_e32 v3, 31, v2
	s_and_b32 s12, s33, 0xff
	s_cmp_lt_i32 s12, 11
	v_lshl_add_u64 v[4:5], s[24:25], 0, v[2:3]
	s_cbranch_scc1 .LBB21_588
; %bb.510:
	s_and_b32 s10, 0xffff, s12
	s_mov_b64 s[2:3], -1
	s_mov_b64 s[4:5], 0
	s_cmp_gt_i32 s10, 25
	s_mov_b64 s[6:7], 0
	s_mov_b64 s[0:1], 0
	s_cbranch_scc0 .LBB21_543
; %bb.511:
	s_cmp_gt_i32 s10, 28
	s_cbranch_scc0 .LBB21_526
; %bb.512:
	s_cmp_gt_i32 s10, 43
	s_cbranch_scc0 .LBB21_522
; %bb.513:
	s_cmp_gt_i32 s10, 45
	s_cbranch_scc0 .LBB21_516
; %bb.514:
	s_mov_b64 s[0:1], -1
	s_mov_b64 s[2:3], 0
	s_cmp_eq_u32 s10, 46
	s_cbranch_scc0 .LBB21_516
; %bb.515:
	v_bfe_u32 v1, v26, 16, 1
	s_movk_i32 s0, 0x7fff
	v_add3_u32 v1, v26, v1, s0
	v_cmp_o_f32_e32 vcc, v26, v26
	v_mov_b32_e32 v3, 0x7fc0
	s_mov_b64 s[0:1], 0
	v_cndmask_b32_sdwa v1, v3, v1, vcc dst_sel:DWORD dst_unused:UNUSED_PAD src0_sel:DWORD src1_sel:WORD_1
	global_store_dword v[4:5], v1, off
	s_mov_b64 s[6:7], -1
.LBB21_516:
	s_and_b64 vcc, exec, s[2:3]
	s_cbranch_vccz .LBB21_521
; %bb.517:
	s_cmp_eq_u32 s10, 44
	s_mov_b64 s[0:1], -1
	s_cbranch_scc0 .LBB21_521
; %bb.518:
	v_bfe_u32 v1, v26, 23, 8
	s_movk_i32 s0, 0xff
	v_cmp_ne_u32_e32 vcc, s0, v1
	v_mov_b32_e32 v3, 0xff
	s_and_saveexec_b64 s[2:3], vcc
; %bb.519:
	s_mov_b32 s0, 0x3fffff
	v_and_b32_e32 v6, 0x400000, v26
	v_and_or_b32 v1, v26, s0, v1
	v_cmp_ne_u32_e32 vcc, 0, v6
	v_cmp_ne_u32_e64 s[0:1], 0, v1
	s_and_b64 s[0:1], vcc, s[0:1]
	v_lshrrev_b32_e32 v3, 23, v26
	v_cndmask_b32_e64 v1, 0, 1, s[0:1]
	v_add_u32_e32 v3, v3, v1
; %bb.520:
	s_or_b64 exec, exec, s[2:3]
	s_mov_b64 s[0:1], 0
	s_mov_b64 s[6:7], -1
	global_store_byte v[4:5], v3, off
.LBB21_521:
	s_mov_b64 s[2:3], 0
.LBB21_522:
	s_and_b64 vcc, exec, s[2:3]
	s_cbranch_vccz .LBB21_525
; %bb.523:
	s_cmp_eq_u32 s10, 29
	s_mov_b64 s[0:1], -1
	s_cbranch_scc0 .LBB21_525
; %bb.524:
	v_trunc_f32_e32 v1, v26
	v_mul_f32_e32 v3, 0x2f800000, v1
	v_floor_f32_e32 v3, v3
	v_fmamk_f32 v1, v3, 0xcf800000, v1
	v_cvt_u32_f32_e32 v7, v3
	v_cvt_u32_f32_e32 v6, v1
	s_mov_b64 s[0:1], 0
	s_mov_b64 s[6:7], -1
	global_store_dwordx2 v[4:5], v[6:7], off
.LBB21_525:
	s_mov_b64 s[2:3], 0
.LBB21_526:
	s_and_b64 vcc, exec, s[2:3]
	s_cbranch_vccz .LBB21_542
; %bb.527:
	s_cmp_lt_i32 s10, 27
	s_mov_b64 s[2:3], -1
	s_cbranch_scc1 .LBB21_533
; %bb.528:
	v_cvt_u32_f32_e32 v1, v26
	s_cmp_gt_i32 s10, 27
	s_cbranch_scc0 .LBB21_530
; %bb.529:
	s_mov_b64 s[2:3], 0
	global_store_dword v[4:5], v1, off
.LBB21_530:
	s_andn2_b64 vcc, exec, s[2:3]
	s_cbranch_vccnz .LBB21_532
; %bb.531:
	global_store_short v[4:5], v1, off
.LBB21_532:
	s_mov_b64 s[2:3], 0
.LBB21_533:
	s_andn2_b64 vcc, exec, s[2:3]
	s_cbranch_vccnz .LBB21_541
; %bb.534:
	v_and_b32_e32 v1, 0x7fffffff, v26
	s_mov_b32 s2, 0x43800000
	v_cmp_gt_u32_e32 vcc, s2, v1
	v_mov_b32_e32 v3, 0x80
	s_and_saveexec_b64 s[2:3], vcc
	s_cbranch_execz .LBB21_540
; %bb.535:
	s_mov_b32 s6, 0x3bffffff
	v_cmp_lt_u32_e32 vcc, s6, v1
	s_mov_b64 s[6:7], 0
                                        ; implicit-def: $vgpr1
	s_and_saveexec_b64 s[8:9], vcc
	s_xor_b64 s[8:9], exec, s[8:9]
	s_cbranch_execz .LBB21_985
; %bb.536:
	v_bfe_u32 v1, v26, 20, 1
	s_mov_b32 s11, 0x487ffff
	v_add3_u32 v1, v26, v1, s11
	s_mov_b64 s[6:7], exec
	v_lshrrev_b32_e32 v1, 20, v1
	s_andn2_saveexec_b64 s[8:9], s[8:9]
	s_cbranch_execnz .LBB21_986
.LBB21_537:
	s_or_b64 exec, exec, s[8:9]
	v_mov_b32_e32 v3, 0
	s_and_saveexec_b64 s[8:9], s[6:7]
.LBB21_538:
	v_lshrrev_b32_e32 v3, 24, v26
	s_movk_i32 s6, 0x80
	v_and_or_b32 v3, v3, s6, v1
.LBB21_539:
	s_or_b64 exec, exec, s[8:9]
.LBB21_540:
	s_or_b64 exec, exec, s[2:3]
	global_store_byte v[4:5], v3, off
.LBB21_541:
	s_mov_b64 s[6:7], -1
.LBB21_542:
	s_mov_b64 s[2:3], 0
.LBB21_543:
	s_and_b64 vcc, exec, s[2:3]
	s_cbranch_vccz .LBB21_583
; %bb.544:
	s_cmp_gt_i32 s10, 22
	s_mov_b64 s[2:3], -1
	s_cbranch_scc0 .LBB21_576
; %bb.545:
	s_cmp_lt_i32 s10, 24
	s_cbranch_scc1 .LBB21_565
; %bb.546:
	s_cmp_gt_i32 s10, 24
	s_cbranch_scc0 .LBB21_554
; %bb.547:
	v_and_b32_e32 v1, 0x7fffffff, v26
	s_mov_b32 s2, 0x47800000
	v_cmp_gt_u32_e32 vcc, s2, v1
	v_mov_b32_e32 v3, 0x80
	s_and_saveexec_b64 s[2:3], vcc
	s_cbranch_execz .LBB21_553
; %bb.548:
	s_mov_b32 s4, 0x37ffffff
	v_cmp_lt_u32_e32 vcc, s4, v1
	s_mov_b64 s[4:5], 0
                                        ; implicit-def: $vgpr1
	s_and_saveexec_b64 s[6:7], vcc
	s_xor_b64 s[6:7], exec, s[6:7]
	s_cbranch_execz .LBB21_988
; %bb.549:
	v_bfe_u32 v1, v26, 21, 1
	s_mov_b32 s8, 0x88fffff
	v_add3_u32 v1, v26, v1, s8
	s_mov_b64 s[4:5], exec
	v_lshrrev_b32_e32 v1, 21, v1
	s_andn2_saveexec_b64 s[6:7], s[6:7]
	s_cbranch_execnz .LBB21_989
.LBB21_550:
	s_or_b64 exec, exec, s[6:7]
	v_mov_b32_e32 v3, 0
	s_and_saveexec_b64 s[6:7], s[4:5]
.LBB21_551:
	v_lshrrev_b32_e32 v3, 24, v26
	s_movk_i32 s4, 0x80
	v_and_or_b32 v3, v3, s4, v1
.LBB21_552:
	s_or_b64 exec, exec, s[6:7]
.LBB21_553:
	s_or_b64 exec, exec, s[2:3]
	s_mov_b64 s[2:3], 0
	global_store_byte v[4:5], v3, off
.LBB21_554:
	s_and_b64 vcc, exec, s[2:3]
	s_cbranch_vccz .LBB21_564
; %bb.555:
	v_and_b32_e32 v3, 0x7fffffff, v26
	s_mov_b32 s2, 0x43f00000
	v_cmp_gt_u32_e32 vcc, s2, v3
                                        ; implicit-def: $vgpr1
	s_and_saveexec_b64 s[2:3], vcc
	s_xor_b64 s[2:3], exec, s[2:3]
	s_cbranch_execz .LBB21_561
; %bb.556:
	s_mov_b32 s4, 0x3c7fffff
	v_cmp_lt_u32_e32 vcc, s4, v3
                                        ; implicit-def: $vgpr1
	s_and_saveexec_b64 s[4:5], vcc
	s_xor_b64 s[4:5], exec, s[4:5]
; %bb.557:
	v_bfe_u32 v1, v26, 20, 1
	s_mov_b32 s6, 0x407ffff
	v_add3_u32 v1, v26, v1, s6
	v_lshrrev_b32_e32 v3, 20, v1
	v_and_b32_e32 v1, 0xff00000, v1
	s_mov_b32 s6, 0x7f00000
	v_mov_b32_e32 v6, 0x7e
	v_cmp_ne_u32_e32 vcc, s6, v1
	s_nop 1
	v_cndmask_b32_e32 v1, v6, v3, vcc
; %bb.558:
	s_andn2_saveexec_b64 s[4:5], s[4:5]
; %bb.559:
	s_mov_b32 s6, 0x46800000
	v_add_f32_e64 v1, |v26|, s6
; %bb.560:
	s_or_b64 exec, exec, s[4:5]
                                        ; implicit-def: $vgpr3
.LBB21_561:
	s_andn2_saveexec_b64 s[2:3], s[2:3]
; %bb.562:
	s_mov_b32 s4, 0x7f800000
	v_mov_b32_e32 v1, 0x7e
	v_mov_b32_e32 v6, 0x7f
	v_cmp_lt_u32_e32 vcc, s4, v3
	s_nop 1
	v_cndmask_b32_e32 v1, v1, v6, vcc
; %bb.563:
	s_or_b64 exec, exec, s[2:3]
	v_lshrrev_b32_e32 v3, 24, v26
	s_movk_i32 s2, 0x80
	v_and_or_b32 v1, v3, s2, v1
	global_store_byte v[4:5], v1, off
.LBB21_564:
	s_mov_b64 s[2:3], 0
.LBB21_565:
	s_andn2_b64 vcc, exec, s[2:3]
	s_cbranch_vccnz .LBB21_575
; %bb.566:
	v_and_b32_e32 v3, 0x7fffffff, v26
	s_mov_b32 s2, 0x47800000
	v_cmp_gt_u32_e32 vcc, s2, v3
                                        ; implicit-def: $vgpr1
	s_and_saveexec_b64 s[2:3], vcc
	s_xor_b64 s[2:3], exec, s[2:3]
	s_cbranch_execz .LBB21_572
; %bb.567:
	s_mov_b32 s4, 0x387fffff
	v_cmp_lt_u32_e32 vcc, s4, v3
                                        ; implicit-def: $vgpr1
	s_and_saveexec_b64 s[4:5], vcc
	s_xor_b64 s[4:5], exec, s[4:5]
; %bb.568:
	v_bfe_u32 v1, v26, 21, 1
	s_mov_b32 s6, 0x80fffff
	v_add3_u32 v1, v26, v1, s6
	v_lshrrev_b32_e32 v1, 21, v1
; %bb.569:
	s_andn2_saveexec_b64 s[4:5], s[4:5]
; %bb.570:
	s_mov_b32 s6, 0x43000000
	v_add_f32_e64 v1, |v26|, s6
; %bb.571:
	s_or_b64 exec, exec, s[4:5]
                                        ; implicit-def: $vgpr3
.LBB21_572:
	s_andn2_saveexec_b64 s[2:3], s[2:3]
; %bb.573:
	s_mov_b32 s4, 0x7f800000
	v_mov_b32_e32 v1, 0x7c
	v_mov_b32_e32 v6, 0x7f
	v_cmp_lt_u32_e32 vcc, s4, v3
	s_nop 1
	v_cndmask_b32_e32 v1, v1, v6, vcc
; %bb.574:
	s_or_b64 exec, exec, s[2:3]
	v_lshrrev_b32_e32 v3, 24, v26
	s_movk_i32 s2, 0x80
	v_and_or_b32 v1, v3, s2, v1
	global_store_byte v[4:5], v1, off
.LBB21_575:
	s_mov_b64 s[2:3], 0
	s_mov_b64 s[6:7], -1
.LBB21_576:
	s_andn2_b64 vcc, exec, s[2:3]
	s_mov_b64 s[4:5], 0
	s_cbranch_vccnz .LBB21_583
; %bb.577:
	s_cmp_gt_i32 s10, 14
	s_mov_b64 s[2:3], -1
	s_cbranch_scc0 .LBB21_581
; %bb.578:
	s_cmp_eq_u32 s10, 15
	s_mov_b64 s[0:1], -1
	s_cbranch_scc0 .LBB21_580
; %bb.579:
	v_bfe_u32 v1, v26, 16, 1
	s_movk_i32 s0, 0x7fff
	v_add3_u32 v1, v26, v1, s0
	v_cmp_o_f32_e32 vcc, v26, v26
	v_mov_b32_e32 v3, 0x7fc0
	s_mov_b64 s[0:1], 0
	v_cndmask_b32_sdwa v1, v3, v1, vcc dst_sel:DWORD dst_unused:UNUSED_PAD src0_sel:DWORD src1_sel:WORD_1
	global_store_short v[4:5], v1, off
	s_mov_b64 s[6:7], -1
.LBB21_580:
	s_mov_b64 s[2:3], 0
.LBB21_581:
	s_and_b64 vcc, exec, s[2:3]
	s_cbranch_vccz .LBB21_583
; %bb.582:
	s_cmp_lg_u32 s10, 11
	s_mov_b64 s[4:5], -1
	s_cselect_b64 s[0:1], -1, 0
.LBB21_583:
	s_and_b64 vcc, exec, s[0:1]
	s_mov_b64 s[2:3], s[38:39]
	s_cbranch_vccnz .LBB21_987
; %bb.584:
	s_andn2_b64 vcc, exec, s[4:5]
	s_cbranch_vccnz .LBB21_586
.LBB21_585:
	v_cmp_neq_f32_e32 vcc, 0, v26
	s_mov_b64 s[6:7], -1
	s_nop 0
	v_cndmask_b32_e64 v1, 0, 1, vcc
	global_store_byte v[4:5], v1, off
.LBB21_586:
.LBB21_587:
	s_andn2_b64 vcc, exec, s[6:7]
	s_cbranch_vccz .LBB21_627
	s_branch .LBB21_939
.LBB21_588:
	s_mov_b64 s[6:7], 0
	s_mov_b64 s[2:3], s[38:39]
	s_cbranch_execz .LBB21_587
; %bb.589:
	s_and_b32 s4, 0xffff, s12
	s_cmp_lt_i32 s4, 5
	s_mov_b64 s[0:1], -1
	s_cbranch_scc1 .LBB21_610
; %bb.590:
	s_cmp_lt_i32 s4, 8
	s_cbranch_scc1 .LBB21_600
; %bb.591:
	s_cmp_lt_i32 s4, 9
	s_cbranch_scc1 .LBB21_597
; %bb.592:
	s_cmp_gt_i32 s4, 9
	s_cbranch_scc0 .LBB21_594
; %bb.593:
	v_mov_b32_e32 v8, 0
	v_cvt_f64_f32_e32 v[6:7], v26
	v_mov_b32_e32 v9, v8
	global_store_dwordx4 v[4:5], v[6:9], off
	s_mov_b64 s[0:1], 0
.LBB21_594:
	s_andn2_b64 vcc, exec, s[0:1]
	s_cbranch_vccnz .LBB21_596
; %bb.595:
	v_mov_b32_e32 v27, 0
	global_store_dwordx2 v[4:5], v[26:27], off
.LBB21_596:
	s_mov_b64 s[0:1], 0
.LBB21_597:
	s_andn2_b64 vcc, exec, s[0:1]
	s_cbranch_vccnz .LBB21_599
; %bb.598:
	v_cvt_f16_f32_e32 v1, v26
	global_store_dword v[4:5], v1, off
.LBB21_599:
	s_mov_b64 s[0:1], 0
.LBB21_600:
	s_andn2_b64 vcc, exec, s[0:1]
	s_cbranch_vccnz .LBB21_609
; %bb.601:
	s_cmp_lt_i32 s4, 6
	s_mov_b64 s[0:1], -1
	s_cbranch_scc1 .LBB21_607
; %bb.602:
	s_cmp_gt_i32 s4, 6
	s_cbranch_scc0 .LBB21_604
; %bb.603:
	v_cvt_f64_f32_e32 v[6:7], v26
	global_store_dwordx2 v[4:5], v[6:7], off
	s_mov_b64 s[0:1], 0
.LBB21_604:
	s_andn2_b64 vcc, exec, s[0:1]
	s_cbranch_vccnz .LBB21_606
; %bb.605:
	global_store_dword v[4:5], v26, off
.LBB21_606:
	s_mov_b64 s[0:1], 0
.LBB21_607:
	s_andn2_b64 vcc, exec, s[0:1]
	s_cbranch_vccnz .LBB21_609
; %bb.608:
	v_cvt_f16_f32_e32 v1, v26
	global_store_short v[4:5], v1, off
.LBB21_609:
	s_mov_b64 s[0:1], 0
.LBB21_610:
	s_andn2_b64 vcc, exec, s[0:1]
	s_cbranch_vccnz .LBB21_626
; %bb.611:
	s_cmp_lt_i32 s4, 2
	s_mov_b64 s[0:1], -1
	s_cbranch_scc1 .LBB21_621
; %bb.612:
	s_cmp_lt_i32 s4, 3
	s_cbranch_scc1 .LBB21_618
; %bb.613:
	s_cmp_gt_i32 s4, 3
	s_cbranch_scc0 .LBB21_615
; %bb.614:
	v_trunc_f32_e32 v1, v26
	s_mov_b32 s0, 0x2f800000
	v_mul_f32_e64 v3, |v1|, s0
	v_floor_f32_e32 v3, v3
	s_mov_b32 s0, 0xcf800000
	v_cvt_u32_f32_e32 v6, v3
	v_fma_f32 v3, v3, s0, |v1|
	v_cvt_u32_f32_e32 v3, v3
	v_ashrrev_i32_e32 v1, 31, v1
	v_xor_b32_e32 v7, v6, v1
	s_mov_b64 s[0:1], 0
	v_xor_b32_e32 v3, v3, v1
	v_sub_co_u32_e32 v6, vcc, v3, v1
	s_nop 1
	v_subb_co_u32_e32 v7, vcc, v7, v1, vcc
	global_store_dwordx2 v[4:5], v[6:7], off
.LBB21_615:
	s_andn2_b64 vcc, exec, s[0:1]
	s_cbranch_vccnz .LBB21_617
; %bb.616:
	v_cvt_i32_f32_e32 v1, v26
	global_store_dword v[4:5], v1, off
.LBB21_617:
	s_mov_b64 s[0:1], 0
.LBB21_618:
	s_andn2_b64 vcc, exec, s[0:1]
	s_cbranch_vccnz .LBB21_620
; %bb.619:
	v_cvt_i32_f32_e32 v1, v26
	global_store_short v[4:5], v1, off
.LBB21_620:
	s_mov_b64 s[0:1], 0
.LBB21_621:
	s_andn2_b64 vcc, exec, s[0:1]
	s_cbranch_vccnz .LBB21_626
; %bb.622:
	s_cmp_gt_i32 s4, 0
	s_mov_b64 s[0:1], -1
	s_cbranch_scc0 .LBB21_624
; %bb.623:
	v_cvt_i32_f32_e32 v1, v26
	s_mov_b64 s[0:1], 0
	global_store_byte v[4:5], v1, off
.LBB21_624:
	s_andn2_b64 vcc, exec, s[0:1]
	s_cbranch_vccnz .LBB21_626
; %bb.625:
	v_trunc_f32_e32 v1, v26
	s_mov_b32 s0, 0x2f800000
	v_mul_f32_e64 v3, |v1|, s0
	v_floor_f32_e32 v3, v3
	s_mov_b32 s0, 0xcf800000
	v_fma_f32 v3, v3, s0, |v1|
	v_cvt_u32_f32_e32 v3, v3
	v_ashrrev_i32_e32 v1, 31, v1
	v_xor_b32_e32 v3, v3, v1
	v_sub_u32_e32 v1, v3, v1
	global_store_byte v[4:5], v1, off
.LBB21_626:
.LBB21_627:
	s_lshl_b32 s13, s28, 7
	v_add_u32_e32 v2, s13, v2
	v_ashrrev_i32_e32 v3, 31, v2
	s_cmp_lt_i32 s12, 11
	v_lshl_add_u64 v[4:5], s[24:25], 0, v[2:3]
	s_cbranch_scc1 .LBB21_706
; %bb.628:
	s_and_b32 s14, 0xffff, s12
	s_mov_b64 s[8:9], -1
	s_mov_b64 s[4:5], 0
	s_cmp_gt_i32 s14, 25
	s_mov_b64 s[6:7], 0
	s_mov_b64 s[0:1], 0
	s_cbranch_scc0 .LBB21_661
; %bb.629:
	s_cmp_gt_i32 s14, 28
	s_cbranch_scc0 .LBB21_644
; %bb.630:
	s_cmp_gt_i32 s14, 43
	;; [unrolled: 3-line block ×3, first 2 shown]
	s_cbranch_scc0 .LBB21_634
; %bb.632:
	s_mov_b64 s[0:1], -1
	s_mov_b64 s[8:9], 0
	s_cmp_eq_u32 s14, 46
	s_cbranch_scc0 .LBB21_634
; %bb.633:
	v_bfe_u32 v1, v24, 16, 1
	s_movk_i32 s0, 0x7fff
	v_add3_u32 v1, v24, v1, s0
	v_cmp_o_f32_e32 vcc, v24, v24
	v_mov_b32_e32 v3, 0x7fc0
	s_mov_b64 s[0:1], 0
	v_cndmask_b32_sdwa v1, v3, v1, vcc dst_sel:DWORD dst_unused:UNUSED_PAD src0_sel:DWORD src1_sel:WORD_1
	global_store_dword v[4:5], v1, off
	s_mov_b64 s[6:7], -1
.LBB21_634:
	s_and_b64 vcc, exec, s[8:9]
	s_cbranch_vccz .LBB21_639
; %bb.635:
	s_cmp_eq_u32 s14, 44
	s_mov_b64 s[0:1], -1
	s_cbranch_scc0 .LBB21_639
; %bb.636:
	v_bfe_u32 v1, v24, 23, 8
	s_movk_i32 s0, 0xff
	v_cmp_ne_u32_e32 vcc, s0, v1
	v_mov_b32_e32 v3, 0xff
	s_and_saveexec_b64 s[6:7], vcc
; %bb.637:
	s_mov_b32 s0, 0x3fffff
	v_and_b32_e32 v6, 0x400000, v24
	v_and_or_b32 v1, v24, s0, v1
	v_cmp_ne_u32_e32 vcc, 0, v6
	v_cmp_ne_u32_e64 s[0:1], 0, v1
	s_and_b64 s[0:1], vcc, s[0:1]
	v_lshrrev_b32_e32 v3, 23, v24
	v_cndmask_b32_e64 v1, 0, 1, s[0:1]
	v_add_u32_e32 v3, v3, v1
; %bb.638:
	s_or_b64 exec, exec, s[6:7]
	s_mov_b64 s[0:1], 0
	s_mov_b64 s[6:7], -1
	global_store_byte v[4:5], v3, off
.LBB21_639:
	s_mov_b64 s[8:9], 0
.LBB21_640:
	s_and_b64 vcc, exec, s[8:9]
	s_cbranch_vccz .LBB21_643
; %bb.641:
	s_cmp_eq_u32 s14, 29
	s_mov_b64 s[0:1], -1
	s_cbranch_scc0 .LBB21_643
; %bb.642:
	v_trunc_f32_e32 v1, v24
	v_mul_f32_e32 v3, 0x2f800000, v1
	v_floor_f32_e32 v3, v3
	v_fmamk_f32 v1, v3, 0xcf800000, v1
	v_cvt_u32_f32_e32 v7, v3
	v_cvt_u32_f32_e32 v6, v1
	s_mov_b64 s[0:1], 0
	s_mov_b64 s[6:7], -1
	global_store_dwordx2 v[4:5], v[6:7], off
.LBB21_643:
	s_mov_b64 s[8:9], 0
.LBB21_644:
	s_and_b64 vcc, exec, s[8:9]
	s_cbranch_vccz .LBB21_660
; %bb.645:
	s_cmp_lt_i32 s14, 27
	s_mov_b64 s[6:7], -1
	s_cbranch_scc1 .LBB21_651
; %bb.646:
	v_cvt_u32_f32_e32 v1, v24
	s_cmp_gt_i32 s14, 27
	s_cbranch_scc0 .LBB21_648
; %bb.647:
	s_mov_b64 s[6:7], 0
	global_store_dword v[4:5], v1, off
.LBB21_648:
	s_andn2_b64 vcc, exec, s[6:7]
	s_cbranch_vccnz .LBB21_650
; %bb.649:
	global_store_short v[4:5], v1, off
.LBB21_650:
	s_mov_b64 s[6:7], 0
.LBB21_651:
	s_andn2_b64 vcc, exec, s[6:7]
	s_cbranch_vccnz .LBB21_659
; %bb.652:
	v_and_b32_e32 v1, 0x7fffffff, v24
	s_mov_b32 s6, 0x43800000
	v_cmp_gt_u32_e32 vcc, s6, v1
	v_mov_b32_e32 v3, 0x80
	s_and_saveexec_b64 s[6:7], vcc
	s_cbranch_execz .LBB21_658
; %bb.653:
	s_mov_b32 s8, 0x3bffffff
	v_cmp_lt_u32_e32 vcc, s8, v1
	s_mov_b64 s[8:9], 0
                                        ; implicit-def: $vgpr1
	s_and_saveexec_b64 s[10:11], vcc
	s_xor_b64 s[10:11], exec, s[10:11]
	s_cbranch_execz .LBB21_990
; %bb.654:
	v_bfe_u32 v1, v24, 20, 1
	s_mov_b32 s15, 0x487ffff
	v_add3_u32 v1, v24, v1, s15
	s_mov_b64 s[8:9], exec
	v_lshrrev_b32_e32 v1, 20, v1
	s_andn2_saveexec_b64 s[10:11], s[10:11]
	s_cbranch_execnz .LBB21_991
.LBB21_655:
	s_or_b64 exec, exec, s[10:11]
	v_mov_b32_e32 v3, 0
	s_and_saveexec_b64 s[10:11], s[8:9]
.LBB21_656:
	v_lshrrev_b32_e32 v3, 24, v24
	s_movk_i32 s8, 0x80
	v_and_or_b32 v3, v3, s8, v1
.LBB21_657:
	s_or_b64 exec, exec, s[10:11]
.LBB21_658:
	s_or_b64 exec, exec, s[6:7]
	global_store_byte v[4:5], v3, off
.LBB21_659:
	s_mov_b64 s[6:7], -1
.LBB21_660:
	s_mov_b64 s[8:9], 0
.LBB21_661:
	s_and_b64 vcc, exec, s[8:9]
	s_cbranch_vccz .LBB21_701
; %bb.662:
	s_cmp_gt_i32 s14, 22
	s_mov_b64 s[4:5], -1
	s_cbranch_scc0 .LBB21_694
; %bb.663:
	s_cmp_lt_i32 s14, 24
	s_cbranch_scc1 .LBB21_683
; %bb.664:
	s_cmp_gt_i32 s14, 24
	s_cbranch_scc0 .LBB21_672
; %bb.665:
	v_and_b32_e32 v1, 0x7fffffff, v24
	s_mov_b32 s4, 0x47800000
	v_cmp_gt_u32_e32 vcc, s4, v1
	v_mov_b32_e32 v3, 0x80
	s_and_saveexec_b64 s[4:5], vcc
	s_cbranch_execz .LBB21_671
; %bb.666:
	s_mov_b32 s6, 0x37ffffff
	v_cmp_lt_u32_e32 vcc, s6, v1
	s_mov_b64 s[6:7], 0
                                        ; implicit-def: $vgpr1
	s_and_saveexec_b64 s[8:9], vcc
	s_xor_b64 s[8:9], exec, s[8:9]
	s_cbranch_execz .LBB21_993
; %bb.667:
	v_bfe_u32 v1, v24, 21, 1
	s_mov_b32 s10, 0x88fffff
	v_add3_u32 v1, v24, v1, s10
	s_mov_b64 s[6:7], exec
	v_lshrrev_b32_e32 v1, 21, v1
	s_andn2_saveexec_b64 s[8:9], s[8:9]
	s_cbranch_execnz .LBB21_994
.LBB21_668:
	s_or_b64 exec, exec, s[8:9]
	v_mov_b32_e32 v3, 0
	s_and_saveexec_b64 s[8:9], s[6:7]
.LBB21_669:
	v_lshrrev_b32_e32 v3, 24, v24
	s_movk_i32 s6, 0x80
	v_and_or_b32 v3, v3, s6, v1
.LBB21_670:
	s_or_b64 exec, exec, s[8:9]
.LBB21_671:
	s_or_b64 exec, exec, s[4:5]
	s_mov_b64 s[4:5], 0
	global_store_byte v[4:5], v3, off
.LBB21_672:
	s_and_b64 vcc, exec, s[4:5]
	s_cbranch_vccz .LBB21_682
; %bb.673:
	v_and_b32_e32 v3, 0x7fffffff, v24
	s_mov_b32 s4, 0x43f00000
	v_cmp_gt_u32_e32 vcc, s4, v3
                                        ; implicit-def: $vgpr1
	s_and_saveexec_b64 s[4:5], vcc
	s_xor_b64 s[4:5], exec, s[4:5]
	s_cbranch_execz .LBB21_679
; %bb.674:
	s_mov_b32 s6, 0x3c7fffff
	v_cmp_lt_u32_e32 vcc, s6, v3
                                        ; implicit-def: $vgpr1
	s_and_saveexec_b64 s[6:7], vcc
	s_xor_b64 s[6:7], exec, s[6:7]
; %bb.675:
	v_bfe_u32 v1, v24, 20, 1
	s_mov_b32 s8, 0x407ffff
	v_add3_u32 v1, v24, v1, s8
	v_lshrrev_b32_e32 v3, 20, v1
	v_and_b32_e32 v1, 0xff00000, v1
	s_mov_b32 s8, 0x7f00000
	v_mov_b32_e32 v6, 0x7e
	v_cmp_ne_u32_e32 vcc, s8, v1
	s_nop 1
	v_cndmask_b32_e32 v1, v6, v3, vcc
; %bb.676:
	s_andn2_saveexec_b64 s[6:7], s[6:7]
; %bb.677:
	s_mov_b32 s8, 0x46800000
	v_add_f32_e64 v1, |v24|, s8
; %bb.678:
	s_or_b64 exec, exec, s[6:7]
                                        ; implicit-def: $vgpr3
.LBB21_679:
	s_andn2_saveexec_b64 s[4:5], s[4:5]
; %bb.680:
	s_mov_b32 s6, 0x7f800000
	v_mov_b32_e32 v1, 0x7e
	v_mov_b32_e32 v6, 0x7f
	v_cmp_lt_u32_e32 vcc, s6, v3
	s_nop 1
	v_cndmask_b32_e32 v1, v1, v6, vcc
; %bb.681:
	s_or_b64 exec, exec, s[4:5]
	v_lshrrev_b32_e32 v3, 24, v24
	s_movk_i32 s4, 0x80
	v_and_or_b32 v1, v3, s4, v1
	global_store_byte v[4:5], v1, off
.LBB21_682:
	s_mov_b64 s[4:5], 0
.LBB21_683:
	s_andn2_b64 vcc, exec, s[4:5]
	s_cbranch_vccnz .LBB21_693
; %bb.684:
	v_and_b32_e32 v3, 0x7fffffff, v24
	s_mov_b32 s4, 0x47800000
	v_cmp_gt_u32_e32 vcc, s4, v3
                                        ; implicit-def: $vgpr1
	s_and_saveexec_b64 s[4:5], vcc
	s_xor_b64 s[4:5], exec, s[4:5]
	s_cbranch_execz .LBB21_690
; %bb.685:
	s_mov_b32 s6, 0x387fffff
	v_cmp_lt_u32_e32 vcc, s6, v3
                                        ; implicit-def: $vgpr1
	s_and_saveexec_b64 s[6:7], vcc
	s_xor_b64 s[6:7], exec, s[6:7]
; %bb.686:
	v_bfe_u32 v1, v24, 21, 1
	s_mov_b32 s8, 0x80fffff
	v_add3_u32 v1, v24, v1, s8
	v_lshrrev_b32_e32 v1, 21, v1
; %bb.687:
	s_andn2_saveexec_b64 s[6:7], s[6:7]
; %bb.688:
	s_mov_b32 s8, 0x43000000
	v_add_f32_e64 v1, |v24|, s8
; %bb.689:
	s_or_b64 exec, exec, s[6:7]
                                        ; implicit-def: $vgpr3
.LBB21_690:
	s_andn2_saveexec_b64 s[4:5], s[4:5]
; %bb.691:
	s_mov_b32 s6, 0x7f800000
	v_mov_b32_e32 v1, 0x7c
	v_mov_b32_e32 v6, 0x7f
	v_cmp_lt_u32_e32 vcc, s6, v3
	s_nop 1
	v_cndmask_b32_e32 v1, v1, v6, vcc
; %bb.692:
	s_or_b64 exec, exec, s[4:5]
	v_lshrrev_b32_e32 v3, 24, v24
	s_movk_i32 s4, 0x80
	v_and_or_b32 v1, v3, s4, v1
	global_store_byte v[4:5], v1, off
.LBB21_693:
	s_mov_b64 s[4:5], 0
	s_mov_b64 s[6:7], -1
.LBB21_694:
	s_andn2_b64 vcc, exec, s[4:5]
	s_mov_b64 s[4:5], 0
	s_cbranch_vccnz .LBB21_701
; %bb.695:
	s_cmp_gt_i32 s14, 14
	s_mov_b64 s[8:9], -1
	s_cbranch_scc0 .LBB21_699
; %bb.696:
	s_cmp_eq_u32 s14, 15
	s_mov_b64 s[0:1], -1
	s_cbranch_scc0 .LBB21_698
; %bb.697:
	v_bfe_u32 v1, v24, 16, 1
	s_movk_i32 s0, 0x7fff
	v_add3_u32 v1, v24, v1, s0
	v_cmp_o_f32_e32 vcc, v24, v24
	v_mov_b32_e32 v3, 0x7fc0
	s_mov_b64 s[0:1], 0
	v_cndmask_b32_sdwa v1, v3, v1, vcc dst_sel:DWORD dst_unused:UNUSED_PAD src0_sel:DWORD src1_sel:WORD_1
	global_store_short v[4:5], v1, off
	s_mov_b64 s[6:7], -1
.LBB21_698:
	s_mov_b64 s[8:9], 0
.LBB21_699:
	s_and_b64 vcc, exec, s[8:9]
	s_cbranch_vccz .LBB21_701
; %bb.700:
	s_cmp_lg_u32 s14, 11
	s_mov_b64 s[4:5], -1
	s_cselect_b64 s[0:1], -1, 0
.LBB21_701:
	s_and_b64 vcc, exec, s[0:1]
	s_cbranch_vccnz .LBB21_992
; %bb.702:
	s_andn2_b64 vcc, exec, s[4:5]
	s_cbranch_vccnz .LBB21_704
.LBB21_703:
	v_cmp_neq_f32_e32 vcc, 0, v24
	s_mov_b64 s[6:7], -1
	s_nop 0
	v_cndmask_b32_e64 v1, 0, 1, vcc
	global_store_byte v[4:5], v1, off
.LBB21_704:
.LBB21_705:
	s_andn2_b64 vcc, exec, s[6:7]
	s_cbranch_vccz .LBB21_745
	s_branch .LBB21_939
.LBB21_706:
	s_mov_b64 s[6:7], 0
	s_cbranch_execz .LBB21_705
; %bb.707:
	s_and_b32 s4, 0xffff, s12
	s_cmp_lt_i32 s4, 5
	s_mov_b64 s[0:1], -1
	s_cbranch_scc1 .LBB21_728
; %bb.708:
	s_cmp_lt_i32 s4, 8
	s_cbranch_scc1 .LBB21_718
; %bb.709:
	s_cmp_lt_i32 s4, 9
	s_cbranch_scc1 .LBB21_715
; %bb.710:
	s_cmp_gt_i32 s4, 9
	s_cbranch_scc0 .LBB21_712
; %bb.711:
	v_mov_b32_e32 v8, 0
	v_cvt_f64_f32_e32 v[6:7], v24
	v_mov_b32_e32 v9, v8
	global_store_dwordx4 v[4:5], v[6:9], off
	s_mov_b64 s[0:1], 0
.LBB21_712:
	s_andn2_b64 vcc, exec, s[0:1]
	s_cbranch_vccnz .LBB21_714
; %bb.713:
	v_mov_b32_e32 v25, 0
	global_store_dwordx2 v[4:5], v[24:25], off
.LBB21_714:
	s_mov_b64 s[0:1], 0
.LBB21_715:
	s_andn2_b64 vcc, exec, s[0:1]
	s_cbranch_vccnz .LBB21_717
; %bb.716:
	v_cvt_f16_f32_e32 v1, v24
	global_store_dword v[4:5], v1, off
.LBB21_717:
	s_mov_b64 s[0:1], 0
.LBB21_718:
	s_andn2_b64 vcc, exec, s[0:1]
	s_cbranch_vccnz .LBB21_727
; %bb.719:
	s_cmp_lt_i32 s4, 6
	s_mov_b64 s[0:1], -1
	s_cbranch_scc1 .LBB21_725
; %bb.720:
	s_cmp_gt_i32 s4, 6
	s_cbranch_scc0 .LBB21_722
; %bb.721:
	v_cvt_f64_f32_e32 v[6:7], v24
	global_store_dwordx2 v[4:5], v[6:7], off
	s_mov_b64 s[0:1], 0
.LBB21_722:
	s_andn2_b64 vcc, exec, s[0:1]
	s_cbranch_vccnz .LBB21_724
; %bb.723:
	global_store_dword v[4:5], v24, off
.LBB21_724:
	s_mov_b64 s[0:1], 0
.LBB21_725:
	s_andn2_b64 vcc, exec, s[0:1]
	s_cbranch_vccnz .LBB21_727
; %bb.726:
	v_cvt_f16_f32_e32 v1, v24
	global_store_short v[4:5], v1, off
.LBB21_727:
	s_mov_b64 s[0:1], 0
.LBB21_728:
	s_andn2_b64 vcc, exec, s[0:1]
	s_cbranch_vccnz .LBB21_744
; %bb.729:
	s_cmp_lt_i32 s4, 2
	s_mov_b64 s[0:1], -1
	s_cbranch_scc1 .LBB21_739
; %bb.730:
	s_cmp_lt_i32 s4, 3
	s_cbranch_scc1 .LBB21_736
; %bb.731:
	s_cmp_gt_i32 s4, 3
	s_cbranch_scc0 .LBB21_733
; %bb.732:
	v_trunc_f32_e32 v1, v24
	s_mov_b32 s0, 0x2f800000
	v_mul_f32_e64 v3, |v1|, s0
	v_floor_f32_e32 v3, v3
	s_mov_b32 s0, 0xcf800000
	v_cvt_u32_f32_e32 v6, v3
	v_fma_f32 v3, v3, s0, |v1|
	v_cvt_u32_f32_e32 v3, v3
	v_ashrrev_i32_e32 v1, 31, v1
	v_xor_b32_e32 v7, v6, v1
	s_mov_b64 s[0:1], 0
	v_xor_b32_e32 v3, v3, v1
	v_sub_co_u32_e32 v6, vcc, v3, v1
	s_nop 1
	v_subb_co_u32_e32 v7, vcc, v7, v1, vcc
	global_store_dwordx2 v[4:5], v[6:7], off
.LBB21_733:
	s_andn2_b64 vcc, exec, s[0:1]
	s_cbranch_vccnz .LBB21_735
; %bb.734:
	v_cvt_i32_f32_e32 v1, v24
	global_store_dword v[4:5], v1, off
.LBB21_735:
	s_mov_b64 s[0:1], 0
.LBB21_736:
	s_andn2_b64 vcc, exec, s[0:1]
	s_cbranch_vccnz .LBB21_738
; %bb.737:
	v_cvt_i32_f32_e32 v1, v24
	global_store_short v[4:5], v1, off
.LBB21_738:
	s_mov_b64 s[0:1], 0
.LBB21_739:
	s_andn2_b64 vcc, exec, s[0:1]
	s_cbranch_vccnz .LBB21_744
; %bb.740:
	s_cmp_gt_i32 s4, 0
	s_mov_b64 s[0:1], -1
	s_cbranch_scc0 .LBB21_742
; %bb.741:
	v_cvt_i32_f32_e32 v1, v24
	s_mov_b64 s[0:1], 0
	global_store_byte v[4:5], v1, off
.LBB21_742:
	s_andn2_b64 vcc, exec, s[0:1]
	s_cbranch_vccnz .LBB21_744
; %bb.743:
	v_trunc_f32_e32 v1, v24
	s_mov_b32 s0, 0x2f800000
	v_mul_f32_e64 v3, |v1|, s0
	v_floor_f32_e32 v3, v3
	s_mov_b32 s0, 0xcf800000
	v_fma_f32 v3, v3, s0, |v1|
	v_cvt_u32_f32_e32 v3, v3
	v_ashrrev_i32_e32 v1, 31, v1
	v_xor_b32_e32 v3, v3, v1
	v_sub_u32_e32 v1, v3, v1
	global_store_byte v[4:5], v1, off
.LBB21_744:
.LBB21_745:
	v_add_u32_e32 v2, s13, v2
	v_ashrrev_i32_e32 v3, 31, v2
	s_cmp_lt_i32 s12, 11
	v_lshl_add_u64 v[4:5], s[24:25], 0, v[2:3]
	s_cbranch_scc1 .LBB21_900
; %bb.746:
	s_and_b32 s14, 0xffff, s12
	s_mov_b64 s[8:9], -1
	s_mov_b64 s[4:5], 0
	s_cmp_gt_i32 s14, 25
	s_mov_b64 s[6:7], 0
	s_mov_b64 s[0:1], 0
	s_cbranch_scc0 .LBB21_779
; %bb.747:
	s_cmp_gt_i32 s14, 28
	s_cbranch_scc0 .LBB21_762
; %bb.748:
	s_cmp_gt_i32 s14, 43
	;; [unrolled: 3-line block ×3, first 2 shown]
	s_cbranch_scc0 .LBB21_752
; %bb.750:
	s_mov_b64 s[0:1], -1
	s_mov_b64 s[8:9], 0
	s_cmp_eq_u32 s14, 46
	s_cbranch_scc0 .LBB21_752
; %bb.751:
	v_bfe_u32 v1, v22, 16, 1
	s_movk_i32 s0, 0x7fff
	v_add3_u32 v1, v22, v1, s0
	v_cmp_o_f32_e32 vcc, v22, v22
	v_mov_b32_e32 v3, 0x7fc0
	s_mov_b64 s[0:1], 0
	v_cndmask_b32_sdwa v1, v3, v1, vcc dst_sel:DWORD dst_unused:UNUSED_PAD src0_sel:DWORD src1_sel:WORD_1
	global_store_dword v[4:5], v1, off
	s_mov_b64 s[6:7], -1
.LBB21_752:
	s_and_b64 vcc, exec, s[8:9]
	s_cbranch_vccz .LBB21_757
; %bb.753:
	s_cmp_eq_u32 s14, 44
	s_mov_b64 s[0:1], -1
	s_cbranch_scc0 .LBB21_757
; %bb.754:
	v_bfe_u32 v1, v22, 23, 8
	s_movk_i32 s0, 0xff
	v_cmp_ne_u32_e32 vcc, s0, v1
	v_mov_b32_e32 v3, 0xff
	s_and_saveexec_b64 s[6:7], vcc
; %bb.755:
	s_mov_b32 s0, 0x3fffff
	v_and_b32_e32 v6, 0x400000, v22
	v_and_or_b32 v1, v22, s0, v1
	v_cmp_ne_u32_e32 vcc, 0, v6
	v_cmp_ne_u32_e64 s[0:1], 0, v1
	s_and_b64 s[0:1], vcc, s[0:1]
	v_lshrrev_b32_e32 v3, 23, v22
	v_cndmask_b32_e64 v1, 0, 1, s[0:1]
	v_add_u32_e32 v3, v3, v1
; %bb.756:
	s_or_b64 exec, exec, s[6:7]
	s_mov_b64 s[0:1], 0
	s_mov_b64 s[6:7], -1
	global_store_byte v[4:5], v3, off
.LBB21_757:
	s_mov_b64 s[8:9], 0
.LBB21_758:
	s_and_b64 vcc, exec, s[8:9]
	s_cbranch_vccz .LBB21_761
; %bb.759:
	s_cmp_eq_u32 s14, 29
	s_mov_b64 s[0:1], -1
	s_cbranch_scc0 .LBB21_761
; %bb.760:
	v_trunc_f32_e32 v1, v22
	v_mul_f32_e32 v3, 0x2f800000, v1
	v_floor_f32_e32 v3, v3
	v_fmamk_f32 v1, v3, 0xcf800000, v1
	v_cvt_u32_f32_e32 v7, v3
	v_cvt_u32_f32_e32 v6, v1
	s_mov_b64 s[0:1], 0
	s_mov_b64 s[6:7], -1
	global_store_dwordx2 v[4:5], v[6:7], off
.LBB21_761:
	s_mov_b64 s[8:9], 0
.LBB21_762:
	s_and_b64 vcc, exec, s[8:9]
	s_cbranch_vccz .LBB21_778
; %bb.763:
	s_cmp_lt_i32 s14, 27
	s_mov_b64 s[6:7], -1
	s_cbranch_scc1 .LBB21_769
; %bb.764:
	v_cvt_u32_f32_e32 v1, v22
	s_cmp_gt_i32 s14, 27
	s_cbranch_scc0 .LBB21_766
; %bb.765:
	s_mov_b64 s[6:7], 0
	global_store_dword v[4:5], v1, off
.LBB21_766:
	s_andn2_b64 vcc, exec, s[6:7]
	s_cbranch_vccnz .LBB21_768
; %bb.767:
	global_store_short v[4:5], v1, off
.LBB21_768:
	s_mov_b64 s[6:7], 0
.LBB21_769:
	s_andn2_b64 vcc, exec, s[6:7]
	s_cbranch_vccnz .LBB21_777
; %bb.770:
	v_and_b32_e32 v1, 0x7fffffff, v22
	s_mov_b32 s6, 0x43800000
	v_cmp_gt_u32_e32 vcc, s6, v1
	v_mov_b32_e32 v3, 0x80
	s_and_saveexec_b64 s[6:7], vcc
	s_cbranch_execz .LBB21_776
; %bb.771:
	s_mov_b32 s8, 0x3bffffff
	v_cmp_lt_u32_e32 vcc, s8, v1
	s_mov_b64 s[8:9], 0
                                        ; implicit-def: $vgpr1
	s_and_saveexec_b64 s[10:11], vcc
	s_xor_b64 s[10:11], exec, s[10:11]
	s_cbranch_execz .LBB21_995
; %bb.772:
	v_bfe_u32 v1, v22, 20, 1
	s_mov_b32 s15, 0x487ffff
	v_add3_u32 v1, v22, v1, s15
	s_mov_b64 s[8:9], exec
	v_lshrrev_b32_e32 v1, 20, v1
	s_andn2_saveexec_b64 s[10:11], s[10:11]
	s_cbranch_execnz .LBB21_996
.LBB21_773:
	s_or_b64 exec, exec, s[10:11]
	v_mov_b32_e32 v3, 0
	s_and_saveexec_b64 s[10:11], s[8:9]
.LBB21_774:
	v_lshrrev_b32_e32 v3, 24, v22
	s_movk_i32 s8, 0x80
	v_and_or_b32 v3, v3, s8, v1
.LBB21_775:
	s_or_b64 exec, exec, s[10:11]
.LBB21_776:
	s_or_b64 exec, exec, s[6:7]
	global_store_byte v[4:5], v3, off
.LBB21_777:
	s_mov_b64 s[6:7], -1
.LBB21_778:
	s_mov_b64 s[8:9], 0
.LBB21_779:
	s_and_b64 vcc, exec, s[8:9]
	s_cbranch_vccz .LBB21_819
; %bb.780:
	s_cmp_gt_i32 s14, 22
	s_mov_b64 s[4:5], -1
	s_cbranch_scc0 .LBB21_812
; %bb.781:
	s_cmp_lt_i32 s14, 24
	s_cbranch_scc1 .LBB21_801
; %bb.782:
	s_cmp_gt_i32 s14, 24
	s_cbranch_scc0 .LBB21_790
; %bb.783:
	v_and_b32_e32 v1, 0x7fffffff, v22
	s_mov_b32 s4, 0x47800000
	v_cmp_gt_u32_e32 vcc, s4, v1
	v_mov_b32_e32 v3, 0x80
	s_and_saveexec_b64 s[4:5], vcc
	s_cbranch_execz .LBB21_789
; %bb.784:
	s_mov_b32 s6, 0x37ffffff
	v_cmp_lt_u32_e32 vcc, s6, v1
	s_mov_b64 s[6:7], 0
                                        ; implicit-def: $vgpr1
	s_and_saveexec_b64 s[8:9], vcc
	s_xor_b64 s[8:9], exec, s[8:9]
	s_cbranch_execz .LBB21_1000
; %bb.785:
	v_bfe_u32 v1, v22, 21, 1
	s_mov_b32 s10, 0x88fffff
	v_add3_u32 v1, v22, v1, s10
	s_mov_b64 s[6:7], exec
	v_lshrrev_b32_e32 v1, 21, v1
	s_andn2_saveexec_b64 s[8:9], s[8:9]
	s_cbranch_execnz .LBB21_1001
.LBB21_786:
	s_or_b64 exec, exec, s[8:9]
	v_mov_b32_e32 v3, 0
	s_and_saveexec_b64 s[8:9], s[6:7]
.LBB21_787:
	v_lshrrev_b32_e32 v3, 24, v22
	s_movk_i32 s6, 0x80
	v_and_or_b32 v3, v3, s6, v1
.LBB21_788:
	s_or_b64 exec, exec, s[8:9]
.LBB21_789:
	s_or_b64 exec, exec, s[4:5]
	s_mov_b64 s[4:5], 0
	global_store_byte v[4:5], v3, off
.LBB21_790:
	s_and_b64 vcc, exec, s[4:5]
	s_cbranch_vccz .LBB21_800
; %bb.791:
	v_and_b32_e32 v3, 0x7fffffff, v22
	s_mov_b32 s4, 0x43f00000
	v_cmp_gt_u32_e32 vcc, s4, v3
                                        ; implicit-def: $vgpr1
	s_and_saveexec_b64 s[4:5], vcc
	s_xor_b64 s[4:5], exec, s[4:5]
	s_cbranch_execz .LBB21_797
; %bb.792:
	s_mov_b32 s6, 0x3c7fffff
	v_cmp_lt_u32_e32 vcc, s6, v3
                                        ; implicit-def: $vgpr1
	s_and_saveexec_b64 s[6:7], vcc
	s_xor_b64 s[6:7], exec, s[6:7]
; %bb.793:
	v_bfe_u32 v1, v22, 20, 1
	s_mov_b32 s8, 0x407ffff
	v_add3_u32 v1, v22, v1, s8
	v_lshrrev_b32_e32 v3, 20, v1
	v_and_b32_e32 v1, 0xff00000, v1
	s_mov_b32 s8, 0x7f00000
	v_mov_b32_e32 v6, 0x7e
	v_cmp_ne_u32_e32 vcc, s8, v1
	s_nop 1
	v_cndmask_b32_e32 v1, v6, v3, vcc
; %bb.794:
	s_andn2_saveexec_b64 s[6:7], s[6:7]
; %bb.795:
	s_mov_b32 s8, 0x46800000
	v_add_f32_e64 v1, |v22|, s8
; %bb.796:
	s_or_b64 exec, exec, s[6:7]
                                        ; implicit-def: $vgpr3
.LBB21_797:
	s_andn2_saveexec_b64 s[4:5], s[4:5]
; %bb.798:
	s_mov_b32 s6, 0x7f800000
	v_mov_b32_e32 v1, 0x7e
	v_mov_b32_e32 v6, 0x7f
	v_cmp_lt_u32_e32 vcc, s6, v3
	s_nop 1
	v_cndmask_b32_e32 v1, v1, v6, vcc
; %bb.799:
	s_or_b64 exec, exec, s[4:5]
	v_lshrrev_b32_e32 v3, 24, v22
	s_movk_i32 s4, 0x80
	v_and_or_b32 v1, v3, s4, v1
	global_store_byte v[4:5], v1, off
.LBB21_800:
	s_mov_b64 s[4:5], 0
.LBB21_801:
	s_andn2_b64 vcc, exec, s[4:5]
	s_cbranch_vccnz .LBB21_811
; %bb.802:
	v_and_b32_e32 v3, 0x7fffffff, v22
	s_mov_b32 s4, 0x47800000
	v_cmp_gt_u32_e32 vcc, s4, v3
                                        ; implicit-def: $vgpr1
	s_and_saveexec_b64 s[4:5], vcc
	s_xor_b64 s[4:5], exec, s[4:5]
	s_cbranch_execz .LBB21_808
; %bb.803:
	s_mov_b32 s6, 0x387fffff
	v_cmp_lt_u32_e32 vcc, s6, v3
                                        ; implicit-def: $vgpr1
	s_and_saveexec_b64 s[6:7], vcc
	s_xor_b64 s[6:7], exec, s[6:7]
; %bb.804:
	v_bfe_u32 v1, v22, 21, 1
	s_mov_b32 s8, 0x80fffff
	v_add3_u32 v1, v22, v1, s8
	v_lshrrev_b32_e32 v1, 21, v1
; %bb.805:
	s_andn2_saveexec_b64 s[6:7], s[6:7]
; %bb.806:
	s_mov_b32 s8, 0x43000000
	v_add_f32_e64 v1, |v22|, s8
; %bb.807:
	s_or_b64 exec, exec, s[6:7]
                                        ; implicit-def: $vgpr3
.LBB21_808:
	s_andn2_saveexec_b64 s[4:5], s[4:5]
; %bb.809:
	s_mov_b32 s6, 0x7f800000
	v_mov_b32_e32 v1, 0x7c
	v_mov_b32_e32 v6, 0x7f
	v_cmp_lt_u32_e32 vcc, s6, v3
	s_nop 1
	v_cndmask_b32_e32 v1, v1, v6, vcc
; %bb.810:
	s_or_b64 exec, exec, s[4:5]
	v_lshrrev_b32_e32 v3, 24, v22
	s_movk_i32 s4, 0x80
	v_and_or_b32 v1, v3, s4, v1
	global_store_byte v[4:5], v1, off
.LBB21_811:
	s_mov_b64 s[4:5], 0
	s_mov_b64 s[6:7], -1
.LBB21_812:
	s_andn2_b64 vcc, exec, s[4:5]
	s_mov_b64 s[4:5], 0
	s_cbranch_vccnz .LBB21_819
; %bb.813:
	s_cmp_gt_i32 s14, 14
	s_mov_b64 s[8:9], -1
	s_cbranch_scc0 .LBB21_817
; %bb.814:
	s_cmp_eq_u32 s14, 15
	s_mov_b64 s[0:1], -1
	s_cbranch_scc0 .LBB21_816
; %bb.815:
	v_bfe_u32 v1, v22, 16, 1
	s_movk_i32 s0, 0x7fff
	v_add3_u32 v1, v22, v1, s0
	v_cmp_o_f32_e32 vcc, v22, v22
	v_mov_b32_e32 v3, 0x7fc0
	s_mov_b64 s[0:1], 0
	v_cndmask_b32_sdwa v1, v3, v1, vcc dst_sel:DWORD dst_unused:UNUSED_PAD src0_sel:DWORD src1_sel:WORD_1
	global_store_short v[4:5], v1, off
	s_mov_b64 s[6:7], -1
.LBB21_816:
	s_mov_b64 s[8:9], 0
.LBB21_817:
	s_and_b64 vcc, exec, s[8:9]
	s_cbranch_vccz .LBB21_819
; %bb.818:
	s_cmp_lg_u32 s14, 11
	s_mov_b64 s[4:5], -1
	s_cselect_b64 s[0:1], -1, 0
.LBB21_819:
	s_and_b64 vcc, exec, s[0:1]
	s_cbranch_vccnz .LBB21_997
; %bb.820:
	s_andn2_b64 vcc, exec, s[4:5]
	s_cbranch_vccnz .LBB21_822
.LBB21_821:
	v_cmp_neq_f32_e32 vcc, 0, v22
	s_mov_b64 s[6:7], -1
	s_nop 0
	v_cndmask_b32_e64 v1, 0, 1, vcc
	global_store_byte v[4:5], v1, off
.LBB21_822:
.LBB21_823:
	s_andn2_b64 vcc, exec, s[6:7]
	s_cbranch_vccnz .LBB21_939
.LBB21_824:
	v_add_u32_e32 v2, s13, v2
	v_ashrrev_i32_e32 v3, 31, v2
	s_cmp_lt_i32 s12, 11
	v_lshl_add_u64 v[2:3], s[24:25], 0, v[2:3]
	s_cbranch_scc1 .LBB21_984
; %bb.825:
	s_and_b32 s13, 0xffff, s12
	s_mov_b64 s[6:7], -1
	s_mov_b64 s[4:5], 0
	s_cmp_gt_i32 s13, 25
	s_mov_b64 s[0:1], 0
	s_cbranch_scc0 .LBB21_858
; %bb.826:
	s_cmp_gt_i32 s13, 28
	s_cbranch_scc0 .LBB21_842
; %bb.827:
	s_cmp_gt_i32 s13, 43
	;; [unrolled: 3-line block ×3, first 2 shown]
	s_cbranch_scc0 .LBB21_832
; %bb.829:
	s_cmp_eq_u32 s13, 46
	s_mov_b64 s[0:1], -1
	s_cbranch_scc0 .LBB21_831
; %bb.830:
	v_bfe_u32 v1, v0, 16, 1
	s_movk_i32 s0, 0x7fff
	v_add3_u32 v1, v0, v1, s0
	v_cmp_o_f32_e32 vcc, v0, v0
	v_mov_b32_e32 v4, 0x7fc0
	s_mov_b64 s[0:1], 0
	v_cndmask_b32_sdwa v1, v4, v1, vcc dst_sel:DWORD dst_unused:UNUSED_PAD src0_sel:DWORD src1_sel:WORD_1
	global_store_dword v[2:3], v1, off
.LBB21_831:
	s_mov_b64 s[6:7], 0
.LBB21_832:
	s_and_b64 vcc, exec, s[6:7]
	s_cbranch_vccz .LBB21_837
; %bb.833:
	s_cmp_eq_u32 s13, 44
	s_mov_b64 s[0:1], -1
	s_cbranch_scc0 .LBB21_837
; %bb.834:
	v_bfe_u32 v1, v0, 23, 8
	s_movk_i32 s0, 0xff
	v_cmp_ne_u32_e32 vcc, s0, v1
	v_mov_b32_e32 v4, 0xff
	s_and_saveexec_b64 s[6:7], vcc
; %bb.835:
	s_mov_b32 s0, 0x3fffff
	v_and_b32_e32 v5, 0x400000, v0
	v_and_or_b32 v1, v0, s0, v1
	v_cmp_ne_u32_e32 vcc, 0, v5
	v_cmp_ne_u32_e64 s[0:1], 0, v1
	s_and_b64 s[0:1], vcc, s[0:1]
	v_lshrrev_b32_e32 v4, 23, v0
	v_cndmask_b32_e64 v1, 0, 1, s[0:1]
	v_add_u32_e32 v4, v4, v1
; %bb.836:
	s_or_b64 exec, exec, s[6:7]
	s_mov_b64 s[0:1], 0
	global_store_byte v[2:3], v4, off
.LBB21_837:
	s_mov_b64 s[6:7], 0
.LBB21_838:
	s_and_b64 vcc, exec, s[6:7]
	s_cbranch_vccz .LBB21_841
; %bb.839:
	s_cmp_eq_u32 s13, 29
	s_mov_b64 s[0:1], -1
	s_cbranch_scc0 .LBB21_841
; %bb.840:
	v_trunc_f32_e32 v1, v0
	v_mul_f32_e32 v4, 0x2f800000, v1
	v_floor_f32_e32 v4, v4
	v_fmamk_f32 v1, v4, 0xcf800000, v1
	v_cvt_u32_f32_e32 v5, v4
	v_cvt_u32_f32_e32 v4, v1
	s_mov_b64 s[0:1], 0
	global_store_dwordx2 v[2:3], v[4:5], off
.LBB21_841:
	s_mov_b64 s[6:7], 0
.LBB21_842:
	s_and_b64 vcc, exec, s[6:7]
	s_cbranch_vccz .LBB21_857
; %bb.843:
	s_cmp_lt_i32 s13, 27
	s_mov_b64 s[6:7], -1
	s_cbranch_scc1 .LBB21_849
; %bb.844:
	v_cvt_u32_f32_e32 v1, v0
	s_cmp_gt_i32 s13, 27
	s_cbranch_scc0 .LBB21_846
; %bb.845:
	global_store_dword v[2:3], v1, off
	s_mov_b64 s[6:7], 0
.LBB21_846:
	s_andn2_b64 vcc, exec, s[6:7]
	s_cbranch_vccnz .LBB21_848
; %bb.847:
	global_store_short v[2:3], v1, off
.LBB21_848:
	s_mov_b64 s[6:7], 0
.LBB21_849:
	s_andn2_b64 vcc, exec, s[6:7]
	s_cbranch_vccnz .LBB21_857
; %bb.850:
	v_and_b32_e32 v1, 0x7fffffff, v0
	s_mov_b32 s6, 0x43800000
	v_cmp_gt_u32_e32 vcc, s6, v1
	v_mov_b32_e32 v4, 0x80
	s_and_saveexec_b64 s[6:7], vcc
	s_cbranch_execz .LBB21_856
; %bb.851:
	s_mov_b32 s8, 0x3bffffff
	v_cmp_lt_u32_e32 vcc, s8, v1
	s_mov_b64 s[8:9], 0
                                        ; implicit-def: $vgpr1
	s_and_saveexec_b64 s[10:11], vcc
	s_xor_b64 s[10:11], exec, s[10:11]
	s_cbranch_execz .LBB21_1002
; %bb.852:
	v_bfe_u32 v1, v0, 20, 1
	s_mov_b32 s14, 0x487ffff
	v_add3_u32 v1, v0, v1, s14
	s_mov_b64 s[8:9], exec
	v_lshrrev_b32_e32 v1, 20, v1
	s_andn2_saveexec_b64 s[10:11], s[10:11]
	s_cbranch_execnz .LBB21_1003
.LBB21_853:
	s_or_b64 exec, exec, s[10:11]
	v_mov_b32_e32 v4, 0
	s_and_saveexec_b64 s[10:11], s[8:9]
.LBB21_854:
	v_lshrrev_b32_e32 v4, 24, v0
	s_movk_i32 s8, 0x80
	v_and_or_b32 v4, v4, s8, v1
.LBB21_855:
	s_or_b64 exec, exec, s[10:11]
.LBB21_856:
	s_or_b64 exec, exec, s[6:7]
	global_store_byte v[2:3], v4, off
.LBB21_857:
	s_mov_b64 s[6:7], 0
.LBB21_858:
	s_and_b64 vcc, exec, s[6:7]
	s_cbranch_vccz .LBB21_898
; %bb.859:
	s_cmp_gt_i32 s13, 22
	s_mov_b64 s[4:5], -1
	s_cbranch_scc0 .LBB21_891
; %bb.860:
	s_cmp_lt_i32 s13, 24
	s_cbranch_scc1 .LBB21_880
; %bb.861:
	s_cmp_gt_i32 s13, 24
	s_cbranch_scc0 .LBB21_869
; %bb.862:
	v_and_b32_e32 v1, 0x7fffffff, v0
	s_mov_b32 s4, 0x47800000
	v_cmp_gt_u32_e32 vcc, s4, v1
	v_mov_b32_e32 v4, 0x80
	s_and_saveexec_b64 s[4:5], vcc
	s_cbranch_execz .LBB21_868
; %bb.863:
	s_mov_b32 s6, 0x37ffffff
	v_cmp_lt_u32_e32 vcc, s6, v1
	s_mov_b64 s[6:7], 0
                                        ; implicit-def: $vgpr1
	s_and_saveexec_b64 s[8:9], vcc
	s_xor_b64 s[8:9], exec, s[8:9]
	s_cbranch_execz .LBB21_1009
; %bb.864:
	v_bfe_u32 v1, v0, 21, 1
	s_mov_b32 s10, 0x88fffff
	v_add3_u32 v1, v0, v1, s10
	s_mov_b64 s[6:7], exec
	v_lshrrev_b32_e32 v1, 21, v1
	s_andn2_saveexec_b64 s[8:9], s[8:9]
	s_cbranch_execnz .LBB21_1010
.LBB21_865:
	s_or_b64 exec, exec, s[8:9]
	v_mov_b32_e32 v4, 0
	s_and_saveexec_b64 s[8:9], s[6:7]
.LBB21_866:
	v_lshrrev_b32_e32 v4, 24, v0
	s_movk_i32 s6, 0x80
	v_and_or_b32 v4, v4, s6, v1
.LBB21_867:
	s_or_b64 exec, exec, s[8:9]
.LBB21_868:
	s_or_b64 exec, exec, s[4:5]
	s_mov_b64 s[4:5], 0
	global_store_byte v[2:3], v4, off
.LBB21_869:
	s_and_b64 vcc, exec, s[4:5]
	s_cbranch_vccz .LBB21_879
; %bb.870:
	v_and_b32_e32 v4, 0x7fffffff, v0
	s_mov_b32 s4, 0x43f00000
	v_cmp_gt_u32_e32 vcc, s4, v4
                                        ; implicit-def: $vgpr1
	s_and_saveexec_b64 s[4:5], vcc
	s_xor_b64 s[4:5], exec, s[4:5]
	s_cbranch_execz .LBB21_876
; %bb.871:
	s_mov_b32 s6, 0x3c7fffff
	v_cmp_lt_u32_e32 vcc, s6, v4
                                        ; implicit-def: $vgpr1
	s_and_saveexec_b64 s[6:7], vcc
	s_xor_b64 s[6:7], exec, s[6:7]
; %bb.872:
	v_bfe_u32 v1, v0, 20, 1
	s_mov_b32 s8, 0x407ffff
	v_add3_u32 v1, v0, v1, s8
	v_lshrrev_b32_e32 v4, 20, v1
	v_and_b32_e32 v1, 0xff00000, v1
	s_mov_b32 s8, 0x7f00000
	v_mov_b32_e32 v5, 0x7e
	v_cmp_ne_u32_e32 vcc, s8, v1
	s_nop 1
	v_cndmask_b32_e32 v1, v5, v4, vcc
; %bb.873:
	s_andn2_saveexec_b64 s[6:7], s[6:7]
; %bb.874:
	s_mov_b32 s8, 0x46800000
	v_add_f32_e64 v1, |v0|, s8
; %bb.875:
	s_or_b64 exec, exec, s[6:7]
                                        ; implicit-def: $vgpr4
.LBB21_876:
	s_andn2_saveexec_b64 s[4:5], s[4:5]
; %bb.877:
	s_mov_b32 s6, 0x7f800000
	v_mov_b32_e32 v1, 0x7e
	v_mov_b32_e32 v5, 0x7f
	v_cmp_lt_u32_e32 vcc, s6, v4
	s_nop 1
	v_cndmask_b32_e32 v1, v1, v5, vcc
; %bb.878:
	s_or_b64 exec, exec, s[4:5]
	v_lshrrev_b32_e32 v4, 24, v0
	s_movk_i32 s4, 0x80
	v_and_or_b32 v1, v4, s4, v1
	global_store_byte v[2:3], v1, off
.LBB21_879:
	s_mov_b64 s[4:5], 0
.LBB21_880:
	s_andn2_b64 vcc, exec, s[4:5]
	s_cbranch_vccnz .LBB21_890
; %bb.881:
	v_and_b32_e32 v4, 0x7fffffff, v0
	s_mov_b32 s4, 0x47800000
	v_cmp_gt_u32_e32 vcc, s4, v4
                                        ; implicit-def: $vgpr1
	s_and_saveexec_b64 s[4:5], vcc
	s_xor_b64 s[4:5], exec, s[4:5]
	s_cbranch_execz .LBB21_887
; %bb.882:
	s_mov_b32 s6, 0x387fffff
	v_cmp_lt_u32_e32 vcc, s6, v4
                                        ; implicit-def: $vgpr1
	s_and_saveexec_b64 s[6:7], vcc
	s_xor_b64 s[6:7], exec, s[6:7]
; %bb.883:
	v_bfe_u32 v1, v0, 21, 1
	s_mov_b32 s8, 0x80fffff
	v_add3_u32 v1, v0, v1, s8
	v_lshrrev_b32_e32 v1, 21, v1
; %bb.884:
	s_andn2_saveexec_b64 s[6:7], s[6:7]
; %bb.885:
	s_mov_b32 s8, 0x43000000
	v_add_f32_e64 v1, |v0|, s8
; %bb.886:
	s_or_b64 exec, exec, s[6:7]
                                        ; implicit-def: $vgpr4
.LBB21_887:
	s_andn2_saveexec_b64 s[4:5], s[4:5]
; %bb.888:
	s_mov_b32 s6, 0x7f800000
	v_mov_b32_e32 v1, 0x7c
	v_mov_b32_e32 v5, 0x7f
	v_cmp_lt_u32_e32 vcc, s6, v4
	s_nop 1
	v_cndmask_b32_e32 v1, v1, v5, vcc
; %bb.889:
	s_or_b64 exec, exec, s[4:5]
	v_lshrrev_b32_e32 v4, 24, v0
	s_movk_i32 s4, 0x80
	v_and_or_b32 v1, v4, s4, v1
	global_store_byte v[2:3], v1, off
.LBB21_890:
	s_mov_b64 s[4:5], 0
.LBB21_891:
	s_andn2_b64 vcc, exec, s[4:5]
	s_mov_b64 s[4:5], 0
	s_cbranch_vccnz .LBB21_898
; %bb.892:
	s_cmp_gt_i32 s13, 14
	s_mov_b64 s[6:7], -1
	s_cbranch_scc0 .LBB21_896
; %bb.893:
	s_cmp_eq_u32 s13, 15
	s_mov_b64 s[0:1], -1
	s_cbranch_scc0 .LBB21_895
; %bb.894:
	v_bfe_u32 v1, v0, 16, 1
	s_movk_i32 s0, 0x7fff
	v_add3_u32 v1, v0, v1, s0
	v_cmp_o_f32_e32 vcc, v0, v0
	v_mov_b32_e32 v4, 0x7fc0
	s_mov_b64 s[0:1], 0
	v_cndmask_b32_sdwa v1, v4, v1, vcc dst_sel:DWORD dst_unused:UNUSED_PAD src0_sel:DWORD src1_sel:WORD_1
	global_store_short v[2:3], v1, off
.LBB21_895:
	s_mov_b64 s[6:7], 0
.LBB21_896:
	s_and_b64 vcc, exec, s[6:7]
	s_cbranch_vccz .LBB21_898
; %bb.897:
	s_cmp_lg_u32 s13, 11
	s_mov_b64 s[4:5], -1
	s_cselect_b64 s[0:1], -1, 0
.LBB21_898:
	s_and_b64 vcc, exec, s[0:1]
	s_cbranch_vccnz .LBB21_1004
.LBB21_899:
	s_mov_b64 s[0:1], 0
	s_branch .LBB21_940
.LBB21_900:
	s_mov_b64 s[6:7], 0
	s_cbranch_execz .LBB21_823
; %bb.901:
	s_and_b32 s4, 0xffff, s12
	s_cmp_lt_i32 s4, 5
	s_mov_b64 s[0:1], -1
	s_cbranch_scc1 .LBB21_922
; %bb.902:
	s_cmp_lt_i32 s4, 8
	s_cbranch_scc1 .LBB21_912
; %bb.903:
	s_cmp_lt_i32 s4, 9
	s_cbranch_scc1 .LBB21_909
; %bb.904:
	s_cmp_gt_i32 s4, 9
	s_cbranch_scc0 .LBB21_906
; %bb.905:
	v_mov_b32_e32 v8, 0
	v_cvt_f64_f32_e32 v[6:7], v22
	v_mov_b32_e32 v9, v8
	global_store_dwordx4 v[4:5], v[6:9], off
	s_mov_b64 s[0:1], 0
.LBB21_906:
	s_andn2_b64 vcc, exec, s[0:1]
	s_cbranch_vccnz .LBB21_908
; %bb.907:
	v_mov_b32_e32 v23, 0
	global_store_dwordx2 v[4:5], v[22:23], off
.LBB21_908:
	s_mov_b64 s[0:1], 0
.LBB21_909:
	s_andn2_b64 vcc, exec, s[0:1]
	s_cbranch_vccnz .LBB21_911
; %bb.910:
	v_cvt_f16_f32_e32 v1, v22
	global_store_dword v[4:5], v1, off
.LBB21_911:
	s_mov_b64 s[0:1], 0
.LBB21_912:
	s_andn2_b64 vcc, exec, s[0:1]
	s_cbranch_vccnz .LBB21_921
; %bb.913:
	s_cmp_lt_i32 s4, 6
	s_mov_b64 s[0:1], -1
	s_cbranch_scc1 .LBB21_919
; %bb.914:
	s_cmp_gt_i32 s4, 6
	s_cbranch_scc0 .LBB21_916
; %bb.915:
	v_cvt_f64_f32_e32 v[6:7], v22
	global_store_dwordx2 v[4:5], v[6:7], off
	s_mov_b64 s[0:1], 0
.LBB21_916:
	s_andn2_b64 vcc, exec, s[0:1]
	s_cbranch_vccnz .LBB21_918
; %bb.917:
	global_store_dword v[4:5], v22, off
.LBB21_918:
	s_mov_b64 s[0:1], 0
.LBB21_919:
	s_andn2_b64 vcc, exec, s[0:1]
	s_cbranch_vccnz .LBB21_921
; %bb.920:
	v_cvt_f16_f32_e32 v1, v22
	global_store_short v[4:5], v1, off
.LBB21_921:
	s_mov_b64 s[0:1], 0
.LBB21_922:
	s_andn2_b64 vcc, exec, s[0:1]
	s_cbranch_vccnz .LBB21_938
; %bb.923:
	s_cmp_lt_i32 s4, 2
	s_mov_b64 s[0:1], -1
	s_cbranch_scc1 .LBB21_933
; %bb.924:
	s_cmp_lt_i32 s4, 3
	s_cbranch_scc1 .LBB21_930
; %bb.925:
	s_cmp_gt_i32 s4, 3
	s_cbranch_scc0 .LBB21_927
; %bb.926:
	v_trunc_f32_e32 v1, v22
	s_mov_b32 s0, 0x2f800000
	v_mul_f32_e64 v3, |v1|, s0
	v_floor_f32_e32 v3, v3
	s_mov_b32 s0, 0xcf800000
	v_cvt_u32_f32_e32 v6, v3
	v_fma_f32 v3, v3, s0, |v1|
	v_cvt_u32_f32_e32 v3, v3
	v_ashrrev_i32_e32 v1, 31, v1
	v_xor_b32_e32 v7, v6, v1
	s_mov_b64 s[0:1], 0
	v_xor_b32_e32 v3, v3, v1
	v_sub_co_u32_e32 v6, vcc, v3, v1
	s_nop 1
	v_subb_co_u32_e32 v7, vcc, v7, v1, vcc
	global_store_dwordx2 v[4:5], v[6:7], off
.LBB21_927:
	s_andn2_b64 vcc, exec, s[0:1]
	s_cbranch_vccnz .LBB21_929
; %bb.928:
	v_cvt_i32_f32_e32 v1, v22
	global_store_dword v[4:5], v1, off
.LBB21_929:
	s_mov_b64 s[0:1], 0
.LBB21_930:
	s_andn2_b64 vcc, exec, s[0:1]
	s_cbranch_vccnz .LBB21_932
; %bb.931:
	v_cvt_i32_f32_e32 v1, v22
	global_store_short v[4:5], v1, off
.LBB21_932:
	s_mov_b64 s[0:1], 0
.LBB21_933:
	s_andn2_b64 vcc, exec, s[0:1]
	s_cbranch_vccnz .LBB21_938
; %bb.934:
	s_cmp_gt_i32 s4, 0
	s_mov_b64 s[0:1], -1
	s_cbranch_scc0 .LBB21_936
; %bb.935:
	v_cvt_i32_f32_e32 v1, v22
	s_mov_b64 s[0:1], 0
	global_store_byte v[4:5], v1, off
.LBB21_936:
	s_andn2_b64 vcc, exec, s[0:1]
	s_cbranch_vccnz .LBB21_938
; %bb.937:
	v_trunc_f32_e32 v1, v22
	s_mov_b32 s0, 0x2f800000
	v_mul_f32_e64 v3, |v1|, s0
	v_floor_f32_e32 v3, v3
	s_mov_b32 s0, 0xcf800000
	v_fma_f32 v3, v3, s0, |v1|
	v_cvt_u32_f32_e32 v3, v3
	v_ashrrev_i32_e32 v1, 31, v1
	v_xor_b32_e32 v3, v3, v1
	v_sub_u32_e32 v1, v3, v1
	global_store_byte v[4:5], v1, off
.LBB21_938:
	s_branch .LBB21_824
.LBB21_939:
	s_mov_b64 s[0:1], 0
	s_mov_b64 s[4:5], 0
                                        ; implicit-def: $sgpr12
                                        ; implicit-def: $vgpr2_vgpr3
.LBB21_940:
	s_and_b64 s[34:35], s[4:5], exec
	s_andn2_b64 s[4:5], s[38:39], exec
	s_and_b64 s[2:3], s[2:3], exec
	s_and_b64 s[0:1], s[0:1], exec
	s_or_b64 s[38:39], s[4:5], s[2:3]
.LBB21_941:
	s_or_b64 exec, exec, s[36:37]
	s_and_saveexec_b64 s[2:3], s[38:39]
	s_cbranch_execz .LBB21_944
; %bb.942:
	; divergent unreachable
	s_or_b64 exec, exec, s[2:3]
	s_and_saveexec_b64 s[2:3], s[34:35]
	s_xor_b64 s[2:3], exec, s[2:3]
	s_cbranch_execnz .LBB21_945
.LBB21_943:
	s_or_b64 exec, exec, s[2:3]
	s_and_saveexec_b64 s[2:3], s[0:1]
	s_cbranch_execnz .LBB21_946
	s_branch .LBB21_983
.LBB21_944:
	s_or_b64 exec, exec, s[2:3]
	s_and_saveexec_b64 s[2:3], s[34:35]
	s_xor_b64 s[2:3], exec, s[2:3]
	s_cbranch_execz .LBB21_943
.LBB21_945:
	v_cmp_neq_f32_e32 vcc, 0, v0
	s_nop 1
	v_cndmask_b32_e64 v1, 0, 1, vcc
	global_store_byte v[2:3], v1, off
	s_or_b64 exec, exec, s[2:3]
	s_and_saveexec_b64 s[2:3], s[0:1]
	s_cbranch_execz .LBB21_983
.LBB21_946:
	s_sext_i32_i16 s2, s12
	s_cmp_lt_i32 s2, 5
	s_mov_b64 s[0:1], -1
	s_cbranch_scc1 .LBB21_967
; %bb.947:
	s_cmp_lt_i32 s2, 8
	s_cbranch_scc1 .LBB21_957
; %bb.948:
	s_cmp_lt_i32 s2, 9
	s_cbranch_scc1 .LBB21_954
; %bb.949:
	s_cmp_gt_i32 s2, 9
	s_cbranch_scc0 .LBB21_951
; %bb.950:
	v_mov_b32_e32 v6, 0
	v_cvt_f64_f32_e32 v[4:5], v0
	v_mov_b32_e32 v7, v6
	global_store_dwordx4 v[2:3], v[4:7], off
	s_mov_b64 s[0:1], 0
.LBB21_951:
	s_andn2_b64 vcc, exec, s[0:1]
	s_cbranch_vccnz .LBB21_953
; %bb.952:
	v_mov_b32_e32 v1, 0
	global_store_dwordx2 v[2:3], v[0:1], off
.LBB21_953:
	s_mov_b64 s[0:1], 0
.LBB21_954:
	s_andn2_b64 vcc, exec, s[0:1]
	s_cbranch_vccnz .LBB21_956
; %bb.955:
	v_cvt_f16_f32_e32 v1, v0
	global_store_dword v[2:3], v1, off
.LBB21_956:
	s_mov_b64 s[0:1], 0
.LBB21_957:
	s_andn2_b64 vcc, exec, s[0:1]
	s_cbranch_vccnz .LBB21_966
; %bb.958:
	s_sext_i32_i16 s2, s12
	s_cmp_lt_i32 s2, 6
	s_mov_b64 s[0:1], -1
	s_cbranch_scc1 .LBB21_964
; %bb.959:
	s_cmp_gt_i32 s2, 6
	s_cbranch_scc0 .LBB21_961
; %bb.960:
	v_cvt_f64_f32_e32 v[4:5], v0
	global_store_dwordx2 v[2:3], v[4:5], off
	s_mov_b64 s[0:1], 0
.LBB21_961:
	s_andn2_b64 vcc, exec, s[0:1]
	s_cbranch_vccnz .LBB21_963
; %bb.962:
	global_store_dword v[2:3], v0, off
.LBB21_963:
	s_mov_b64 s[0:1], 0
.LBB21_964:
	s_andn2_b64 vcc, exec, s[0:1]
	s_cbranch_vccnz .LBB21_966
; %bb.965:
	v_cvt_f16_f32_e32 v1, v0
	global_store_short v[2:3], v1, off
.LBB21_966:
	s_mov_b64 s[0:1], 0
.LBB21_967:
	s_andn2_b64 vcc, exec, s[0:1]
	s_cbranch_vccnz .LBB21_983
; %bb.968:
	s_sext_i32_i16 s2, s12
	s_cmp_lt_i32 s2, 2
	s_mov_b64 s[0:1], -1
	s_cbranch_scc1 .LBB21_978
; %bb.969:
	s_cmp_lt_i32 s2, 3
	s_cbranch_scc1 .LBB21_975
; %bb.970:
	s_cmp_gt_i32 s2, 3
	s_cbranch_scc0 .LBB21_972
; %bb.971:
	v_trunc_f32_e32 v1, v0
	s_mov_b32 s0, 0x2f800000
	v_mul_f32_e64 v4, |v1|, s0
	v_floor_f32_e32 v4, v4
	s_mov_b32 s0, 0xcf800000
	v_cvt_u32_f32_e32 v5, v4
	v_fma_f32 v4, v4, s0, |v1|
	v_cvt_u32_f32_e32 v4, v4
	v_ashrrev_i32_e32 v1, 31, v1
	v_xor_b32_e32 v5, v5, v1
	s_mov_b64 s[0:1], 0
	v_xor_b32_e32 v4, v4, v1
	v_sub_co_u32_e32 v4, vcc, v4, v1
	s_nop 1
	v_subb_co_u32_e32 v5, vcc, v5, v1, vcc
	global_store_dwordx2 v[2:3], v[4:5], off
.LBB21_972:
	s_andn2_b64 vcc, exec, s[0:1]
	s_cbranch_vccnz .LBB21_974
; %bb.973:
	v_cvt_i32_f32_e32 v1, v0
	global_store_dword v[2:3], v1, off
.LBB21_974:
	s_mov_b64 s[0:1], 0
.LBB21_975:
	s_andn2_b64 vcc, exec, s[0:1]
	s_cbranch_vccnz .LBB21_977
; %bb.976:
	v_cvt_i32_f32_e32 v1, v0
	global_store_short v[2:3], v1, off
.LBB21_977:
	s_mov_b64 s[0:1], 0
.LBB21_978:
	s_andn2_b64 vcc, exec, s[0:1]
	s_cbranch_vccnz .LBB21_983
; %bb.979:
	s_sext_i32_i16 s0, s12
	s_cmp_gt_i32 s0, 0
	s_mov_b64 s[0:1], -1
	s_cbranch_scc0 .LBB21_981
; %bb.980:
	v_cvt_i32_f32_e32 v1, v0
	s_mov_b64 s[0:1], 0
	global_store_byte v[2:3], v1, off
.LBB21_981:
	s_andn2_b64 vcc, exec, s[0:1]
	s_cbranch_vccnz .LBB21_983
; %bb.982:
	v_trunc_f32_e32 v0, v0
	s_mov_b32 s0, 0x2f800000
	v_mul_f32_e64 v1, |v0|, s0
	v_floor_f32_e32 v1, v1
	s_mov_b32 s0, 0xcf800000
	v_fma_f32 v1, v1, s0, |v0|
	v_cvt_u32_f32_e32 v1, v1
	v_ashrrev_i32_e32 v0, 31, v0
	v_xor_b32_e32 v1, v1, v0
	v_sub_u32_e32 v0, v1, v0
	global_store_byte v[2:3], v0, off
	s_endpgm
.LBB21_983:
	s_endpgm
.LBB21_984:
	s_mov_b64 s[4:5], 0
	s_mov_b64 s[0:1], -1
	s_branch .LBB21_940
.LBB21_985:
	s_andn2_saveexec_b64 s[8:9], s[8:9]
	s_cbranch_execz .LBB21_537
.LBB21_986:
	s_mov_b32 s11, 0x46000000
	v_add_f32_e64 v1, |v26|, s11
	v_and_b32_e32 v1, 0xff, v1
	v_cmp_ne_u32_e32 vcc, 0, v1
	s_andn2_b64 s[6:7], s[6:7], exec
	s_and_b64 s[14:15], vcc, exec
	s_or_b64 s[6:7], s[6:7], s[14:15]
	s_or_b64 exec, exec, s[8:9]
	v_mov_b32_e32 v3, 0
	s_and_saveexec_b64 s[8:9], s[6:7]
	s_cbranch_execnz .LBB21_538
	s_branch .LBB21_539
.LBB21_987:
	s_or_b64 s[2:3], s[38:39], exec
	s_trap 2
	s_cbranch_execz .LBB21_585
	s_branch .LBB21_586
.LBB21_988:
	s_andn2_saveexec_b64 s[6:7], s[6:7]
	s_cbranch_execz .LBB21_550
.LBB21_989:
	s_mov_b32 s8, 0x42800000
	v_add_f32_e64 v1, |v26|, s8
	v_and_b32_e32 v1, 0xff, v1
	v_cmp_ne_u32_e32 vcc, 0, v1
	s_andn2_b64 s[4:5], s[4:5], exec
	s_and_b64 s[8:9], vcc, exec
	s_or_b64 s[4:5], s[4:5], s[8:9]
	s_or_b64 exec, exec, s[6:7]
	v_mov_b32_e32 v3, 0
	s_and_saveexec_b64 s[6:7], s[4:5]
	s_cbranch_execnz .LBB21_551
	s_branch .LBB21_552
.LBB21_990:
	s_andn2_saveexec_b64 s[10:11], s[10:11]
	s_cbranch_execz .LBB21_655
.LBB21_991:
	s_mov_b32 s15, 0x46000000
	v_add_f32_e64 v1, |v24|, s15
	v_and_b32_e32 v1, 0xff, v1
	v_cmp_ne_u32_e32 vcc, 0, v1
	s_andn2_b64 s[8:9], s[8:9], exec
	s_and_b64 s[16:17], vcc, exec
	s_or_b64 s[8:9], s[8:9], s[16:17]
	s_or_b64 exec, exec, s[10:11]
	v_mov_b32_e32 v3, 0
	s_and_saveexec_b64 s[10:11], s[8:9]
	s_cbranch_execnz .LBB21_656
	s_branch .LBB21_657
.LBB21_992:
	s_trap 2
	s_or_b64 s[2:3], s[2:3], exec
	s_cbranch_execz .LBB21_703
	s_branch .LBB21_704
.LBB21_993:
	s_andn2_saveexec_b64 s[8:9], s[8:9]
	s_cbranch_execz .LBB21_668
.LBB21_994:
	s_mov_b32 s10, 0x42800000
	v_add_f32_e64 v1, |v24|, s10
	v_and_b32_e32 v1, 0xff, v1
	v_cmp_ne_u32_e32 vcc, 0, v1
	s_andn2_b64 s[6:7], s[6:7], exec
	s_and_b64 s[10:11], vcc, exec
	s_or_b64 s[6:7], s[6:7], s[10:11]
	s_or_b64 exec, exec, s[8:9]
	v_mov_b32_e32 v3, 0
	s_and_saveexec_b64 s[8:9], s[6:7]
	s_cbranch_execnz .LBB21_669
	s_branch .LBB21_670
.LBB21_995:
	s_andn2_saveexec_b64 s[10:11], s[10:11]
	s_cbranch_execz .LBB21_773
.LBB21_996:
	s_mov_b32 s15, 0x46000000
	v_add_f32_e64 v1, |v22|, s15
	v_and_b32_e32 v1, 0xff, v1
	v_cmp_ne_u32_e32 vcc, 0, v1
	s_andn2_b64 s[8:9], s[8:9], exec
	s_and_b64 s[16:17], vcc, exec
	s_or_b64 s[8:9], s[8:9], s[16:17]
	s_or_b64 exec, exec, s[10:11]
	v_mov_b32_e32 v3, 0
	s_and_saveexec_b64 s[10:11], s[8:9]
	s_cbranch_execnz .LBB21_774
	s_branch .LBB21_775
.LBB21_997:
	s_trap 2
	s_or_b64 s[2:3], s[2:3], exec
	s_cbranch_execz .LBB21_821
	s_branch .LBB21_822
.LBB21_998:
	s_andn2_saveexec_b64 s[6:7], s[6:7]
	s_cbranch_execz .LBB21_295
.LBB21_999:
	s_mov_b32 s10, 0x46000000
	v_add_f32_e64 v1, |v0|, s10
	v_and_b32_e32 v1, 0xff, v1
	v_cmp_ne_u32_e32 vcc, 0, v1
	s_andn2_b64 s[4:5], s[4:5], exec
	s_and_b64 s[10:11], vcc, exec
	s_or_b64 s[4:5], s[4:5], s[10:11]
	s_or_b64 exec, exec, s[6:7]
	v_mov_b32_e32 v4, 0
	s_and_saveexec_b64 s[6:7], s[4:5]
	s_cbranch_execnz .LBB21_296
	s_branch .LBB21_297
.LBB21_1000:
	s_andn2_saveexec_b64 s[8:9], s[8:9]
	s_cbranch_execz .LBB21_786
.LBB21_1001:
	s_mov_b32 s10, 0x42800000
	v_add_f32_e64 v1, |v22|, s10
	v_and_b32_e32 v1, 0xff, v1
	v_cmp_ne_u32_e32 vcc, 0, v1
	s_andn2_b64 s[6:7], s[6:7], exec
	s_and_b64 s[10:11], vcc, exec
	s_or_b64 s[6:7], s[6:7], s[10:11]
	s_or_b64 exec, exec, s[8:9]
	v_mov_b32_e32 v3, 0
	s_and_saveexec_b64 s[8:9], s[6:7]
	s_cbranch_execnz .LBB21_787
	s_branch .LBB21_788
.LBB21_1002:
	s_andn2_saveexec_b64 s[10:11], s[10:11]
	s_cbranch_execz .LBB21_853
.LBB21_1003:
	s_mov_b32 s14, 0x46000000
	v_add_f32_e64 v1, |v0|, s14
	v_and_b32_e32 v1, 0xff, v1
	v_cmp_ne_u32_e32 vcc, 0, v1
	s_andn2_b64 s[8:9], s[8:9], exec
	s_and_b64 s[14:15], vcc, exec
	s_or_b64 s[8:9], s[8:9], s[14:15]
	s_or_b64 exec, exec, s[10:11]
	v_mov_b32_e32 v4, 0
	s_and_saveexec_b64 s[10:11], s[8:9]
	s_cbranch_execnz .LBB21_854
	s_branch .LBB21_855
.LBB21_1004:
	s_mov_b64 s[4:5], 0
	s_or_b64 s[2:3], s[2:3], exec
	s_trap 2
	s_branch .LBB21_899
.LBB21_1005:
	s_andn2_saveexec_b64 s[6:7], s[6:7]
	s_cbranch_execz .LBB21_308
.LBB21_1006:
	s_mov_b32 s10, 0x42800000
	v_add_f32_e64 v1, |v0|, s10
	v_and_b32_e32 v1, 0xff, v1
	v_cmp_ne_u32_e32 vcc, 0, v1
	s_andn2_b64 s[4:5], s[4:5], exec
	s_and_b64 s[10:11], vcc, exec
	s_or_b64 s[4:5], s[4:5], s[10:11]
	s_or_b64 exec, exec, s[6:7]
	v_mov_b32_e32 v4, 0
	s_and_saveexec_b64 s[6:7], s[4:5]
	s_cbranch_execnz .LBB21_309
	s_branch .LBB21_310
.LBB21_1007:
	s_andn2_saveexec_b64 s[6:7], s[6:7]
	s_cbranch_execz .LBB21_418
.LBB21_1008:
	s_mov_b32 s8, 0x46000000
	v_add_f32_e64 v1, |v0|, s8
	v_and_b32_e32 v1, 0xff, v1
	v_cmp_ne_u32_e32 vcc, 0, v1
	s_andn2_b64 s[4:5], s[4:5], exec
	s_and_b64 s[8:9], vcc, exec
	s_or_b64 s[4:5], s[4:5], s[8:9]
	s_or_b64 exec, exec, s[6:7]
	v_mov_b32_e32 v4, 0
	s_and_saveexec_b64 s[6:7], s[4:5]
	s_cbranch_execnz .LBB21_419
	s_branch .LBB21_420
.LBB21_1009:
	s_andn2_saveexec_b64 s[8:9], s[8:9]
	s_cbranch_execz .LBB21_865
.LBB21_1010:
	s_mov_b32 s10, 0x42800000
	v_add_f32_e64 v1, |v0|, s10
	v_and_b32_e32 v1, 0xff, v1
	v_cmp_ne_u32_e32 vcc, 0, v1
	s_andn2_b64 s[6:7], s[6:7], exec
	s_and_b64 s[10:11], vcc, exec
	s_or_b64 s[6:7], s[6:7], s[10:11]
	s_or_b64 exec, exec, s[8:9]
	v_mov_b32_e32 v4, 0
	s_and_saveexec_b64 s[8:9], s[6:7]
	s_cbranch_execnz .LBB21_866
	s_branch .LBB21_867
.LBB21_1011:
	s_andn2_saveexec_b64 s[8:9], s[8:9]
	s_cbranch_execz .LBB21_430
.LBB21_1012:
	s_mov_b32 s12, 0x42800000
	v_add_f32_e64 v1, |v0|, s12
	v_and_b32_e32 v1, 0xff, v1
	v_cmp_ne_u32_e32 vcc, 0, v1
	s_andn2_b64 s[6:7], s[6:7], exec
	s_and_b64 s[12:13], vcc, exec
	s_or_b64 s[6:7], s[6:7], s[12:13]
	s_or_b64 exec, exec, s[8:9]
	v_mov_b32_e32 v4, 0
	s_and_saveexec_b64 s[8:9], s[6:7]
	s_cbranch_execnz .LBB21_431
	s_branch .LBB21_432
	.section	.rodata,"a",@progbits
	.p2align	6, 0x0
	.amdhsa_kernel _ZN2at6native32elementwise_kernel_manual_unrollILi128ELi4EZNS0_15gpu_kernel_implIZZZNS0_12_GLOBAL__N_119airy_ai_kernel_cudaERNS_18TensorIteratorBaseEENKUlvE_clEvENKUlvE0_clEvEUlfE_EEvS5_RKT_EUlibE_EEviT1_
		.amdhsa_group_segment_fixed_size 0
		.amdhsa_private_segment_fixed_size 0
		.amdhsa_kernarg_size 40
		.amdhsa_user_sgpr_count 2
		.amdhsa_user_sgpr_dispatch_ptr 0
		.amdhsa_user_sgpr_queue_ptr 0
		.amdhsa_user_sgpr_kernarg_segment_ptr 1
		.amdhsa_user_sgpr_dispatch_id 0
		.amdhsa_user_sgpr_kernarg_preload_length 0
		.amdhsa_user_sgpr_kernarg_preload_offset 0
		.amdhsa_user_sgpr_private_segment_size 0
		.amdhsa_uses_dynamic_stack 0
		.amdhsa_enable_private_segment 0
		.amdhsa_system_sgpr_workgroup_id_x 1
		.amdhsa_system_sgpr_workgroup_id_y 0
		.amdhsa_system_sgpr_workgroup_id_z 0
		.amdhsa_system_sgpr_workgroup_info 0
		.amdhsa_system_vgpr_workitem_id 0
		.amdhsa_next_free_vgpr 29
		.amdhsa_next_free_sgpr 52
		.amdhsa_accum_offset 32
		.amdhsa_reserve_vcc 1
		.amdhsa_float_round_mode_32 0
		.amdhsa_float_round_mode_16_64 0
		.amdhsa_float_denorm_mode_32 3
		.amdhsa_float_denorm_mode_16_64 3
		.amdhsa_dx10_clamp 1
		.amdhsa_ieee_mode 1
		.amdhsa_fp16_overflow 0
		.amdhsa_tg_split 0
		.amdhsa_exception_fp_ieee_invalid_op 0
		.amdhsa_exception_fp_denorm_src 0
		.amdhsa_exception_fp_ieee_div_zero 0
		.amdhsa_exception_fp_ieee_overflow 0
		.amdhsa_exception_fp_ieee_underflow 0
		.amdhsa_exception_fp_ieee_inexact 0
		.amdhsa_exception_int_div_zero 0
	.end_amdhsa_kernel
	.section	.text._ZN2at6native32elementwise_kernel_manual_unrollILi128ELi4EZNS0_15gpu_kernel_implIZZZNS0_12_GLOBAL__N_119airy_ai_kernel_cudaERNS_18TensorIteratorBaseEENKUlvE_clEvENKUlvE0_clEvEUlfE_EEvS5_RKT_EUlibE_EEviT1_,"axG",@progbits,_ZN2at6native32elementwise_kernel_manual_unrollILi128ELi4EZNS0_15gpu_kernel_implIZZZNS0_12_GLOBAL__N_119airy_ai_kernel_cudaERNS_18TensorIteratorBaseEENKUlvE_clEvENKUlvE0_clEvEUlfE_EEvS5_RKT_EUlibE_EEviT1_,comdat
.Lfunc_end21:
	.size	_ZN2at6native32elementwise_kernel_manual_unrollILi128ELi4EZNS0_15gpu_kernel_implIZZZNS0_12_GLOBAL__N_119airy_ai_kernel_cudaERNS_18TensorIteratorBaseEENKUlvE_clEvENKUlvE0_clEvEUlfE_EEvS5_RKT_EUlibE_EEviT1_, .Lfunc_end21-_ZN2at6native32elementwise_kernel_manual_unrollILi128ELi4EZNS0_15gpu_kernel_implIZZZNS0_12_GLOBAL__N_119airy_ai_kernel_cudaERNS_18TensorIteratorBaseEENKUlvE_clEvENKUlvE0_clEvEUlfE_EEvS5_RKT_EUlibE_EEviT1_
                                        ; -- End function
	.set _ZN2at6native32elementwise_kernel_manual_unrollILi128ELi4EZNS0_15gpu_kernel_implIZZZNS0_12_GLOBAL__N_119airy_ai_kernel_cudaERNS_18TensorIteratorBaseEENKUlvE_clEvENKUlvE0_clEvEUlfE_EEvS5_RKT_EUlibE_EEviT1_.num_vgpr, max(29, .L_ZN2at6native6invokeIZZZNS0_12_GLOBAL__N_119airy_ai_kernel_cudaERNS_18TensorIteratorBaseEENKUlvE_clEvENKUlvE0_clEvEUlfE_i15function_traitsIS7_EEENT1_11result_typeERKT_PrKPcPKT0_PKN3c1010ScalarTypeEi.num_vgpr)
	.set _ZN2at6native32elementwise_kernel_manual_unrollILi128ELi4EZNS0_15gpu_kernel_implIZZZNS0_12_GLOBAL__N_119airy_ai_kernel_cudaERNS_18TensorIteratorBaseEENKUlvE_clEvENKUlvE0_clEvEUlfE_EEvS5_RKT_EUlibE_EEviT1_.num_agpr, max(0, .L_ZN2at6native6invokeIZZZNS0_12_GLOBAL__N_119airy_ai_kernel_cudaERNS_18TensorIteratorBaseEENKUlvE_clEvENKUlvE0_clEvEUlfE_i15function_traitsIS7_EEENT1_11result_typeERKT_PrKPcPKT0_PKN3c1010ScalarTypeEi.num_agpr)
	.set _ZN2at6native32elementwise_kernel_manual_unrollILi128ELi4EZNS0_15gpu_kernel_implIZZZNS0_12_GLOBAL__N_119airy_ai_kernel_cudaERNS_18TensorIteratorBaseEENKUlvE_clEvENKUlvE0_clEvEUlfE_EEvS5_RKT_EUlibE_EEviT1_.numbered_sgpr, max(52, .L_ZN2at6native6invokeIZZZNS0_12_GLOBAL__N_119airy_ai_kernel_cudaERNS_18TensorIteratorBaseEENKUlvE_clEvENKUlvE0_clEvEUlfE_i15function_traitsIS7_EEENT1_11result_typeERKT_PrKPcPKT0_PKN3c1010ScalarTypeEi.numbered_sgpr)
	.set _ZN2at6native32elementwise_kernel_manual_unrollILi128ELi4EZNS0_15gpu_kernel_implIZZZNS0_12_GLOBAL__N_119airy_ai_kernel_cudaERNS_18TensorIteratorBaseEENKUlvE_clEvENKUlvE0_clEvEUlfE_EEvS5_RKT_EUlibE_EEviT1_.num_named_barrier, max(0, .L_ZN2at6native6invokeIZZZNS0_12_GLOBAL__N_119airy_ai_kernel_cudaERNS_18TensorIteratorBaseEENKUlvE_clEvENKUlvE0_clEvEUlfE_i15function_traitsIS7_EEENT1_11result_typeERKT_PrKPcPKT0_PKN3c1010ScalarTypeEi.num_named_barrier)
	.set _ZN2at6native32elementwise_kernel_manual_unrollILi128ELi4EZNS0_15gpu_kernel_implIZZZNS0_12_GLOBAL__N_119airy_ai_kernel_cudaERNS_18TensorIteratorBaseEENKUlvE_clEvENKUlvE0_clEvEUlfE_EEvS5_RKT_EUlibE_EEviT1_.private_seg_size, 0+max(.L_ZN2at6native6invokeIZZZNS0_12_GLOBAL__N_119airy_ai_kernel_cudaERNS_18TensorIteratorBaseEENKUlvE_clEvENKUlvE0_clEvEUlfE_i15function_traitsIS7_EEENT1_11result_typeERKT_PrKPcPKT0_PKN3c1010ScalarTypeEi.private_seg_size)
	.set _ZN2at6native32elementwise_kernel_manual_unrollILi128ELi4EZNS0_15gpu_kernel_implIZZZNS0_12_GLOBAL__N_119airy_ai_kernel_cudaERNS_18TensorIteratorBaseEENKUlvE_clEvENKUlvE0_clEvEUlfE_EEvS5_RKT_EUlibE_EEviT1_.uses_vcc, or(1, .L_ZN2at6native6invokeIZZZNS0_12_GLOBAL__N_119airy_ai_kernel_cudaERNS_18TensorIteratorBaseEENKUlvE_clEvENKUlvE0_clEvEUlfE_i15function_traitsIS7_EEENT1_11result_typeERKT_PrKPcPKT0_PKN3c1010ScalarTypeEi.uses_vcc)
	.set _ZN2at6native32elementwise_kernel_manual_unrollILi128ELi4EZNS0_15gpu_kernel_implIZZZNS0_12_GLOBAL__N_119airy_ai_kernel_cudaERNS_18TensorIteratorBaseEENKUlvE_clEvENKUlvE0_clEvEUlfE_EEvS5_RKT_EUlibE_EEviT1_.uses_flat_scratch, or(0, .L_ZN2at6native6invokeIZZZNS0_12_GLOBAL__N_119airy_ai_kernel_cudaERNS_18TensorIteratorBaseEENKUlvE_clEvENKUlvE0_clEvEUlfE_i15function_traitsIS7_EEENT1_11result_typeERKT_PrKPcPKT0_PKN3c1010ScalarTypeEi.uses_flat_scratch)
	.set _ZN2at6native32elementwise_kernel_manual_unrollILi128ELi4EZNS0_15gpu_kernel_implIZZZNS0_12_GLOBAL__N_119airy_ai_kernel_cudaERNS_18TensorIteratorBaseEENKUlvE_clEvENKUlvE0_clEvEUlfE_EEvS5_RKT_EUlibE_EEviT1_.has_dyn_sized_stack, or(0, .L_ZN2at6native6invokeIZZZNS0_12_GLOBAL__N_119airy_ai_kernel_cudaERNS_18TensorIteratorBaseEENKUlvE_clEvENKUlvE0_clEvEUlfE_i15function_traitsIS7_EEENT1_11result_typeERKT_PrKPcPKT0_PKN3c1010ScalarTypeEi.has_dyn_sized_stack)
	.set _ZN2at6native32elementwise_kernel_manual_unrollILi128ELi4EZNS0_15gpu_kernel_implIZZZNS0_12_GLOBAL__N_119airy_ai_kernel_cudaERNS_18TensorIteratorBaseEENKUlvE_clEvENKUlvE0_clEvEUlfE_EEvS5_RKT_EUlibE_EEviT1_.has_recursion, or(0, .L_ZN2at6native6invokeIZZZNS0_12_GLOBAL__N_119airy_ai_kernel_cudaERNS_18TensorIteratorBaseEENKUlvE_clEvENKUlvE0_clEvEUlfE_i15function_traitsIS7_EEENT1_11result_typeERKT_PrKPcPKT0_PKN3c1010ScalarTypeEi.has_recursion)
	.set _ZN2at6native32elementwise_kernel_manual_unrollILi128ELi4EZNS0_15gpu_kernel_implIZZZNS0_12_GLOBAL__N_119airy_ai_kernel_cudaERNS_18TensorIteratorBaseEENKUlvE_clEvENKUlvE0_clEvEUlfE_EEvS5_RKT_EUlibE_EEviT1_.has_indirect_call, or(0, .L_ZN2at6native6invokeIZZZNS0_12_GLOBAL__N_119airy_ai_kernel_cudaERNS_18TensorIteratorBaseEENKUlvE_clEvENKUlvE0_clEvEUlfE_i15function_traitsIS7_EEENT1_11result_typeERKT_PrKPcPKT0_PKN3c1010ScalarTypeEi.has_indirect_call)
	.section	.AMDGPU.csdata,"",@progbits
; Kernel info:
; codeLenInByte = 17036
; TotalNumSgprs: 58
; NumVgprs: 29
; NumAgprs: 0
; TotalNumVgprs: 29
; ScratchSize: 0
; MemoryBound: 0
; FloatMode: 240
; IeeeMode: 1
; LDSByteSize: 0 bytes/workgroup (compile time only)
; SGPRBlocks: 7
; VGPRBlocks: 3
; NumSGPRsForWavesPerEU: 58
; NumVGPRsForWavesPerEU: 29
; AccumOffset: 32
; Occupancy: 8
; WaveLimiterHint : 0
; COMPUTE_PGM_RSRC2:SCRATCH_EN: 0
; COMPUTE_PGM_RSRC2:USER_SGPR: 2
; COMPUTE_PGM_RSRC2:TRAP_HANDLER: 0
; COMPUTE_PGM_RSRC2:TGID_X_EN: 1
; COMPUTE_PGM_RSRC2:TGID_Y_EN: 0
; COMPUTE_PGM_RSRC2:TGID_Z_EN: 0
; COMPUTE_PGM_RSRC2:TIDIG_COMP_CNT: 0
; COMPUTE_PGM_RSRC3_GFX90A:ACCUM_OFFSET: 7
; COMPUTE_PGM_RSRC3_GFX90A:TG_SPLIT: 0
	.text
	.p2align	2                               ; -- Begin function _ZN2at6native6invokeIZZZNS0_12_GLOBAL__N_119airy_ai_kernel_cudaERNS_18TensorIteratorBaseEENKUlvE_clEvENKUlvE0_clEvEUlfE_j15function_traitsIS7_EEENT1_11result_typeERKT_PrKPcPKT0_PKN3c1010ScalarTypeEi
	.type	_ZN2at6native6invokeIZZZNS0_12_GLOBAL__N_119airy_ai_kernel_cudaERNS_18TensorIteratorBaseEENKUlvE_clEvENKUlvE0_clEvEUlfE_j15function_traitsIS7_EEENT1_11result_typeERKT_PrKPcPKT0_PKN3c1010ScalarTypeEi,@function
_ZN2at6native6invokeIZZZNS0_12_GLOBAL__N_119airy_ai_kernel_cudaERNS_18TensorIteratorBaseEENKUlvE_clEvENKUlvE0_clEvEUlfE_j15function_traitsIS7_EEENT1_11result_typeERKT_PrKPcPKT0_PKN3c1010ScalarTypeEi: ; @_ZN2at6native6invokeIZZZNS0_12_GLOBAL__N_119airy_ai_kernel_cudaERNS_18TensorIteratorBaseEENKUlvE_clEvENKUlvE0_clEvEUlfE_j15function_traitsIS7_EEENT1_11result_typeERKT_PrKPcPKT0_PKN3c1010ScalarTypeEi
; %bb.0:
	s_waitcnt vmcnt(0) expcnt(0) lgkmcnt(0)
	v_mov_b32_e32 v4, v3
	v_mov_b32_e32 v3, 0
	v_lshl_add_u64 v[0:1], v[0:1], 0, v[2:3]
	v_mov_b32_e32 v2, 10
	v_cmp_gt_i16_sdwa s[0:1], v4, v2 src0_sel:BYTE_0 src1_sel:DWORD
	s_mov_b64 s[2:3], 0
                                        ; implicit-def: $vgpr3
	s_and_saveexec_b64 s[4:5], s[0:1]
	s_xor_b64 s[0:1], exec, s[4:5]
	s_cbranch_execz .LBB22_53
; %bb.1:
	v_mov_b32_e32 v2, 25
	v_cmp_gt_i16_sdwa s[6:7], v4, v2 src0_sel:BYTE_0 src1_sel:DWORD
	s_mov_b64 s[8:9], 0
	s_mov_b64 s[4:5], 0
                                        ; implicit-def: $vgpr3
	s_and_saveexec_b64 s[10:11], s[6:7]
	s_xor_b64 s[6:7], exec, s[10:11]
	s_cbranch_execz .LBB22_96
; %bb.2:
	v_mov_b32_e32 v2, 28
	v_cmp_gt_i16_sdwa s[4:5], v4, v2 src0_sel:BYTE_0 src1_sel:DWORD
	s_mov_b64 s[10:11], 0
                                        ; implicit-def: $vgpr3
	s_and_saveexec_b64 s[12:13], s[4:5]
	s_xor_b64 s[4:5], exec, s[12:13]
	s_cbranch_execz .LBB22_18
; %bb.3:
	v_mov_b32_e32 v2, 43
	v_cmp_gt_i16_sdwa s[8:9], v4, v2 src0_sel:BYTE_0 src1_sel:DWORD
	s_mov_b64 s[12:13], 0
	s_mov_b64 s[14:15], 0
                                        ; implicit-def: $vgpr3
	s_and_saveexec_b64 s[10:11], s[8:9]
	s_xor_b64 s[8:9], exec, s[10:11]
	s_cbranch_execz .LBB22_13
; %bb.4:
	v_mov_b32_e32 v2, 45
	v_cmp_gt_i16_sdwa s[14:15], v4, v2 src0_sel:BYTE_0 src1_sel:DWORD
	s_mov_b64 s[10:11], 0
                                        ; implicit-def: $vgpr3
	s_and_saveexec_b64 s[16:17], s[14:15]
	s_xor_b64 s[14:15], exec, s[16:17]
	s_cbranch_execz .LBB22_8
; %bb.5:
	v_mov_b32_e32 v2, 46
	v_cmp_eq_u16_sdwa s[18:19], v4, v2 src0_sel:BYTE_0 src1_sel:DWORD
	s_mov_b64 s[16:17], -1
                                        ; implicit-def: $vgpr3
	s_and_saveexec_b64 s[12:13], s[18:19]
	s_cbranch_execz .LBB22_7
; %bb.6:
	flat_load_dword v2, v[0:1]
	s_mov_b64 s[10:11], exec
	s_xor_b64 s[16:17], exec, -1
	s_waitcnt vmcnt(0) lgkmcnt(0)
	v_lshlrev_b32_e32 v3, 16, v2
.LBB22_7:
	s_or_b64 exec, exec, s[12:13]
	s_and_b64 s[12:13], s[10:11], exec
	s_and_b64 s[10:11], s[16:17], exec
                                        ; implicit-def: $vgpr4
.LBB22_8:
	s_andn2_saveexec_b64 s[14:15], s[14:15]
	s_cbranch_execz .LBB22_12
; %bb.9:
	v_mov_b32_e32 v2, 44
	v_cmp_eq_u16_sdwa s[22:23], v4, v2 src0_sel:BYTE_0 src1_sel:DWORD
	s_mov_b64 s[20:21], -1
	s_mov_b64 s[18:19], s[12:13]
                                        ; implicit-def: $vgpr3
	s_and_saveexec_b64 s[16:17], s[22:23]
	s_cbranch_execz .LBB22_11
; %bb.10:
	flat_load_ubyte v2, v[0:1]
	s_movk_i32 s20, 0xff
	v_mov_b32_e32 v3, 0x7f800001
	v_mov_b32_e32 v4, 0x400000
	s_or_b64 s[18:19], s[12:13], exec
	s_waitcnt vmcnt(0) lgkmcnt(0)
	v_lshlrev_b32_e32 v5, 23, v2
	v_cmp_ne_u32_e32 vcc, s20, v2
	s_xor_b64 s[20:21], exec, -1
	s_nop 0
	v_cndmask_b32_e32 v3, v3, v5, vcc
	v_cmp_ne_u32_e32 vcc, 0, v2
	s_nop 1
	v_cndmask_b32_e32 v3, v4, v3, vcc
.LBB22_11:
	s_or_b64 exec, exec, s[16:17]
	s_andn2_b64 s[12:13], s[12:13], exec
	s_and_b64 s[16:17], s[18:19], exec
	s_or_b64 s[12:13], s[12:13], s[16:17]
	s_andn2_b64 s[10:11], s[10:11], exec
	s_and_b64 s[16:17], s[20:21], exec
	s_or_b64 s[10:11], s[10:11], s[16:17]
.LBB22_12:
	s_or_b64 exec, exec, s[14:15]
	s_and_b64 s[14:15], s[12:13], exec
	s_and_b64 s[12:13], s[10:11], exec
                                        ; implicit-def: $vgpr4
.LBB22_13:
	s_andn2_saveexec_b64 s[8:9], s[8:9]
	s_cbranch_execz .LBB22_17
; %bb.14:
	v_mov_b32_e32 v2, 29
	v_cmp_eq_u16_sdwa s[20:21], v4, v2 src0_sel:BYTE_0 src1_sel:DWORD
	s_mov_b64 s[16:17], -1
	s_mov_b64 s[18:19], s[14:15]
                                        ; implicit-def: $vgpr3
	s_and_saveexec_b64 s[10:11], s[20:21]
	s_cbranch_execz .LBB22_16
; %bb.15:
	flat_load_dwordx2 v[2:3], v[0:1]
	s_or_b64 s[18:19], s[14:15], exec
	s_xor_b64 s[16:17], exec, -1
	s_waitcnt vmcnt(0) lgkmcnt(0)
	v_ffbh_u32_e32 v4, v3
	v_min_u32_e32 v4, 32, v4
	v_lshlrev_b64 v[2:3], v4, v[2:3]
	v_min_u32_e32 v2, 1, v2
	v_or_b32_e32 v2, v3, v2
	v_cvt_f32_u32_e32 v2, v2
	v_sub_u32_e32 v3, 32, v4
	v_ldexp_f32 v3, v2, v3
.LBB22_16:
	s_or_b64 exec, exec, s[10:11]
	s_andn2_b64 s[10:11], s[14:15], exec
	s_and_b64 s[14:15], s[18:19], exec
	s_or_b64 s[14:15], s[10:11], s[14:15]
	s_andn2_b64 s[10:11], s[12:13], exec
	s_and_b64 s[12:13], s[16:17], exec
	s_or_b64 s[12:13], s[10:11], s[12:13]
.LBB22_17:
	s_or_b64 exec, exec, s[8:9]
	s_and_b64 s[10:11], s[14:15], exec
	s_and_b64 s[8:9], s[12:13], exec
                                        ; implicit-def: $vgpr4
.LBB22_18:
	s_andn2_saveexec_b64 s[4:5], s[4:5]
	s_cbranch_execz .LBB22_34
; %bb.19:
	v_mov_b32_e32 v2, 26
	v_cmp_gt_i16_sdwa s[12:13], v4, v2 src0_sel:BYTE_0 src1_sel:DWORD
                                        ; implicit-def: $vgpr3
	s_and_saveexec_b64 s[14:15], s[12:13]
	s_xor_b64 s[12:13], exec, s[14:15]
	s_cbranch_execz .LBB22_25
; %bb.20:
	v_mov_b32_e32 v2, 27
	v_cmp_gt_i16_sdwa s[14:15], v4, v2 src0_sel:BYTE_0 src1_sel:DWORD
                                        ; implicit-def: $vgpr3
	s_and_saveexec_b64 s[16:17], s[14:15]
	s_xor_b64 s[14:15], exec, s[16:17]
	s_cbranch_execz .LBB22_22
; %bb.21:
	flat_load_dword v2, v[0:1]
	s_waitcnt vmcnt(0) lgkmcnt(0)
	v_cvt_f32_u32_e32 v3, v2
.LBB22_22:
	s_andn2_saveexec_b64 s[14:15], s[14:15]
	s_cbranch_execz .LBB22_24
; %bb.23:
	flat_load_ushort v2, v[0:1]
	s_waitcnt vmcnt(0) lgkmcnt(0)
	v_cvt_f32_u32_e32 v3, v2
.LBB22_24:
	s_or_b64 exec, exec, s[14:15]
.LBB22_25:
	s_andn2_saveexec_b64 s[12:13], s[12:13]
	s_cbranch_execz .LBB22_33
; %bb.26:
	flat_load_ubyte v2, v[0:1]
	s_movk_i32 s14, 0x7f
	s_waitcnt vmcnt(0) lgkmcnt(0)
	v_cmp_lt_i16_e32 vcc, s14, v2
	s_mov_b64 s[14:15], 0
	s_and_saveexec_b64 s[16:17], vcc
	s_xor_b64 s[16:17], exec, s[16:17]
	s_cbranch_execz .LBB22_123
; %bb.27:
	s_movk_i32 s14, 0x80
	v_cmp_eq_u16_e32 vcc, s14, v2
	s_mov_b64 s[14:15], -1
	s_and_saveexec_b64 s[18:19], vcc
; %bb.28:
	s_xor_b64 s[14:15], exec, -1
; %bb.29:
	s_or_b64 exec, exec, s[18:19]
	s_and_b64 s[14:15], s[14:15], exec
	s_or_saveexec_b64 s[16:17], s[16:17]
	v_mov_b32_e32 v3, 0x7f800001
	s_xor_b64 exec, exec, s[16:17]
	s_cbranch_execnz .LBB22_124
.LBB22_30:
	s_or_b64 exec, exec, s[16:17]
	s_and_saveexec_b64 s[16:17], s[14:15]
	s_cbranch_execz .LBB22_32
.LBB22_31:
	v_lshlrev_b32_e32 v3, 24, v2
	v_and_b32_e32 v2, 0xffff, v2
	v_and_b32_e32 v4, 7, v2
	v_ffbh_u32_e32 v6, v4
	v_min_u32_e32 v6, 32, v6
	v_subrev_u32_e32 v7, 28, v6
	v_bfe_u32 v5, v2, 3, 4
	v_lshlrev_b32_e32 v2, v7, v2
	v_sub_u32_e32 v6, 29, v6
	v_and_b32_e32 v2, 7, v2
	v_cmp_eq_u32_e32 vcc, 0, v5
	v_and_b32_e32 v3, 0x80000000, v3
	s_nop 0
	v_cndmask_b32_e32 v5, v5, v6, vcc
	v_cndmask_b32_e32 v2, v4, v2, vcc
	v_mov_b32_e32 v4, 0x3b800000
	v_lshlrev_b32_e32 v2, 20, v2
	v_lshl_add_u32 v4, v5, 23, v4
	v_or3_b32 v3, v3, v4, v2
.LBB22_32:
	s_or_b64 exec, exec, s[16:17]
.LBB22_33:
	s_or_b64 exec, exec, s[12:13]
	s_or_b64 s[10:11], s[10:11], exec
.LBB22_34:
	s_or_b64 exec, exec, s[4:5]
	s_and_b64 s[4:5], s[10:11], exec
	s_and_b64 s[8:9], s[8:9], exec
                                        ; implicit-def: $vgpr4
	s_andn2_saveexec_b64 s[6:7], s[6:7]
	s_cbranch_execnz .LBB22_97
.LBB22_35:
	s_or_b64 exec, exec, s[6:7]
	s_and_saveexec_b64 s[6:7], s[8:9]
	s_cbranch_execnz .LBB22_122
.LBB22_36:
	s_or_b64 exec, exec, s[6:7]
	s_and_saveexec_b64 s[6:7], s[2:3]
	s_xor_b64 s[2:3], exec, s[6:7]
	s_cbranch_execz .LBB22_38
.LBB22_37:
	flat_load_ubyte v0, v[0:1]
	s_or_b64 s[4:5], s[4:5], exec
	s_waitcnt vmcnt(0) lgkmcnt(0)
	v_cmp_ne_u16_e32 vcc, 0, v0
	s_nop 1
	v_cndmask_b32_e64 v3, 0, 1.0, vcc
.LBB22_38:
	s_or_b64 exec, exec, s[2:3]
	s_and_b64 s[2:3], s[4:5], exec
                                        ; implicit-def: $vgpr4
                                        ; implicit-def: $vgpr0_vgpr1
	s_andn2_saveexec_b64 s[0:1], s[0:1]
	s_cbranch_execnz .LBB22_54
.LBB22_39:
	s_or_b64 exec, exec, s[0:1]
                                        ; implicit-def: $vgpr0
	s_and_saveexec_b64 s[6:7], s[2:3]
	s_cbranch_execz .LBB22_95
.LBB22_40:
	s_mov_b32 s0, 0x7f800000
	s_waitcnt vmcnt(0) lgkmcnt(0)
	v_cmp_neq_f32_e64 s[0:1], |v3|, s0
	v_mov_b32_e32 v0, 0x7fc00000
	s_and_saveexec_b64 s[8:9], s[0:1]
	s_cbranch_execz .LBB22_134
; %bb.41:
	s_mov_b32 s0, 0x42cfc8b4
	v_cmp_nlt_f32_e32 vcc, s0, v3
	v_mov_b32_e32 v0, 0
	s_and_saveexec_b64 s[10:11], vcc
	s_cbranch_execz .LBB22_133
; %bb.42:
	s_mov_b32 s0, 0xc005c28f
	v_cmp_ngt_f32_e32 vcc, s0, v3
                                        ; implicit-def: $vgpr0
	s_and_saveexec_b64 s[0:1], vcc
	s_xor_b64 s[2:3], exec, s[0:1]
	s_cbranch_execz .LBB22_50
; %bb.43:
	s_mov_b32 s0, 0x4005c28f
	v_cmp_nle_f32_e64 s[4:5], s0, v3
	v_cmp_le_f32_e32 vcc, s0, v3
	v_mov_b32_e32 v0, 0
	s_mov_b64 s[0:1], s[4:5]
	s_and_saveexec_b64 s[12:13], vcc
	s_cbranch_execz .LBB22_45
; %bb.44:
	s_mov_b32 s14, 0xf800000
	v_mul_f32_e32 v0, 0x4f800000, v3
	v_cmp_gt_f32_e32 vcc, s14, v3
	v_mov_b32_e32 v6, 0x260
	v_add_f32_e32 v2, v3, v3
	v_cndmask_b32_e32 v0, v3, v0, vcc
	v_sqrt_f32_e32 v1, v0
	s_mov_b32 s15, 0x40400000
	v_add_u32_e32 v4, -1, v1
	v_fma_f32 v5, -v4, v1, v0
	v_cmp_ge_f32_e64 s[0:1], 0, v5
	v_add_u32_e32 v5, 1, v1
	s_nop 0
	v_cndmask_b32_e64 v4, v1, v4, s[0:1]
	v_fma_f32 v1, -v5, v1, v0
	v_cmp_lt_f32_e64 s[0:1], 0, v1
	s_nop 1
	v_cndmask_b32_e64 v1, v4, v5, s[0:1]
	v_mul_f32_e32 v4, 0x37800000, v1
	v_cndmask_b32_e32 v1, v1, v4, vcc
	v_cmp_class_f32_e32 vcc, v0, v6
	s_nop 1
	v_cndmask_b32_e32 v7, v1, v0, vcc
	v_mul_f32_e32 v0, v2, v7
	v_div_scale_f32 v1, s[0:1], s15, s15, v0
	v_rcp_f32_e32 v2, v1
	s_nop 0
	v_fma_f32 v4, -v1, v2, 1.0
	v_fmac_f32_e32 v2, v4, v2
	v_div_scale_f32 v4, vcc, v0, s15, v0
	v_mul_f32_e32 v5, v4, v2
	v_fma_f32 v8, -v1, v5, v4
	v_fmac_f32_e32 v5, v8, v2
	v_fma_f32 v1, -v1, v5, v4
	v_div_fmas_f32 v1, v1, v2, v5
	v_div_fixup_f32 v8, v1, s15, v0
	v_div_scale_f32 v0, s[0:1], v8, v8, 1.0
	v_rcp_f32_e32 v1, v0
	s_mov_b32 s0, 0x3eb16d71
	s_mov_b32 s1, 0x3f114de0
	v_fma_f32 v2, -v0, v1, 1.0
	v_fmac_f32_e32 v1, v2, v1
	v_div_scale_f32 v2, vcc, 1.0, v8, 1.0
	v_mul_f32_e32 v4, v2, v1
	v_fma_f32 v5, -v0, v4, v2
	v_fmac_f32_e32 v4, v5, v1
	v_fma_f32 v0, -v0, v4, v2
	v_div_fmas_f32 v0, v0, v1, v4
	v_div_fixup_f32 v0, v0, v8, 1.0
	v_mul_f32_e32 v2, 0, v0
	v_pk_add_f32 v[4:5], v[2:3], s[0:1] op_sel_hi:[0,1]
	s_mov_b32 s0, 0x41401f1c
	s_mov_b32 s1, 0x416c19a0
	v_pk_fma_f32 v[4:5], v[0:1], v[4:5], s[0:1] op_sel_hi:[0,1,1]
	s_mov_b32 s0, 0x42988f28
	s_mov_b32 s1, 0x42a9071e
	v_pk_fma_f32 v[4:5], v[0:1], v[4:5], s[0:1] op_sel_hi:[0,1,1]
	;; [unrolled: 3-line block ×6, first 2 shown]
	v_pk_fma_f32 v[0:1], v[0:1], v[4:5], 1.0 op_sel_hi:[0,1,0]
	v_div_scale_f32 v2, s[0:1], v1, v1, v0
	v_rcp_f32_e32 v4, v2
	v_cmp_gt_f32_e64 s[0:1], s14, v7
	v_fma_f32 v5, -v2, v4, 1.0
	v_fmac_f32_e32 v4, v5, v4
	v_div_scale_f32 v5, vcc, v0, v1, v0
	v_mul_f32_e32 v9, v5, v4
	v_fma_f32 v10, -v2, v9, v5
	v_fmac_f32_e32 v9, v10, v4
	v_fma_f32 v2, -v2, v9, v5
	v_mul_f32_e32 v5, 0x4f800000, v7
	v_cndmask_b32_e64 v5, v7, v5, s[0:1]
	v_sqrt_f32_e32 v7, v5
	v_div_fmas_f32 v2, v2, v4, v9
	v_div_fixup_f32 v0, v2, v1, v0
	v_add_u32_e32 v1, -1, v7
	v_fma_f32 v2, -v1, v7, v5
	v_cmp_ge_f32_e32 vcc, 0, v2
	v_add_u32_e32 v2, 1, v7
	v_fma_f32 v4, -v2, v7, v5
	v_cndmask_b32_e32 v1, v7, v1, vcc
	v_cmp_lt_f32_e32 vcc, 0, v4
	s_nop 1
	v_cndmask_b32_e32 v1, v1, v2, vcc
	v_mul_f32_e32 v2, 0x37800000, v1
	v_cndmask_b32_e64 v1, v1, v2, s[0:1]
	v_cmp_class_f32_e32 vcc, v5, v6
	s_mov_b32 s0, 0x3fb8aa3b
	v_mul_f32_e32 v2, 0x3fb8aa3b, v8
	v_cndmask_b32_e32 v1, v1, v5, vcc
	v_fma_f32 v4, v8, s0, -v2
	v_rndne_f32_e32 v5, v2
	v_fmamk_f32 v4, v8, 0x32a5705f, v4
	v_sub_f32_e32 v2, v2, v5
	v_add_f32_e32 v2, v2, v4
	v_exp_f32_e32 v2, v2
	v_cvt_i32_f32_e32 v4, v5
	s_mov_b32 s0, 0x3f106ebb
	s_mov_b32 s1, 2.0
	v_pk_mul_f32 v[0:1], v[0:1], s[0:1]
	s_mov_b32 s0, 0xc2ce8ed0
	v_ldexp_f32 v2, v2, v4
	v_cmp_ngt_f32_e32 vcc, s0, v8
	s_mov_b32 s0, 0x42b17218
	v_mov_b32_e32 v4, 0x7f800000
	v_cndmask_b32_e32 v2, 0, v2, vcc
	v_cmp_nlt_f32_e32 vcc, s0, v8
	s_nop 1
	v_cndmask_b32_e32 v2, v4, v2, vcc
	v_mul_f32_e32 v1, v1, v2
	v_div_scale_f32 v2, s[0:1], v1, v1, v0
	v_rcp_f32_e32 v4, v2
	s_mov_b32 s0, 0x41052018
	v_fma_f32 v5, -v2, v4, 1.0
	v_fmac_f32_e32 v4, v5, v4
	v_div_scale_f32 v5, vcc, v0, v1, v0
	v_mul_f32_e32 v6, v5, v4
	v_fma_f32 v7, -v2, v6, v5
	v_fmac_f32_e32 v6, v7, v4
	v_fma_f32 v2, -v2, v6, v5
	v_div_fmas_f32 v2, v2, v4, v6
	v_cmp_nlt_f32_e32 vcc, s0, v3
	s_andn2_b64 s[0:1], s[4:5], exec
	s_and_b64 s[14:15], vcc, exec
	v_div_fixup_f32 v0, v2, v1, v0
	s_or_b64 s[0:1], s[0:1], s[14:15]
.LBB22_45:
	s_or_b64 exec, exec, s[12:13]
	s_and_saveexec_b64 s[12:13], s[0:1]
	s_cbranch_execz .LBB22_49
; %bb.46:
	v_mul_f32_e32 v1, v3, v3
	v_mul_f32_e32 v4, v3, v1
	v_mov_b32_e32 v5, v4
	s_mov_b64 s[14:15], 0
	v_mov_b32_e32 v1, 1.0
	v_mov_b32_e32 v2, 1.0
	;; [unrolled: 1-line block ×3, first 2 shown]
	s_brev_b32 s16, 44
	v_mov_b32_e32 v7, v3
.LBB22_47:                              ; =>This Inner Loop Header: Depth=1
	v_pk_mul_f32 v[6:7], v[4:5], v[6:7]
	v_add_f32_e32 v8, 1.0, v1
	v_add_f32_e32 v9, 1.0, v8
	v_div_scale_f32 v10, s[0:1], v8, v8, v6
	v_rcp_f32_e32 v12, v10
	v_div_scale_f32 v13, s[0:1], v9, v9, v7
	v_rcp_f32_e32 v15, v13
	v_fma_f32 v16, -v10, v12, 1.0
	v_div_scale_f32 v11, vcc, v6, v8, v6
	v_fmac_f32_e32 v12, v16, v12
	v_fma_f32 v16, -v13, v15, 1.0
	v_div_scale_f32 v14, s[0:1], v7, v9, v7
	v_mul_f32_e32 v17, v11, v12
	v_fmac_f32_e32 v15, v16, v15
	v_fma_f32 v16, -v10, v17, v11
	v_mul_f32_e32 v18, v14, v15
	v_fmac_f32_e32 v17, v16, v12
	v_fma_f32 v16, -v13, v18, v14
	v_fma_f32 v10, -v10, v17, v11
	v_fmac_f32_e32 v18, v16, v15
	v_div_fmas_f32 v10, v10, v12, v17
	v_fma_f32 v11, -v13, v18, v14
	s_mov_b64 vcc, s[0:1]
	v_div_fixup_f32 v6, v10, v8, v6
	v_div_fmas_f32 v8, v11, v15, v18
	v_add_f32_e32 v1, 1.0, v9
	v_div_fixup_f32 v7, v8, v9, v7
	v_div_scale_f32 v8, s[0:1], v9, v9, v6
	v_div_scale_f32 v11, s[18:19], v1, v1, v7
	v_rcp_f32_e32 v13, v8
	v_rcp_f32_e32 v14, v11
	v_div_scale_f32 v10, s[0:1], v6, v9, v6
	v_fma_f32 v15, -v8, v13, 1.0
	v_fma_f32 v16, -v11, v14, 1.0
	v_div_scale_f32 v12, vcc, v7, v1, v7
	v_fmac_f32_e32 v13, v15, v13
	v_fmac_f32_e32 v14, v16, v14
	v_mul_f32_e32 v15, v10, v13
	v_mul_f32_e32 v16, v12, v14
	v_fma_f32 v17, -v8, v15, v10
	v_fma_f32 v18, -v11, v16, v12
	v_fmac_f32_e32 v15, v17, v13
	v_fmac_f32_e32 v16, v18, v14
	v_fma_f32 v8, -v8, v15, v10
	v_fma_f32 v10, -v11, v16, v12
	v_div_fmas_f32 v10, v10, v14, v16
	s_mov_b64 vcc, s[0:1]
	v_div_fmas_f32 v8, v8, v13, v15
	v_div_fixup_f32 v7, v10, v1, v7
	v_div_fixup_f32 v6, v8, v9, v6
	v_pk_add_f32 v[2:3], v[2:3], v[6:7]
	s_nop 0
	v_div_scale_f32 v8, s[0:1], v2, v2, v6
	v_rcp_f32_e32 v9, v8
	v_div_scale_f32 v10, vcc, v6, v2, v6
	v_fma_f32 v11, -v8, v9, 1.0
	v_fmac_f32_e32 v9, v11, v9
	v_mul_f32_e32 v11, v10, v9
	v_fma_f32 v12, -v8, v11, v10
	v_fmac_f32_e32 v11, v12, v9
	v_fma_f32 v8, -v8, v11, v10
	v_div_fmas_f32 v8, v8, v9, v11
	v_div_fixup_f32 v8, v8, v2, v6
	v_cmp_ngt_f32_e64 s[0:1], |v8|, s16
	s_or_b64 s[14:15], s[0:1], s[14:15]
	s_andn2_b64 exec, exec, s[14:15]
	s_cbranch_execnz .LBB22_47
; %bb.48:
	s_or_b64 exec, exec, s[14:15]
	s_mov_b32 s0, 0x3eb5c63d
	s_mov_b32 s1, 0x3e8483fa
	v_pk_mul_f32 v[2:3], v[2:3], s[0:1]
	s_nop 0
	v_sub_f32_e32 v1, v2, v3
	v_cndmask_b32_e64 v0, v0, v1, s[4:5]
.LBB22_49:
	s_or_b64 exec, exec, s[12:13]
                                        ; implicit-def: $vgpr3
.LBB22_50:
	s_andn2_saveexec_b64 s[12:13], s[2:3]
	s_cbranch_execz .LBB22_132
; %bb.51:
	s_mov_b32 s0, 0x8f800000
	v_mul_f32_e32 v0, 0xcf800000, v3
	v_cmp_lt_f32_e32 vcc, s0, v3
	v_mul_f32_e32 v2, -2.0, v3
	s_mov_b32 s2, 0x40400000
	v_cndmask_b32_e64 v0, -v3, v0, vcc
	v_sqrt_f32_e32 v1, v0
	s_nop 0
	v_add_u32_e32 v3, -1, v1
	v_fma_f32 v4, -v3, v1, v0
	v_cmp_ge_f32_e64 s[0:1], 0, v4
	v_add_u32_e32 v4, 1, v1
	s_nop 0
	v_cndmask_b32_e64 v3, v1, v3, s[0:1]
	v_fma_f32 v1, -v4, v1, v0
	v_cmp_lt_f32_e64 s[0:1], 0, v1
	s_nop 1
	v_cndmask_b32_e64 v1, v3, v4, s[0:1]
	v_mul_f32_e32 v3, 0x37800000, v1
	v_cndmask_b32_e32 v1, v1, v3, vcc
	v_mov_b32_e32 v3, 0x260
	v_cmp_class_f32_e32 vcc, v0, v3
	s_nop 1
	v_cndmask_b32_e32 v0, v1, v0, vcc
	v_mul_f32_e32 v1, v2, v0
	v_div_scale_f32 v2, s[0:1], s2, s2, v1
	v_rcp_f32_e32 v3, v2
	s_brev_b32 s0, 18
	v_fma_f32 v4, -v2, v3, 1.0
	v_fmac_f32_e32 v3, v4, v3
	v_div_scale_f32 v4, vcc, v1, s2, v1
	v_mul_f32_e32 v5, v4, v3
	v_fma_f32 v6, -v2, v5, v4
	v_fmac_f32_e32 v5, v6, v3
	v_fma_f32 v2, -v2, v5, v4
	v_div_fmas_f32 v2, v2, v3, v5
	v_div_fixup_f32 v3, v2, s2, v1
	v_add_f32_e32 v1, 0x3f490fdb, v3
	v_and_b32_e32 v2, 0x7fffffff, v1
	v_cmp_nlt_f32_e64 s[14:15], |v1|, s0
	v_lshrrev_b32_e32 v8, 23, v2
                                        ; implicit-def: $vgpr4
                                        ; implicit-def: $vgpr5
	s_and_saveexec_b64 s[0:1], s[14:15]
	s_xor_b64 s[16:17], exec, s[0:1]
	s_cbranch_execz .LBB22_125
; %bb.52:
	v_add_u32_e32 v4, 0xffffff88, v8
	v_not_b32_e32 v5, 63
	v_cmp_lt_u32_e32 vcc, 63, v4
	s_mov_b32 s4, 0xfe5163ab
	v_mov_b32_e32 v7, 0
	v_cndmask_b32_e32 v5, 0, v5, vcc
	v_add_u32_e32 v4, v5, v4
	v_not_b32_e32 v5, 31
	v_cmp_lt_u32_e64 s[0:1], 31, v4
	s_nop 1
	v_cndmask_b32_e64 v6, 0, v5, s[0:1]
	v_add_u32_e32 v4, v6, v4
	v_cmp_lt_u32_e64 s[2:3], 31, v4
	s_nop 1
	v_cndmask_b32_e64 v5, 0, v5, s[2:3]
	v_add_u32_e32 v9, v5, v4
	v_and_b32_e32 v4, 0x7fffff, v2
	v_or_b32_e32 v20, 0x800000, v4
	v_mad_u64_u32 v[4:5], s[4:5], v20, s4, 0
	v_mov_b32_e32 v6, v5
	s_mov_b32 s4, 0x3c439041
	v_mad_u64_u32 v[10:11], s[4:5], v20, s4, v[6:7]
	v_mov_b32_e32 v6, v11
	s_mov_b32 s4, 0xdb629599
	;; [unrolled: 3-line block ×6, first 2 shown]
	v_mad_u64_u32 v[6:7], s[4:5], v20, s4, v[6:7]
	v_cndmask_b32_e32 v5, v18, v14, vcc
	v_cndmask_b32_e32 v6, v6, v16, vcc
	;; [unrolled: 1-line block ×3, first 2 shown]
	v_cndmask_b32_e64 v11, v6, v5, s[0:1]
	v_cndmask_b32_e64 v6, v7, v6, s[0:1]
	v_cndmask_b32_e32 v7, v16, v12, vcc
	v_cndmask_b32_e64 v5, v5, v7, s[0:1]
	v_sub_u32_e32 v13, 32, v9
	v_cmp_eq_u32_e64 s[4:5], 0, v9
	v_cndmask_b32_e32 v9, v14, v10, vcc
	v_cndmask_b32_e64 v6, v6, v11, s[2:3]
	v_cndmask_b32_e64 v11, v11, v5, s[2:3]
	;; [unrolled: 1-line block ×3, first 2 shown]
	v_alignbit_b32 v15, v6, v11, v13
	v_cndmask_b32_e64 v5, v5, v7, s[2:3]
	v_cndmask_b32_e64 v6, v15, v6, s[4:5]
	v_alignbit_b32 v10, v11, v5, v13
	v_cndmask_b32_e32 v4, v12, v4, vcc
	v_cndmask_b32_e64 v10, v10, v11, s[4:5]
	v_bfe_u32 v15, v6, 29, 1
	v_cndmask_b32_e64 v4, v9, v4, s[0:1]
	v_alignbit_b32 v11, v6, v10, 30
	v_sub_u32_e32 v16, 0, v15
	v_cndmask_b32_e64 v4, v7, v4, s[2:3]
	v_xor_b32_e32 v11, v11, v16
	v_alignbit_b32 v7, v5, v4, v13
	v_cndmask_b32_e64 v5, v7, v5, s[4:5]
	v_ffbh_u32_e32 v9, v11
	v_alignbit_b32 v7, v10, v5, 30
	v_min_u32_e32 v9, 32, v9
	v_alignbit_b32 v4, v5, v4, 30
	v_xor_b32_e32 v7, v7, v16
	v_sub_u32_e32 v10, 31, v9
	v_xor_b32_e32 v4, v4, v16
	v_alignbit_b32 v11, v11, v7, v10
	v_alignbit_b32 v4, v7, v4, v10
	;; [unrolled: 1-line block ×3, first 2 shown]
	v_ffbh_u32_e32 v7, v5
	v_min_u32_e32 v7, 32, v7
	v_lshrrev_b32_e32 v14, 29, v6
	v_not_b32_e32 v10, v7
	v_alignbit_b32 v4, v5, v4, v10
	v_lshlrev_b32_e32 v5, 31, v14
	v_or_b32_e32 v10, 0x33000000, v5
	v_add_lshl_u32 v7, v7, v9, 23
	v_lshrrev_b32_e32 v4, 9, v4
	v_sub_u32_e32 v7, v10, v7
	v_or_b32_e32 v5, 0.5, v5
	v_lshlrev_b32_e32 v9, 23, v9
	v_or_b32_e32 v4, v7, v4
	v_lshrrev_b32_e32 v7, 9, v11
	v_sub_u32_e32 v5, v5, v9
	v_or_b32_e32 v5, v7, v5
	s_mov_b32 s0, 0x3fc90fda
	v_mul_f32_e32 v7, 0x3fc90fda, v5
	v_fma_f32 v9, v5, s0, -v7
	v_fmamk_f32 v5, v5, 0x33a22168, v9
	v_fmac_f32_e32 v5, 0x3fc90fda, v4
	v_lshrrev_b32_e32 v4, 30, v6
	v_add_f32_e32 v5, v7, v5
	v_add_u32_e32 v4, v15, v4
	s_andn2_saveexec_b64 s[0:1], s[16:17]
	s_cbranch_execz .LBB22_127
	s_branch .LBB22_126
.LBB22_53:
	s_andn2_saveexec_b64 s[0:1], s[0:1]
	s_cbranch_execz .LBB22_39
.LBB22_54:
	v_mov_b32_e32 v2, 4
	v_cmp_gt_i16_sdwa s[4:5], v4, v2 src0_sel:BYTE_0 src1_sel:DWORD
                                        ; implicit-def: $vgpr3
	s_and_saveexec_b64 s[6:7], s[4:5]
	s_xor_b64 s[4:5], exec, s[6:7]
	s_cbranch_execz .LBB22_76
; %bb.55:
	v_mov_b32_e32 v2, 7
	v_cmp_gt_i16_sdwa s[6:7], v4, v2 src0_sel:BYTE_0 src1_sel:DWORD
                                        ; implicit-def: $vgpr3
	s_and_saveexec_b64 s[8:9], s[6:7]
	s_xor_b64 s[6:7], exec, s[8:9]
	s_cbranch_execz .LBB22_65
; %bb.56:
	;; [unrolled: 7-line block ×4, first 2 shown]
	flat_load_dwordx2 v[0:1], v[0:1]
	s_waitcnt vmcnt(0) lgkmcnt(0)
	v_cvt_f32_f64_e32 v3, v[0:1]
                                        ; implicit-def: $vgpr0_vgpr1
.LBB22_59:
	s_andn2_saveexec_b64 s[10:11], s[10:11]
	s_cbranch_execz .LBB22_61
; %bb.60:
	flat_load_dword v3, v[0:1]
.LBB22_61:
	s_or_b64 exec, exec, s[10:11]
                                        ; implicit-def: $vgpr0_vgpr1
.LBB22_62:
	s_andn2_saveexec_b64 s[8:9], s[8:9]
	s_cbranch_execz .LBB22_64
; %bb.63:
	flat_load_dword v0, v[0:1]
	s_waitcnt vmcnt(0) lgkmcnt(0)
	v_cvt_f32_f16_e32 v3, v0
.LBB22_64:
	s_or_b64 exec, exec, s[8:9]
                                        ; implicit-def: $vgpr0_vgpr1
                                        ; implicit-def: $vgpr4
.LBB22_65:
	s_andn2_saveexec_b64 s[6:7], s[6:7]
	s_cbranch_execz .LBB22_75
; %bb.66:
	v_mov_b32_e32 v2, 5
	v_cmp_gt_i16_sdwa s[8:9], v4, v2 src0_sel:BYTE_0 src1_sel:DWORD
                                        ; implicit-def: $vgpr3
	s_and_saveexec_b64 s[10:11], s[8:9]
	s_xor_b64 s[8:9], exec, s[10:11]
	s_cbranch_execz .LBB22_72
; %bb.67:
	v_mov_b32_e32 v2, 6
	v_cmp_gt_i16_sdwa s[10:11], v4, v2 src0_sel:BYTE_0 src1_sel:DWORD
                                        ; implicit-def: $vgpr3
	s_and_saveexec_b64 s[12:13], s[10:11]
	s_xor_b64 s[10:11], exec, s[12:13]
	s_cbranch_execz .LBB22_69
; %bb.68:
	flat_load_dwordx2 v[0:1], v[0:1]
	s_waitcnt vmcnt(0) lgkmcnt(0)
	v_cvt_f32_f64_e32 v3, v[0:1]
                                        ; implicit-def: $vgpr0_vgpr1
.LBB22_69:
	s_andn2_saveexec_b64 s[10:11], s[10:11]
	s_cbranch_execz .LBB22_71
; %bb.70:
	s_waitcnt vmcnt(0) lgkmcnt(0)
	flat_load_dword v3, v[0:1]
.LBB22_71:
	s_or_b64 exec, exec, s[10:11]
                                        ; implicit-def: $vgpr0_vgpr1
.LBB22_72:
	s_andn2_saveexec_b64 s[8:9], s[8:9]
	s_cbranch_execz .LBB22_74
; %bb.73:
	flat_load_ushort v0, v[0:1]
	s_waitcnt vmcnt(0) lgkmcnt(0)
	v_cvt_f32_f16_e32 v3, v0
.LBB22_74:
	s_or_b64 exec, exec, s[8:9]
.LBB22_75:
	s_or_b64 exec, exec, s[6:7]
                                        ; implicit-def: $vgpr4
                                        ; implicit-def: $vgpr0_vgpr1
.LBB22_76:
	s_andn2_saveexec_b64 s[4:5], s[4:5]
	s_cbranch_execz .LBB22_94
; %bb.77:
	v_mov_b32_e32 v2, 1
	v_cmp_gt_i16_sdwa s[6:7], v4, v2 src0_sel:BYTE_0 src1_sel:DWORD
                                        ; implicit-def: $vgpr3
	s_and_saveexec_b64 s[8:9], s[6:7]
	s_xor_b64 s[6:7], exec, s[8:9]
	s_cbranch_execz .LBB22_87
; %bb.78:
	v_mov_b32_e32 v2, 2
	v_cmp_gt_i16_sdwa s[8:9], v4, v2 src0_sel:BYTE_0 src1_sel:DWORD
                                        ; implicit-def: $vgpr3
	s_and_saveexec_b64 s[10:11], s[8:9]
	s_xor_b64 s[8:9], exec, s[10:11]
	;; [unrolled: 7-line block ×3, first 2 shown]
	s_cbranch_execz .LBB22_81
; %bb.80:
	flat_load_dwordx2 v[0:1], v[0:1]
	s_waitcnt vmcnt(0) lgkmcnt(0)
	v_xor_b32_e32 v3, v0, v1
	v_ffbh_i32_e32 v2, v1
	v_ashrrev_i32_e32 v3, 31, v3
	v_add_u32_e32 v2, -1, v2
	v_add_u32_e32 v3, 32, v3
	v_min_u32_e32 v2, v2, v3
	v_lshlrev_b64 v[0:1], v2, v[0:1]
	v_min_u32_e32 v0, 1, v0
	v_or_b32_e32 v0, v1, v0
	v_cvt_f32_i32_e32 v0, v0
	v_sub_u32_e32 v1, 32, v2
	v_ldexp_f32 v3, v0, v1
                                        ; implicit-def: $vgpr0_vgpr1
.LBB22_81:
	s_andn2_saveexec_b64 s[10:11], s[10:11]
	s_cbranch_execz .LBB22_83
; %bb.82:
	flat_load_dword v0, v[0:1]
	s_waitcnt vmcnt(0) lgkmcnt(0)
	v_cvt_f32_i32_e32 v3, v0
.LBB22_83:
	s_or_b64 exec, exec, s[10:11]
                                        ; implicit-def: $vgpr0_vgpr1
.LBB22_84:
	s_andn2_saveexec_b64 s[8:9], s[8:9]
	s_cbranch_execz .LBB22_86
; %bb.85:
	flat_load_sshort v0, v[0:1]
	s_waitcnt vmcnt(0) lgkmcnt(0)
	v_cvt_f32_i32_e32 v3, v0
.LBB22_86:
	s_or_b64 exec, exec, s[8:9]
                                        ; implicit-def: $vgpr0_vgpr1
                                        ; implicit-def: $vgpr4
.LBB22_87:
	s_andn2_saveexec_b64 s[6:7], s[6:7]
	s_cbranch_execz .LBB22_93
; %bb.88:
	v_mov_b32_e32 v2, 0
	v_cmp_gt_i16_sdwa s[8:9], v4, v2 src0_sel:BYTE_0 src1_sel:DWORD
                                        ; implicit-def: $vgpr3
	s_and_saveexec_b64 s[10:11], s[8:9]
	s_xor_b64 s[8:9], exec, s[10:11]
	s_cbranch_execz .LBB22_90
; %bb.89:
	flat_load_sbyte v0, v[0:1]
	s_waitcnt vmcnt(0) lgkmcnt(0)
	v_cvt_f32_i32_e32 v3, v0
                                        ; implicit-def: $vgpr0_vgpr1
.LBB22_90:
	s_andn2_saveexec_b64 s[8:9], s[8:9]
	s_cbranch_execz .LBB22_92
; %bb.91:
	flat_load_ubyte v0, v[0:1]
	s_waitcnt vmcnt(0) lgkmcnt(0)
	v_cvt_f32_ubyte0_e32 v3, v0
.LBB22_92:
	s_or_b64 exec, exec, s[8:9]
.LBB22_93:
	s_or_b64 exec, exec, s[6:7]
.LBB22_94:
	s_or_b64 exec, exec, s[4:5]
	s_or_b64 s[2:3], s[2:3], exec
	s_or_b64 exec, exec, s[0:1]
                                        ; implicit-def: $vgpr0
	s_and_saveexec_b64 s[6:7], s[2:3]
	s_cbranch_execnz .LBB22_40
.LBB22_95:
	s_or_b64 exec, exec, s[6:7]
	s_waitcnt vmcnt(0) lgkmcnt(0)
	s_setpc_b64 s[30:31]
.LBB22_96:
	s_andn2_saveexec_b64 s[6:7], s[6:7]
	s_cbranch_execz .LBB22_35
.LBB22_97:
	v_mov_b32_e32 v2, 22
	v_cmp_gt_i16_sdwa s[2:3], v4, v2 src0_sel:BYTE_0 src1_sel:DWORD
	s_mov_b64 s[10:11], s[4:5]
                                        ; implicit-def: $vgpr3
	s_and_saveexec_b64 s[12:13], s[2:3]
	s_xor_b64 s[2:3], exec, s[12:13]
	s_cbranch_execz .LBB22_113
; %bb.98:
	v_mov_b32_e32 v2, 23
	v_cmp_gt_i16_sdwa s[10:11], v4, v2 src0_sel:BYTE_0 src1_sel:DWORD
                                        ; implicit-def: $vgpr3
	s_and_saveexec_b64 s[12:13], s[10:11]
	s_xor_b64 s[10:11], exec, s[12:13]
	s_cbranch_execz .LBB22_110
; %bb.99:
	v_mov_b32_e32 v2, 24
	v_cmp_gt_i16_sdwa s[12:13], v4, v2 src0_sel:BYTE_0 src1_sel:DWORD
                                        ; implicit-def: $vgpr3
	s_and_saveexec_b64 s[14:15], s[12:13]
	s_xor_b64 s[12:13], exec, s[14:15]
	s_cbranch_execz .LBB22_107
; %bb.100:
	flat_load_ubyte v2, v[0:1]
	s_movk_i32 s14, 0x7f
	s_waitcnt vmcnt(0) lgkmcnt(0)
	v_cmp_lt_i16_e32 vcc, s14, v2
	s_mov_b64 s[14:15], 0
	s_and_saveexec_b64 s[16:17], vcc
	s_xor_b64 s[16:17], exec, s[16:17]
	s_cbranch_execz .LBB22_135
; %bb.101:
	s_movk_i32 s14, 0x80
	v_cmp_eq_u16_e32 vcc, s14, v2
	s_mov_b64 s[14:15], -1
	s_and_saveexec_b64 s[18:19], vcc
; %bb.102:
	s_xor_b64 s[14:15], exec, -1
; %bb.103:
	s_or_b64 exec, exec, s[18:19]
	s_and_b64 s[14:15], s[14:15], exec
	s_or_saveexec_b64 s[16:17], s[16:17]
	v_mov_b32_e32 v3, 0x7f800001
	s_xor_b64 exec, exec, s[16:17]
	s_cbranch_execnz .LBB22_136
.LBB22_104:
	s_or_b64 exec, exec, s[16:17]
	s_and_saveexec_b64 s[16:17], s[14:15]
	s_cbranch_execz .LBB22_106
.LBB22_105:
	v_lshlrev_b32_e32 v3, 24, v2
	v_and_b32_e32 v2, 0xffff, v2
	v_and_b32_e32 v4, 3, v2
	v_ffbh_u32_e32 v6, v4
	v_min_u32_e32 v6, 32, v6
	v_subrev_u32_e32 v7, 29, v6
	v_bfe_u32 v5, v2, 2, 5
	v_lshlrev_b32_e32 v2, v7, v2
	v_sub_u32_e32 v6, 30, v6
	v_and_b32_e32 v2, 3, v2
	v_cmp_eq_u32_e32 vcc, 0, v5
	v_and_b32_e32 v3, 0x80000000, v3
	s_nop 0
	v_cndmask_b32_e32 v5, v5, v6, vcc
	v_cndmask_b32_e32 v2, v4, v2, vcc
	v_mov_b32_e32 v4, 0x37800000
	v_lshlrev_b32_e32 v2, 21, v2
	v_lshl_add_u32 v4, v5, 23, v4
	v_or3_b32 v3, v3, v4, v2
.LBB22_106:
	s_or_b64 exec, exec, s[16:17]
.LBB22_107:
	s_andn2_saveexec_b64 s[12:13], s[12:13]
	s_cbranch_execz .LBB22_109
; %bb.108:
	flat_load_ubyte v2, v[0:1]
	s_mov_b32 s14, 0x7f800000
	s_waitcnt vmcnt(0) lgkmcnt(0)
	v_lshlrev_b32_e32 v2, 24, v2
	v_and_b32_e32 v3, 0x7f000000, v2
	v_ffbh_u32_e32 v4, v3
	v_min_u32_e32 v4, 32, v4
	v_sub_u32_e64 v4, v4, 4 clamp
	v_lshlrev_b32_e32 v6, v4, v3
	v_lshlrev_b32_e32 v4, 23, v4
	v_lshrrev_b32_e32 v6, 4, v6
	v_add_u32_e32 v5, 0x1000000, v3
	v_sub_u32_e32 v4, v6, v4
	v_ashrrev_i32_e32 v5, 8, v5
	v_add_u32_e32 v4, 0x3c000000, v4
	v_and_or_b32 v4, v5, s14, v4
	v_cmp_ne_u32_e32 vcc, 0, v3
	s_brev_b32 s14, 1
	s_nop 0
	v_cndmask_b32_e32 v3, 0, v4, vcc
	v_and_or_b32 v3, v2, s14, v3
.LBB22_109:
	s_or_b64 exec, exec, s[12:13]
.LBB22_110:
	s_andn2_saveexec_b64 s[10:11], s[10:11]
	s_cbranch_execz .LBB22_112
; %bb.111:
	flat_load_ubyte v2, v[0:1]
	s_movk_i32 s12, 0x7f00
	s_brev_b32 s13, 16
	s_waitcnt vmcnt(0) lgkmcnt(0)
	v_lshlrev_b16_e32 v3, 8, v2
	v_lshlrev_b32_e32 v2, 25, v2
	v_lshrrev_b32_e32 v4, 4, v2
	v_and_or_b32 v5, v3, s12, 0.5
	v_or_b32_e32 v4, 0x70000000, v4
	v_add_f32_e32 v5, -0.5, v5
	v_mul_f32_e32 v4, 0x7800000, v4
	v_cmp_gt_u32_e32 vcc, s13, v2
	v_bfe_i32 v3, v3, 0, 16
	s_brev_b32 s12, 1
	v_cndmask_b32_e32 v2, v4, v5, vcc
	v_and_or_b32 v3, v3, s12, v2
.LBB22_112:
	s_or_b64 exec, exec, s[10:11]
	s_or_b64 s[10:11], s[4:5], exec
                                        ; implicit-def: $vgpr4
.LBB22_113:
	s_or_saveexec_b64 s[2:3], s[2:3]
	s_mov_b64 s[14:15], 0
	s_mov_b64 s[12:13], s[8:9]
	s_xor_b64 exec, exec, s[2:3]
	s_cbranch_execz .LBB22_121
; %bb.114:
	v_mov_b32_e32 v2, 14
	v_cmp_gt_i16_sdwa s[16:17], v4, v2 src0_sel:BYTE_0 src1_sel:DWORD
	s_mov_b64 s[12:13], s[8:9]
	s_mov_b64 s[14:15], s[10:11]
                                        ; implicit-def: $vgpr3
	s_and_saveexec_b64 s[18:19], s[16:17]
	s_xor_b64 s[16:17], exec, s[18:19]
	s_cbranch_execz .LBB22_118
; %bb.115:
	v_mov_b32_e32 v2, 15
	v_cmp_eq_u16_sdwa s[20:21], v4, v2 src0_sel:BYTE_0 src1_sel:DWORD
	s_mov_b64 s[12:13], -1
	s_mov_b64 s[14:15], s[10:11]
                                        ; implicit-def: $vgpr3
	s_and_saveexec_b64 s[18:19], s[20:21]
	s_cbranch_execz .LBB22_117
; %bb.116:
	flat_load_ushort v2, v[0:1]
	s_or_b64 s[14:15], s[10:11], exec
	s_xor_b64 s[12:13], exec, -1
	s_waitcnt vmcnt(0) lgkmcnt(0)
	v_lshlrev_b32_e32 v3, 16, v2
.LBB22_117:
	s_or_b64 exec, exec, s[18:19]
	s_andn2_b64 s[18:19], s[10:11], exec
	s_and_b64 s[14:15], s[14:15], exec
	s_or_b64 s[14:15], s[18:19], s[14:15]
	s_andn2_b64 s[18:19], s[8:9], exec
	s_and_b64 s[12:13], s[12:13], exec
	s_or_b64 s[12:13], s[18:19], s[12:13]
                                        ; implicit-def: $vgpr4
.LBB22_118:
	s_or_saveexec_b64 s[16:17], s[16:17]
	s_mov_b64 s[18:19], 0
	s_xor_b64 exec, exec, s[16:17]
; %bb.119:
	v_mov_b32_e32 v2, 11
	v_cmp_ne_u16_sdwa s[20:21], v4, v2 src0_sel:BYTE_0 src1_sel:DWORD
	s_andn2_b64 s[12:13], s[12:13], exec
	s_and_b64 s[20:21], s[20:21], exec
	s_mov_b64 s[18:19], exec
	s_or_b64 s[12:13], s[12:13], s[20:21]
; %bb.120:
	s_or_b64 exec, exec, s[16:17]
	s_andn2_b64 s[10:11], s[10:11], exec
	s_and_b64 s[14:15], s[14:15], exec
	s_andn2_b64 s[16:17], s[8:9], exec
	s_and_b64 s[12:13], s[12:13], exec
	s_or_b64 s[10:11], s[10:11], s[14:15]
	s_and_b64 s[14:15], s[18:19], exec
	s_or_b64 s[12:13], s[16:17], s[12:13]
.LBB22_121:
	s_or_b64 exec, exec, s[2:3]
	s_andn2_b64 s[2:3], s[4:5], exec
	s_and_b64 s[4:5], s[10:11], exec
	s_andn2_b64 s[8:9], s[8:9], exec
	s_and_b64 s[10:11], s[12:13], exec
	s_or_b64 s[4:5], s[2:3], s[4:5]
	s_and_b64 s[2:3], s[14:15], exec
	s_or_b64 s[8:9], s[8:9], s[10:11]
	s_or_b64 exec, exec, s[6:7]
	s_and_saveexec_b64 s[6:7], s[8:9]
	s_cbranch_execz .LBB22_36
.LBB22_122:
	s_trap 2
	; divergent unreachable
	s_andn2_b64 s[2:3], s[2:3], exec
	s_or_b64 exec, exec, s[6:7]
	s_and_saveexec_b64 s[6:7], s[2:3]
	s_xor_b64 s[2:3], exec, s[6:7]
	s_cbranch_execnz .LBB22_37
	s_branch .LBB22_38
.LBB22_123:
	s_or_saveexec_b64 s[16:17], s[16:17]
	v_mov_b32_e32 v3, 0x7f800001
	s_xor_b64 exec, exec, s[16:17]
	s_cbranch_execz .LBB22_30
.LBB22_124:
	v_cmp_ne_u16_e32 vcc, 0, v2
	s_andn2_b64 s[14:15], s[14:15], exec
	s_and_b64 s[18:19], vcc, exec
	v_mov_b32_e32 v3, 0
	s_or_b64 s[14:15], s[14:15], s[18:19]
	s_or_b64 exec, exec, s[16:17]
	s_and_saveexec_b64 s[16:17], s[14:15]
	s_cbranch_execnz .LBB22_31
	s_branch .LBB22_32
.LBB22_125:
	s_andn2_saveexec_b64 s[0:1], s[16:17]
	s_cbranch_execz .LBB22_127
.LBB22_126:
	s_mov_b32 s2, 0x3f22f983
	v_mul_f32_e64 v4, |v1|, s2
	v_rndne_f32_e32 v5, v4
	s_mov_b32 s2, 0xbfc90fda
	v_cvt_i32_f32_e32 v4, v5
	v_fma_f32 v6, v5, s2, |v1|
	v_fmamk_f32 v6, v5, 0xb3a22168, v6
	v_fmamk_f32 v5, v5, 0xa7c234c4, v6
.LBB22_127:
	s_or_b64 exec, exec, s[0:1]
                                        ; implicit-def: $vgpr6
                                        ; implicit-def: $vgpr7
	s_and_saveexec_b64 s[0:1], s[14:15]
	s_xor_b64 s[14:15], exec, s[0:1]
	s_cbranch_execz .LBB22_129
; %bb.128:
	v_add_u32_e32 v6, 0xffffff88, v8
	v_not_b32_e32 v7, 63
	v_cmp_lt_u32_e32 vcc, 63, v6
	s_mov_b32 s4, 0xfe5163ab
	v_mov_b32_e32 v9, 0
	v_cndmask_b32_e32 v7, 0, v7, vcc
	v_add_u32_e32 v6, v7, v6
	v_not_b32_e32 v7, 31
	v_cmp_lt_u32_e64 s[0:1], 31, v6
	s_nop 1
	v_cndmask_b32_e64 v8, 0, v7, s[0:1]
	v_add_u32_e32 v6, v8, v6
	v_cmp_lt_u32_e64 s[2:3], 31, v6
	s_nop 1
	v_cndmask_b32_e64 v7, 0, v7, s[2:3]
	v_add_u32_e32 v20, v7, v6
	v_and_b32_e32 v6, 0x7fffff, v2
	v_or_b32_e32 v21, 0x800000, v6
	v_mad_u64_u32 v[6:7], s[4:5], v21, s4, 0
	v_mov_b32_e32 v8, v7
	s_mov_b32 s4, 0x3c439041
	v_mad_u64_u32 v[10:11], s[4:5], v21, s4, v[8:9]
	v_mov_b32_e32 v8, v11
	s_mov_b32 s4, 0xdb629599
	;; [unrolled: 3-line block ×6, first 2 shown]
	v_mad_u64_u32 v[8:9], s[4:5], v21, s4, v[8:9]
	v_cndmask_b32_e32 v7, v18, v14, vcc
	v_cndmask_b32_e32 v8, v8, v16, vcc
	;; [unrolled: 1-line block ×3, first 2 shown]
	v_cndmask_b32_e64 v11, v8, v7, s[0:1]
	v_cndmask_b32_e64 v8, v9, v8, s[0:1]
	v_cndmask_b32_e32 v9, v16, v12, vcc
	v_cndmask_b32_e64 v7, v7, v9, s[0:1]
	v_cndmask_b32_e32 v10, v14, v10, vcc
	v_cndmask_b32_e64 v8, v8, v11, s[2:3]
	v_cndmask_b32_e64 v11, v11, v7, s[2:3]
	v_sub_u32_e32 v13, 32, v20
	v_cndmask_b32_e64 v9, v9, v10, s[0:1]
	v_alignbit_b32 v15, v8, v11, v13
	v_cmp_eq_u32_e64 s[4:5], 0, v20
	v_cndmask_b32_e64 v7, v7, v9, s[2:3]
	v_alignbit_b32 v14, v11, v7, v13
	v_cndmask_b32_e64 v8, v15, v8, s[4:5]
	v_cndmask_b32_e32 v6, v12, v6, vcc
	v_cndmask_b32_e64 v11, v14, v11, s[4:5]
	v_bfe_u32 v16, v8, 29, 1
	v_cndmask_b32_e64 v6, v10, v6, s[0:1]
	v_alignbit_b32 v14, v8, v11, 30
	v_sub_u32_e32 v17, 0, v16
	v_cndmask_b32_e64 v6, v9, v6, s[2:3]
	v_xor_b32_e32 v14, v14, v17
	v_alignbit_b32 v9, v7, v6, v13
	v_cndmask_b32_e64 v7, v9, v7, s[4:5]
	v_ffbh_u32_e32 v10, v14
	v_alignbit_b32 v9, v11, v7, 30
	v_min_u32_e32 v10, 32, v10
	v_alignbit_b32 v6, v7, v6, 30
	v_xor_b32_e32 v9, v9, v17
	v_sub_u32_e32 v11, 31, v10
	v_xor_b32_e32 v6, v6, v17
	v_alignbit_b32 v12, v14, v9, v11
	v_alignbit_b32 v6, v9, v6, v11
	;; [unrolled: 1-line block ×3, first 2 shown]
	v_ffbh_u32_e32 v9, v7
	v_min_u32_e32 v9, 32, v9
	v_lshrrev_b32_e32 v15, 29, v8
	v_not_b32_e32 v11, v9
	v_alignbit_b32 v6, v7, v6, v11
	v_lshlrev_b32_e32 v7, 31, v15
	v_or_b32_e32 v11, 0x33000000, v7
	v_add_lshl_u32 v9, v9, v10, 23
	v_lshrrev_b32_e32 v6, 9, v6
	v_sub_u32_e32 v9, v11, v9
	v_or_b32_e32 v7, 0.5, v7
	v_lshlrev_b32_e32 v10, 23, v10
	v_or_b32_e32 v6, v9, v6
	v_lshrrev_b32_e32 v9, 9, v12
	v_sub_u32_e32 v7, v7, v10
	v_or_b32_e32 v7, v9, v7
	s_mov_b32 s0, 0x3fc90fda
	v_mul_f32_e32 v9, 0x3fc90fda, v7
	v_fma_f32 v10, v7, s0, -v9
	v_fmamk_f32 v7, v7, 0x33a22168, v10
	v_fmac_f32_e32 v7, 0x3fc90fda, v6
	v_lshrrev_b32_e32 v6, 30, v8
	v_add_f32_e32 v7, v9, v7
	v_add_u32_e32 v6, v16, v6
	s_andn2_saveexec_b64 s[0:1], s[14:15]
	s_cbranch_execnz .LBB22_130
	s_branch .LBB22_131
.LBB22_129:
	s_andn2_saveexec_b64 s[0:1], s[14:15]
	s_cbranch_execz .LBB22_131
.LBB22_130:
	s_mov_b32 s2, 0x3f22f983
	v_mul_f32_e64 v6, |v1|, s2
	v_rndne_f32_e32 v7, v6
	s_mov_b32 s2, 0xbfc90fda
	v_cvt_i32_f32_e32 v6, v7
	v_fma_f32 v8, v7, s2, |v1|
	v_fmamk_f32 v8, v7, 0xb3a22168, v8
	v_fmamk_f32 v7, v7, 0xa7c234c4, v8
.LBB22_131:
	s_or_b64 exec, exec, s[0:1]
	v_div_scale_f32 v8, s[0:1], v3, v3, 1.0
	v_rcp_f32_e32 v9, v8
	v_div_scale_f32 v10, vcc, 1.0, v3, 1.0
	v_xor_b32_e32 v2, v2, v1
	v_fma_f32 v11, -v8, v9, 1.0
	v_fmac_f32_e32 v9, v11, v9
	v_mul_f32_e32 v11, v10, v9
	v_fma_f32 v12, -v8, v11, v10
	v_fmac_f32_e32 v11, v12, v9
	v_fma_f32 v8, -v8, v11, v10
	v_div_fmas_f32 v8, v8, v9, v11
	v_div_fixup_f32 v3, v8, v3, 1.0
	v_mul_f32_e32 v8, v3, v3
	v_mov_b32_e32 v9, 0xbe06db67
	v_mul_f32_e32 v11, v5, v5
	v_mov_b32_e32 v12, 0x3c0881c4
	v_fmac_f32_e32 v9, 0, v8
	v_mov_b32_e32 v10, 0x4155b259
	v_fmamk_f32 v13, v11, 0xb94c1982, v12
	v_fmaak_f32 v9, v8, v9, 0xbf205f75
	v_fmac_f32_e32 v10, 0, v8
	v_fmaak_f32 v13, v11, v13, 0xbe2aaa9d
	v_fmaak_f32 v9, v8, v9, 0xbf3172ce
	;; [unrolled: 1-line block ×3, first 2 shown]
	v_mul_f32_e32 v13, v11, v13
	v_fmaak_f32 v9, v8, v9, 0xbe8f3f52
	v_fmaak_f32 v10, v8, v10, 0x41d5e4c5
	v_fmac_f32_e32 v5, v5, v13
	v_mov_b32_e32 v13, 0xbab64f3b
	v_fmaak_f32 v9, v8, v9, 0xbd497b78
	v_fmaak_f32 v10, v8, v10, 0x4112fe41
	v_fmamk_f32 v15, v11, 0x37d75334, v13
	v_fmaak_f32 v9, v8, v9, 0xbb85200e
	v_fmaak_f32 v10, v8, v10, 0x3fbcd65a
	v_fmaak_f32 v15, v11, v15, 0x3d2aabf7
	v_fmaak_f32 v9, v8, v9, 0xb9270375
	v_fmaak_f32 v10, v8, v10, 0x3deced66
	v_fmaak_f32 v15, v11, v15, 0xbf000004
	v_fmaak_f32 v9, v8, v9, 0xb63a53c1
	v_fmaak_f32 v10, v8, v10, 0x3b904657
	v_fma_f32 v11, v11, v15, 1.0
	v_and_b32_e32 v15, 1, v4
	v_lshlrev_b32_e32 v4, 30, v4
	v_fmaak_f32 v10, v8, v10, 0x389e46bd
	v_fmaak_f32 v9, v8, v9, 0xb29020e8
	v_cmp_eq_u32_e32 vcc, 0, v15
	v_and_b32_e32 v4, 0x80000000, v4
	v_fmaak_f32 v10, v8, v10, 0x34f295ce
	v_cndmask_b32_e32 v5, v11, v5, vcc
	v_xor_b32_e32 v2, v2, v4
	v_mul_f32_e32 v4, v8, v9
	v_xor_b32_e32 v2, v2, v5
	v_div_scale_f32 v5, s[0:1], v10, v10, v4
	v_rcp_f32_e32 v9, v5
	s_movk_i32 s2, 0x1f8
	v_mov_b32_e32 v11, 0x7fc00000
	v_cmp_class_f32_e64 s[0:1], v1, s2
	s_mov_b32 s2, 0xf800000
	s_mov_b32 s5, 0x3f106ebb
	v_cndmask_b32_e64 v1, v11, v2, s[0:1]
	v_fma_f32 v2, -v5, v9, 1.0
	v_fmac_f32_e32 v9, v2, v9
	v_div_scale_f32 v2, vcc, v4, v10, v4
	v_mul_f32_e32 v15, v2, v9
	v_fma_f32 v18, -v5, v15, v2
	v_fmac_f32_e32 v15, v18, v9
	v_fma_f32 v2, -v5, v15, v2
	v_div_fmas_f32 v2, v2, v9, v15
	v_mul_f32_e32 v9, 0x4f800000, v0
	v_cmp_gt_f32_e32 vcc, s2, v0
	v_div_fixup_f32 v2, v2, v10, v4
	v_mov_b32_e32 v4, 0x3ca1a92f
	v_cndmask_b32_e32 v0, v0, v9, vcc
	v_sqrt_f32_e32 v9, v0
	v_fmac_f32_e32 v4, 0, v8
	v_mov_b32_e32 v5, 0x4114f160
	v_fmaak_f32 v4, v8, v4, 0x3ec83ea8
	v_add_u32_e32 v10, -1, v9
	v_fma_f32 v15, -v10, v9, v0
	v_cmp_ge_f32_e64 s[2:3], 0, v15
	v_add_u32_e32 v15, 1, v9
	v_fmac_f32_e32 v5, 0, v8
	v_cndmask_b32_e64 v10, v9, v10, s[2:3]
	v_fma_f32 v9, -v15, v9, v0
	v_cmp_lt_f32_e64 s[2:3], 0, v9
	v_fmaak_f32 v4, v8, v4, 0x3f886c1a
	v_fmaak_f32 v5, v8, v5, 0x419eaeae
	v_cndmask_b32_e64 v9, v10, v15, s[2:3]
	v_mul_f32_e32 v10, 0x37800000, v9
	v_cndmask_b32_e32 v9, v9, v10, vcc
	v_mov_b32_e32 v10, 0x260
	v_fmaak_f32 v4, v8, v4, 0x3f706d65
	v_fmaak_f32 v5, v8, v5, 0x417908dc
	v_cmp_class_f32_e32 vcc, v0, v10
	v_fmaak_f32 v4, v8, v4, 0x3eb3f34e
	v_fmaak_f32 v5, v8, v5, 0x40af4271
	v_cndmask_b32_e32 v0, v9, v0, vcc
	v_fmaak_f32 v4, v8, v4, 0x3d81d209
	v_fmaak_f32 v5, v8, v5, 0x3f744c96
	v_div_scale_f32 v9, s[2:3], v0, v0, s5
	v_fmaak_f32 v4, v8, v4, 0x3bbff4d0
	v_fmaak_f32 v5, v8, v5, 0x3db110ef
	v_rcp_f32_e32 v10, v9
	v_fmaak_f32 v4, v8, v4, 0x39944bb3
	v_fmaak_f32 v5, v8, v5, 0x3b873823
	;; [unrolled: 1-line block ×8, first 2 shown]
	v_fma_f32 v8, -v9, v10, 1.0
	v_fmac_f32_e32 v10, v8, v10
	v_div_scale_f32 v8, vcc, s5, v0, s5
	v_mul_f32_e32 v15, v8, v10
	v_fma_f32 v18, -v9, v15, v8
	v_fmac_f32_e32 v15, v18, v10
	v_fma_f32 v8, -v9, v15, v8
	v_div_fmas_f32 v8, v8, v10, v15
	v_div_fixup_f32 v0, v8, v0, s5
	v_mul_f32_e32 v8, v7, v7
	v_mov_b32_e32 v14, 0xbe2aaa9d
	v_fmac_f32_e32 v12, 0xb94c1982, v8
	v_mov_b32_e32 v16, 0x3d2aabf7
	v_fmac_f32_e32 v14, v8, v12
	v_fmac_f32_e32 v13, 0x37d75334, v8
	v_mov_b32_e32 v17, 0xbf000004
	v_mul_f32_e32 v9, v8, v14
	v_fmac_f32_e32 v16, v8, v13
	v_fmac_f32_e32 v7, v7, v9
	;; [unrolled: 1-line block ×3, first 2 shown]
	v_and_b32_e32 v9, 1, v6
	v_mul_f32_e32 v3, v3, v4
	v_fma_f32 v8, v8, v17, 1.0
	v_cmp_eq_u32_e32 vcc, 0, v9
	v_div_scale_f32 v4, s[2:3], v5, v5, v3
	s_nop 0
	v_cndmask_b32_e64 v7, -v7, v8, vcc
	v_rcp_f32_e32 v8, v4
	s_brev_b32 s4, 1
	v_lshlrev_b32_e32 v6, 30, v6
	v_bitop3_b32 v6, v6, v7, s4 bitop3:0x6c
	v_fma_f32 v7, -v4, v8, 1.0
	v_fmac_f32_e32 v8, v7, v8
	v_div_scale_f32 v7, vcc, v3, v5, v3
	v_mul_f32_e32 v9, v7, v8
	v_fma_f32 v10, -v4, v9, v7
	v_fmac_f32_e32 v9, v10, v8
	v_fma_f32 v4, -v4, v9, v7
	v_div_fmas_f32 v4, v4, v8, v9
	v_cndmask_b32_e64 v6, v11, v6, s[0:1]
	v_div_fixup_f32 v3, v4, v5, v3
	v_add_f32_e32 v2, 1.0, v2
	v_mul_f32_e32 v3, v3, v6
	v_fma_f32 v1, v2, v1, -v3
	v_mul_f32_e32 v0, v0, v1
.LBB22_132:
	s_or_b64 exec, exec, s[12:13]
.LBB22_133:
	s_or_b64 exec, exec, s[10:11]
.LBB22_134:
	s_or_b64 exec, exec, s[8:9]
	s_or_b64 exec, exec, s[6:7]
	s_setpc_b64 s[30:31]
.LBB22_135:
	s_or_saveexec_b64 s[16:17], s[16:17]
	v_mov_b32_e32 v3, 0x7f800001
	s_xor_b64 exec, exec, s[16:17]
	s_cbranch_execz .LBB22_104
.LBB22_136:
	v_cmp_ne_u16_e32 vcc, 0, v2
	s_andn2_b64 s[14:15], s[14:15], exec
	s_and_b64 s[18:19], vcc, exec
	v_mov_b32_e32 v3, 0
	s_or_b64 s[14:15], s[14:15], s[18:19]
	s_or_b64 exec, exec, s[16:17]
	s_and_saveexec_b64 s[16:17], s[14:15]
	s_cbranch_execnz .LBB22_105
	s_branch .LBB22_106
.Lfunc_end22:
	.size	_ZN2at6native6invokeIZZZNS0_12_GLOBAL__N_119airy_ai_kernel_cudaERNS_18TensorIteratorBaseEENKUlvE_clEvENKUlvE0_clEvEUlfE_j15function_traitsIS7_EEENT1_11result_typeERKT_PrKPcPKT0_PKN3c1010ScalarTypeEi, .Lfunc_end22-_ZN2at6native6invokeIZZZNS0_12_GLOBAL__N_119airy_ai_kernel_cudaERNS_18TensorIteratorBaseEENKUlvE_clEvENKUlvE0_clEvEUlfE_j15function_traitsIS7_EEENT1_11result_typeERKT_PrKPcPKT0_PKN3c1010ScalarTypeEi
                                        ; -- End function
	.set .L_ZN2at6native6invokeIZZZNS0_12_GLOBAL__N_119airy_ai_kernel_cudaERNS_18TensorIteratorBaseEENKUlvE_clEvENKUlvE0_clEvEUlfE_j15function_traitsIS7_EEENT1_11result_typeERKT_PrKPcPKT0_PKN3c1010ScalarTypeEi.num_vgpr, 22
	.set .L_ZN2at6native6invokeIZZZNS0_12_GLOBAL__N_119airy_ai_kernel_cudaERNS_18TensorIteratorBaseEENKUlvE_clEvENKUlvE0_clEvEUlfE_j15function_traitsIS7_EEENT1_11result_typeERKT_PrKPcPKT0_PKN3c1010ScalarTypeEi.num_agpr, 0
	.set .L_ZN2at6native6invokeIZZZNS0_12_GLOBAL__N_119airy_ai_kernel_cudaERNS_18TensorIteratorBaseEENKUlvE_clEvENKUlvE0_clEvEUlfE_j15function_traitsIS7_EEENT1_11result_typeERKT_PrKPcPKT0_PKN3c1010ScalarTypeEi.numbered_sgpr, 32
	.set .L_ZN2at6native6invokeIZZZNS0_12_GLOBAL__N_119airy_ai_kernel_cudaERNS_18TensorIteratorBaseEENKUlvE_clEvENKUlvE0_clEvEUlfE_j15function_traitsIS7_EEENT1_11result_typeERKT_PrKPcPKT0_PKN3c1010ScalarTypeEi.num_named_barrier, 0
	.set .L_ZN2at6native6invokeIZZZNS0_12_GLOBAL__N_119airy_ai_kernel_cudaERNS_18TensorIteratorBaseEENKUlvE_clEvENKUlvE0_clEvEUlfE_j15function_traitsIS7_EEENT1_11result_typeERKT_PrKPcPKT0_PKN3c1010ScalarTypeEi.private_seg_size, 0
	.set .L_ZN2at6native6invokeIZZZNS0_12_GLOBAL__N_119airy_ai_kernel_cudaERNS_18TensorIteratorBaseEENKUlvE_clEvENKUlvE0_clEvEUlfE_j15function_traitsIS7_EEENT1_11result_typeERKT_PrKPcPKT0_PKN3c1010ScalarTypeEi.uses_vcc, 1
	.set .L_ZN2at6native6invokeIZZZNS0_12_GLOBAL__N_119airy_ai_kernel_cudaERNS_18TensorIteratorBaseEENKUlvE_clEvENKUlvE0_clEvEUlfE_j15function_traitsIS7_EEENT1_11result_typeERKT_PrKPcPKT0_PKN3c1010ScalarTypeEi.uses_flat_scratch, 0
	.set .L_ZN2at6native6invokeIZZZNS0_12_GLOBAL__N_119airy_ai_kernel_cudaERNS_18TensorIteratorBaseEENKUlvE_clEvENKUlvE0_clEvEUlfE_j15function_traitsIS7_EEENT1_11result_typeERKT_PrKPcPKT0_PKN3c1010ScalarTypeEi.has_dyn_sized_stack, 0
	.set .L_ZN2at6native6invokeIZZZNS0_12_GLOBAL__N_119airy_ai_kernel_cudaERNS_18TensorIteratorBaseEENKUlvE_clEvENKUlvE0_clEvEUlfE_j15function_traitsIS7_EEENT1_11result_typeERKT_PrKPcPKT0_PKN3c1010ScalarTypeEi.has_recursion, 0
	.set .L_ZN2at6native6invokeIZZZNS0_12_GLOBAL__N_119airy_ai_kernel_cudaERNS_18TensorIteratorBaseEENKUlvE_clEvENKUlvE0_clEvEUlfE_j15function_traitsIS7_EEENT1_11result_typeERKT_PrKPcPKT0_PKN3c1010ScalarTypeEi.has_indirect_call, 0
	.section	.AMDGPU.csdata,"",@progbits
; Function info:
; codeLenInByte = 6632
; TotalNumSgprs: 38
; NumVgprs: 22
; NumAgprs: 0
; TotalNumVgprs: 22
; ScratchSize: 0
; MemoryBound: 1
	.section	.text._ZN2at6native32elementwise_kernel_manual_unrollILi128ELi4EZNS0_15gpu_kernel_implIZZZNS0_12_GLOBAL__N_119airy_ai_kernel_cudaERNS_18TensorIteratorBaseEENKUlvE_clEvENKUlvE0_clEvEUlfE_EEvS5_RKT_EUlibE0_EEviT1_,"axG",@progbits,_ZN2at6native32elementwise_kernel_manual_unrollILi128ELi4EZNS0_15gpu_kernel_implIZZZNS0_12_GLOBAL__N_119airy_ai_kernel_cudaERNS_18TensorIteratorBaseEENKUlvE_clEvENKUlvE0_clEvEUlfE_EEvS5_RKT_EUlibE0_EEviT1_,comdat
	.globl	_ZN2at6native32elementwise_kernel_manual_unrollILi128ELi4EZNS0_15gpu_kernel_implIZZZNS0_12_GLOBAL__N_119airy_ai_kernel_cudaERNS_18TensorIteratorBaseEENKUlvE_clEvENKUlvE0_clEvEUlfE_EEvS5_RKT_EUlibE0_EEviT1_ ; -- Begin function _ZN2at6native32elementwise_kernel_manual_unrollILi128ELi4EZNS0_15gpu_kernel_implIZZZNS0_12_GLOBAL__N_119airy_ai_kernel_cudaERNS_18TensorIteratorBaseEENKUlvE_clEvENKUlvE0_clEvEUlfE_EEvS5_RKT_EUlibE0_EEviT1_
	.p2align	8
	.type	_ZN2at6native32elementwise_kernel_manual_unrollILi128ELi4EZNS0_15gpu_kernel_implIZZZNS0_12_GLOBAL__N_119airy_ai_kernel_cudaERNS_18TensorIteratorBaseEENKUlvE_clEvENKUlvE0_clEvEUlfE_EEvS5_RKT_EUlibE0_EEviT1_,@function
_ZN2at6native32elementwise_kernel_manual_unrollILi128ELi4EZNS0_15gpu_kernel_implIZZZNS0_12_GLOBAL__N_119airy_ai_kernel_cudaERNS_18TensorIteratorBaseEENKUlvE_clEvENKUlvE0_clEvEUlfE_EEvS5_RKT_EUlibE0_EEviT1_: ; @_ZN2at6native32elementwise_kernel_manual_unrollILi128ELi4EZNS0_15gpu_kernel_implIZZZNS0_12_GLOBAL__N_119airy_ai_kernel_cudaERNS_18TensorIteratorBaseEENKUlvE_clEvENKUlvE0_clEvEUlfE_EEvS5_RKT_EUlibE0_EEviT1_
; %bb.0:
	s_load_dword s70, s[0:1], 0x0
	s_load_dword s33, s[0:1], 0x8
	s_mov_b64 s[24:25], s[0:1]
	s_add_u32 s26, s24, 8
	s_addc_u32 s27, s25, 0
	v_lshl_or_b32 v26, s2, 9, v0
	s_waitcnt lgkmcnt(0)
	s_add_i32 s72, s33, -1
	v_or_b32_e32 v4, 0x180, v26
	s_cmp_gt_u32 s72, 1
	v_cmp_le_i32_e32 vcc, s70, v4
	s_cselect_b64 s[34:35], -1, 0
	s_mov_b64 s[28:29], 0
	s_mov_b64 s[40:41], 0
	s_mov_b32 s32, 0
	s_and_saveexec_b64 s[0:1], vcc
	s_xor_b64 s[48:49], exec, s[0:1]
	s_cbranch_execz .LBB23_570
; %bb.1:
	v_mov_b32_e32 v0, 0
	global_load_ushort v0, v0, s[26:27] offset:345
	s_load_dwordx4 s[44:47], s[26:27], 0x4
	s_load_dwordx2 s[50:51], s[26:27], 0x14
	s_load_dwordx4 s[40:43], s[26:27], 0xc4
	s_load_dwordx4 s[36:39], s[26:27], 0x148
	s_cmp_lg_u32 s33, 0
	s_cselect_b64 s[56:57], -1, 0
	s_add_u32 s54, s26, 0xc4
	s_addc_u32 s55, s27, 0
	s_min_u32 s74, s72, 15
	v_mov_b32_e32 v1, 8
	s_cmp_gt_u32 s33, 1
	v_cmp_gt_i32_e32 vcc, s70, v26
	s_mov_b64 s[0:1], -1
	s_mov_b64 s[64:65], 0
	s_cselect_b64 s[52:53], -1, 0
	s_mov_b64 s[58:59], 0
	s_waitcnt vmcnt(0)
	v_readfirstlane_b32 s73, v0
	v_lshrrev_b32_sdwa v22, v1, v0 dst_sel:DWORD dst_unused:UNUSED_PAD src0_sel:DWORD src1_sel:WORD_0
	s_and_saveexec_b64 s[60:61], vcc
	s_cbranch_execz .LBB23_139
; %bb.2:
	s_andn2_b64 vcc, exec, s[34:35]
	s_cbranch_vccnz .LBB23_8
; %bb.3:
	s_andn2_b64 vcc, exec, s[56:57]
	s_cbranch_vccnz .LBB23_9
; %bb.4:
	s_add_i32 s31, s74, 1
	s_cmp_eq_u32 s72, 2
	s_cbranch_scc1 .LBB23_10
; %bb.5:
	s_and_b32 s30, s31, 28
	s_mov_b32 s58, 0
	v_mov_b32_e32 v24, 0
	v_mov_b32_e32 v2, 0
	s_mov_b64 s[20:21], s[26:27]
	s_mov_b64 s[22:23], s[54:55]
	v_mov_b32_e32 v0, v26
.LBB23_6:                               ; =>This Inner Loop Header: Depth=1
	s_load_dwordx8 s[8:15], s[20:21], 0x4
	s_load_dwordx4 s[16:19], s[20:21], 0x24
	s_load_dwordx8 s[0:7], s[22:23], 0x0
	s_add_u32 s20, s20, 48
	s_addc_u32 s21, s21, 0
	s_waitcnt lgkmcnt(0)
	v_mul_hi_u32 v1, s9, v0
	v_add_u32_e32 v1, v0, v1
	v_lshrrev_b32_e32 v1, s10, v1
	v_mul_lo_u32 v3, v1, s8
	v_mul_hi_u32 v4, s12, v1
	v_sub_u32_e32 v0, v0, v3
	v_add_u32_e32 v3, v1, v4
	v_lshrrev_b32_e32 v3, s13, v3
	v_mul_lo_u32 v5, v3, s11
	v_mul_hi_u32 v6, s15, v3
	v_sub_u32_e32 v1, v1, v5
	v_add_u32_e32 v5, v3, v6
	v_mul_lo_u32 v4, v0, s1
	v_mul_lo_u32 v0, v0, s0
	;; [unrolled: 1-line block ×4, first 2 shown]
	v_lshrrev_b32_e32 v5, s16, v5
	v_add3_u32 v1, v0, v24, v1
	v_add3_u32 v2, v4, v2, v6
	v_mul_lo_u32 v0, v5, s14
	v_mul_hi_u32 v4, s18, v5
	v_sub_u32_e32 v0, v3, v0
	v_add_u32_e32 v3, v5, v4
	v_mul_lo_u32 v4, v0, s4
	v_mul_lo_u32 v6, v0, s5
	v_lshrrev_b32_e32 v0, s19, v3
	s_add_i32 s58, s58, 4
	v_mul_lo_u32 v3, v0, s17
	s_add_u32 s22, s22, 32
	v_sub_u32_e32 v3, v5, v3
	s_addc_u32 s23, s23, 0
	v_mul_lo_u32 v5, v3, s6
	v_mul_lo_u32 v3, v3, s7
	s_cmp_lg_u32 s30, s58
	v_add3_u32 v2, v6, v2, v3
	v_add3_u32 v24, v4, v1, v5
	s_cbranch_scc1 .LBB23_6
; %bb.7:
	v_mov_b32_e32 v1, v2
	s_branch .LBB23_11
.LBB23_8:
                                        ; implicit-def: $vgpr2
                                        ; implicit-def: $vgpr24
	s_andn2_b64 vcc, exec, s[0:1]
	s_cbranch_vccz .LBB23_15
	s_branch .LBB23_17
.LBB23_9:
	v_mov_b32_e32 v2, 0
	v_mov_b32_e32 v24, 0
	s_branch .LBB23_14
.LBB23_10:
	v_mov_b32_e32 v24, 0
	s_mov_b32 s30, 0
	v_mov_b32_e32 v1, v24
                                        ; implicit-def: $vgpr2
	v_mov_b32_e32 v0, v26
.LBB23_11:
	s_and_b32 s4, s31, 3
	s_cmp_eq_u32 s4, 0
	s_cbranch_scc1 .LBB23_14
; %bb.12:
	s_lshl_b32 s0, s30, 3
	s_add_u32 s0, s26, s0
	s_addc_u32 s1, s27, 0
	s_add_u32 s0, s0, 0xc4
	s_addc_u32 s1, s1, 0
	s_mul_i32 s2, s30, 12
	s_add_u32 s2, s26, s2
	s_addc_u32 s3, s27, 0
.LBB23_13:                              ; =>This Inner Loop Header: Depth=1
	s_load_dwordx2 s[6:7], s[2:3], 0x4
	s_load_dword s5, s[2:3], 0xc
	s_load_dwordx2 s[8:9], s[0:1], 0x0
	v_mov_b32_e32 v2, v1
	s_add_u32 s2, s2, 12
	s_waitcnt lgkmcnt(0)
	v_mul_hi_u32 v1, s7, v0
	v_add_u32_e32 v1, v0, v1
	v_lshrrev_b32_e32 v1, s5, v1
	s_addc_u32 s3, s3, 0
	v_mul_lo_u32 v3, v1, s6
	s_add_u32 s0, s0, 8
	v_sub_u32_e32 v4, v0, v3
	s_addc_u32 s1, s1, 0
	s_add_i32 s4, s4, -1
	v_mad_u64_u32 v[2:3], s[6:7], v4, s9, v[2:3]
	s_cmp_lg_u32 s4, 0
	v_mov_b32_e32 v0, v1
	v_mad_u64_u32 v[24:25], s[6:7], v4, s8, v[24:25]
	v_mov_b32_e32 v1, v2
	s_cbranch_scc1 .LBB23_13
.LBB23_14:
	s_cbranch_execnz .LBB23_17
.LBB23_15:
	s_waitcnt lgkmcnt(0)
	v_mul_hi_u32 v0, s45, v26
	v_add_u32_e32 v0, v26, v0
	v_lshrrev_b32_e32 v0, s46, v0
	v_mul_lo_u32 v1, v0, s44
	v_sub_u32_e32 v1, v26, v1
	v_mul_lo_u32 v2, v1, s41
	s_andn2_b64 vcc, exec, s[52:53]
	v_mul_lo_u32 v24, v1, s40
	s_cbranch_vccnz .LBB23_17
; %bb.16:
	v_mul_hi_u32 v1, s50, v0
	v_add_u32_e32 v1, v0, v1
	v_lshrrev_b32_e32 v1, s51, v1
	v_mul_lo_u32 v1, v1, s47
	v_sub_u32_e32 v0, v0, v1
	v_mad_u64_u32 v[24:25], s[0:1], v0, s42, v[24:25]
	v_mad_u64_u32 v[2:3], s[0:1], v0, s43, v[2:3]
.LBB23_17:
	s_getpc_b64 s[0:1]
	s_add_u32 s0, s0, _ZN2at6native6invokeIZZZNS0_12_GLOBAL__N_119airy_ai_kernel_cudaERNS_18TensorIteratorBaseEENKUlvE_clEvENKUlvE0_clEvEUlfE_j15function_traitsIS7_EEENT1_11result_typeERKT_PrKPcPKT0_PKN3c1010ScalarTypeEi@rel32@lo+4
	s_addc_u32 s1, s1, _ZN2at6native6invokeIZZZNS0_12_GLOBAL__N_119airy_ai_kernel_cudaERNS_18TensorIteratorBaseEENKUlvE_clEvENKUlvE0_clEvEUlfE_j15function_traitsIS7_EEENT1_11result_typeERKT_PrKPcPKT0_PKN3c1010ScalarTypeEi@rel32@hi+12
	s_waitcnt lgkmcnt(0)
	v_mov_b32_e32 v0, s38
	v_mov_b32_e32 v1, s39
	;; [unrolled: 1-line block ×3, first 2 shown]
	s_swappc_b64 s[30:31], s[0:1]
	v_mov_b32_e32 v25, 0
	s_and_b32 s8, s73, 0xff
	s_cmp_lt_i32 s8, 11
	v_lshl_add_u64 v[2:3], s[36:37], 0, v[24:25]
	s_cbranch_scc1 .LBB23_24
; %bb.18:
	s_and_b32 s9, 0xffff, s8
	s_cmp_gt_i32 s9, 25
	s_cbranch_scc0 .LBB23_27
; %bb.19:
	s_cmp_gt_i32 s9, 28
	s_cbranch_scc0 .LBB23_28
; %bb.20:
	s_cmp_gt_i32 s9, 43
	s_cbranch_scc0 .LBB23_29
; %bb.21:
	s_cmp_gt_i32 s9, 45
	s_cbranch_scc0 .LBB23_30
; %bb.22:
	s_mov_b64 s[4:5], 0
	s_mov_b64 s[0:1], -1
	s_cmp_eq_u32 s9, 46
	s_mov_b64 s[2:3], 0
	s_cbranch_scc0 .LBB23_31
; %bb.23:
	v_bfe_u32 v1, v0, 16, 1
	s_movk_i32 s0, 0x7fff
	v_add3_u32 v1, v0, v1, s0
	v_cmp_o_f32_e32 vcc, v0, v0
	v_mov_b32_e32 v4, 0x7fc0
	s_mov_b64 s[2:3], -1
	v_cndmask_b32_sdwa v1, v4, v1, vcc dst_sel:DWORD dst_unused:UNUSED_PAD src0_sel:DWORD src1_sel:WORD_1
	global_store_dword v[2:3], v1, off
	s_mov_b64 s[0:1], 0
	s_branch .LBB23_31
.LBB23_24:
	s_mov_b64 s[0:1], 0
	s_mov_b64 s[2:3], 0
	s_cbranch_execnz .LBB23_99
.LBB23_25:
	s_andn2_b64 vcc, exec, s[2:3]
	s_cbranch_vccnz .LBB23_137
.LBB23_26:
	v_add_u32_e32 v26, 0x80, v26
	s_mov_b64 s[2:3], -1
	s_branch .LBB23_138
.LBB23_27:
	s_mov_b64 s[0:1], 0
	s_mov_b64 s[2:3], 0
	s_cbranch_execnz .LBB23_58
	s_branch .LBB23_98
.LBB23_28:
	s_mov_b64 s[4:5], -1
	s_mov_b64 s[0:1], 0
	s_mov_b64 s[2:3], 0
	s_branch .LBB23_41
.LBB23_29:
	s_mov_b64 s[4:5], -1
	s_mov_b64 s[0:1], 0
	s_mov_b64 s[2:3], 0
	s_branch .LBB23_37
.LBB23_30:
	s_mov_b64 s[4:5], -1
	s_mov_b64 s[0:1], 0
	s_mov_b64 s[2:3], 0
.LBB23_31:
	s_and_b64 vcc, exec, s[4:5]
	s_cbranch_vccz .LBB23_36
; %bb.32:
	s_cmp_eq_u32 s9, 44
	s_mov_b64 s[0:1], -1
	s_cbranch_scc0 .LBB23_36
; %bb.33:
	v_bfe_u32 v1, v0, 23, 8
	s_movk_i32 s0, 0xff
	v_cmp_ne_u32_e32 vcc, s0, v1
	v_mov_b32_e32 v4, 0xff
	s_and_saveexec_b64 s[2:3], vcc
; %bb.34:
	s_mov_b32 s0, 0x3fffff
	v_and_b32_e32 v5, 0x400000, v0
	v_and_or_b32 v1, v0, s0, v1
	v_cmp_ne_u32_e32 vcc, 0, v5
	v_cmp_ne_u32_e64 s[0:1], 0, v1
	s_and_b64 s[0:1], vcc, s[0:1]
	v_lshrrev_b32_e32 v4, 23, v0
	v_cndmask_b32_e64 v1, 0, 1, s[0:1]
	v_add_u32_e32 v4, v4, v1
; %bb.35:
	s_or_b64 exec, exec, s[2:3]
	s_mov_b64 s[2:3], -1
	s_mov_b64 s[0:1], 0
	global_store_byte v[2:3], v4, off
.LBB23_36:
	s_mov_b64 s[4:5], 0
.LBB23_37:
	s_and_b64 vcc, exec, s[4:5]
	s_cbranch_vccz .LBB23_40
; %bb.38:
	s_cmp_eq_u32 s9, 29
	s_mov_b64 s[0:1], -1
	s_cbranch_scc0 .LBB23_40
; %bb.39:
	v_trunc_f32_e32 v1, v0
	v_mul_f32_e32 v4, 0x2f800000, v1
	v_floor_f32_e32 v4, v4
	v_fmamk_f32 v1, v4, 0xcf800000, v1
	v_cvt_u32_f32_e32 v5, v4
	v_cvt_u32_f32_e32 v4, v1
	s_mov_b64 s[2:3], -1
	s_mov_b64 s[0:1], 0
	s_mov_b64 s[4:5], 0
	global_store_dwordx2 v[2:3], v[4:5], off
	s_branch .LBB23_41
.LBB23_40:
	s_mov_b64 s[4:5], 0
.LBB23_41:
	s_and_b64 vcc, exec, s[4:5]
	s_cbranch_vccz .LBB23_57
; %bb.42:
	s_cmp_lt_i32 s9, 27
	s_mov_b64 s[2:3], -1
	s_cbranch_scc1 .LBB23_48
; %bb.43:
	s_cmp_gt_i32 s9, 27
	s_cbranch_scc0 .LBB23_45
; %bb.44:
	v_cvt_u32_f32_e32 v1, v0
	s_mov_b64 s[2:3], 0
	global_store_dword v[2:3], v1, off
.LBB23_45:
	s_andn2_b64 vcc, exec, s[2:3]
	s_cbranch_vccnz .LBB23_47
; %bb.46:
	v_cvt_u32_f32_e32 v1, v0
	global_store_short v[2:3], v1, off
.LBB23_47:
	s_mov_b64 s[2:3], 0
.LBB23_48:
	s_andn2_b64 vcc, exec, s[2:3]
	s_cbranch_vccnz .LBB23_56
; %bb.49:
	v_and_b32_e32 v1, 0x7fffffff, v0
	s_mov_b32 s2, 0x43800000
	v_cmp_gt_u32_e32 vcc, s2, v1
	v_mov_b32_e32 v4, 0x80
	s_and_saveexec_b64 s[2:3], vcc
	s_cbranch_execz .LBB23_55
; %bb.50:
	s_mov_b32 s4, 0x3bffffff
	v_cmp_lt_u32_e32 vcc, s4, v1
	s_mov_b64 s[4:5], 0
                                        ; implicit-def: $vgpr1
	s_and_saveexec_b64 s[6:7], vcc
	s_xor_b64 s[6:7], exec, s[6:7]
	s_cbranch_execz .LBB23_171
; %bb.51:
	v_bfe_u32 v1, v0, 20, 1
	s_mov_b32 s10, 0x487ffff
	v_add3_u32 v1, v0, v1, s10
	s_mov_b64 s[4:5], exec
	v_lshrrev_b32_e32 v1, 20, v1
	s_andn2_saveexec_b64 s[6:7], s[6:7]
	s_cbranch_execnz .LBB23_172
.LBB23_52:
	s_or_b64 exec, exec, s[6:7]
	v_mov_b32_e32 v4, 0
	s_and_saveexec_b64 s[6:7], s[4:5]
.LBB23_53:
	v_lshrrev_b32_e32 v4, 24, v0
	s_movk_i32 s4, 0x80
	v_and_or_b32 v4, v4, s4, v1
.LBB23_54:
	s_or_b64 exec, exec, s[6:7]
.LBB23_55:
	s_or_b64 exec, exec, s[2:3]
	global_store_byte v[2:3], v4, off
.LBB23_56:
	s_mov_b64 s[2:3], -1
.LBB23_57:
	s_branch .LBB23_98
.LBB23_58:
	s_cmp_gt_i32 s9, 22
	s_mov_b64 s[4:5], -1
	s_cbranch_scc0 .LBB23_90
; %bb.59:
	s_cmp_lt_i32 s9, 24
	s_mov_b64 s[2:3], -1
	s_cbranch_scc1 .LBB23_79
; %bb.60:
	s_cmp_gt_i32 s9, 24
	s_cbranch_scc0 .LBB23_68
; %bb.61:
	v_and_b32_e32 v1, 0x7fffffff, v0
	s_mov_b32 s2, 0x47800000
	v_cmp_gt_u32_e32 vcc, s2, v1
	v_mov_b32_e32 v4, 0x80
	s_and_saveexec_b64 s[2:3], vcc
	s_cbranch_execz .LBB23_67
; %bb.62:
	s_mov_b32 s4, 0x37ffffff
	v_cmp_lt_u32_e32 vcc, s4, v1
	s_mov_b64 s[4:5], 0
                                        ; implicit-def: $vgpr1
	s_and_saveexec_b64 s[6:7], vcc
	s_xor_b64 s[6:7], exec, s[6:7]
	s_cbranch_execz .LBB23_174
; %bb.63:
	v_bfe_u32 v1, v0, 21, 1
	s_mov_b32 s10, 0x88fffff
	v_add3_u32 v1, v0, v1, s10
	s_mov_b64 s[4:5], exec
	v_lshrrev_b32_e32 v1, 21, v1
	s_andn2_saveexec_b64 s[6:7], s[6:7]
	s_cbranch_execnz .LBB23_175
.LBB23_64:
	s_or_b64 exec, exec, s[6:7]
	v_mov_b32_e32 v4, 0
	s_and_saveexec_b64 s[6:7], s[4:5]
.LBB23_65:
	v_lshrrev_b32_e32 v4, 24, v0
	s_movk_i32 s4, 0x80
	v_and_or_b32 v4, v4, s4, v1
.LBB23_66:
	s_or_b64 exec, exec, s[6:7]
.LBB23_67:
	s_or_b64 exec, exec, s[2:3]
	s_mov_b64 s[2:3], 0
	global_store_byte v[2:3], v4, off
.LBB23_68:
	s_and_b64 vcc, exec, s[2:3]
	s_cbranch_vccz .LBB23_78
; %bb.69:
	v_and_b32_e32 v4, 0x7fffffff, v0
	s_mov_b32 s2, 0x43f00000
	v_cmp_gt_u32_e32 vcc, s2, v4
                                        ; implicit-def: $vgpr1
	s_and_saveexec_b64 s[2:3], vcc
	s_xor_b64 s[2:3], exec, s[2:3]
	s_cbranch_execz .LBB23_75
; %bb.70:
	s_mov_b32 s4, 0x3c7fffff
	v_cmp_lt_u32_e32 vcc, s4, v4
                                        ; implicit-def: $vgpr1
	s_and_saveexec_b64 s[4:5], vcc
	s_xor_b64 s[4:5], exec, s[4:5]
; %bb.71:
	v_bfe_u32 v1, v0, 20, 1
	s_mov_b32 s6, 0x407ffff
	v_add3_u32 v1, v0, v1, s6
	v_lshrrev_b32_e32 v4, 20, v1
	v_and_b32_e32 v1, 0xff00000, v1
	s_mov_b32 s6, 0x7f00000
	v_mov_b32_e32 v5, 0x7e
	v_cmp_ne_u32_e32 vcc, s6, v1
	s_nop 1
	v_cndmask_b32_e32 v1, v5, v4, vcc
; %bb.72:
	s_andn2_saveexec_b64 s[4:5], s[4:5]
; %bb.73:
	s_mov_b32 s6, 0x46800000
	v_add_f32_e64 v1, |v0|, s6
; %bb.74:
	s_or_b64 exec, exec, s[4:5]
                                        ; implicit-def: $vgpr4
.LBB23_75:
	s_andn2_saveexec_b64 s[2:3], s[2:3]
; %bb.76:
	s_mov_b32 s4, 0x7f800000
	v_mov_b32_e32 v1, 0x7e
	v_mov_b32_e32 v5, 0x7f
	v_cmp_lt_u32_e32 vcc, s4, v4
	s_nop 1
	v_cndmask_b32_e32 v1, v1, v5, vcc
; %bb.77:
	s_or_b64 exec, exec, s[2:3]
	v_lshrrev_b32_e32 v4, 24, v0
	s_movk_i32 s2, 0x80
	v_and_or_b32 v1, v4, s2, v1
	global_store_byte v[2:3], v1, off
.LBB23_78:
	s_mov_b64 s[2:3], 0
.LBB23_79:
	s_andn2_b64 vcc, exec, s[2:3]
	s_cbranch_vccnz .LBB23_89
; %bb.80:
	v_and_b32_e32 v4, 0x7fffffff, v0
	s_mov_b32 s2, 0x47800000
	v_cmp_gt_u32_e32 vcc, s2, v4
                                        ; implicit-def: $vgpr1
	s_and_saveexec_b64 s[2:3], vcc
	s_xor_b64 s[2:3], exec, s[2:3]
	s_cbranch_execz .LBB23_86
; %bb.81:
	s_mov_b32 s4, 0x387fffff
	v_cmp_lt_u32_e32 vcc, s4, v4
                                        ; implicit-def: $vgpr1
	s_and_saveexec_b64 s[4:5], vcc
	s_xor_b64 s[4:5], exec, s[4:5]
; %bb.82:
	v_bfe_u32 v1, v0, 21, 1
	s_mov_b32 s6, 0x80fffff
	v_add3_u32 v1, v0, v1, s6
	v_lshrrev_b32_e32 v1, 21, v1
; %bb.83:
	s_andn2_saveexec_b64 s[4:5], s[4:5]
; %bb.84:
	s_mov_b32 s6, 0x43000000
	v_add_f32_e64 v1, |v0|, s6
; %bb.85:
	s_or_b64 exec, exec, s[4:5]
                                        ; implicit-def: $vgpr4
.LBB23_86:
	s_andn2_saveexec_b64 s[2:3], s[2:3]
; %bb.87:
	s_mov_b32 s4, 0x7f800000
	v_mov_b32_e32 v1, 0x7c
	v_mov_b32_e32 v5, 0x7f
	v_cmp_lt_u32_e32 vcc, s4, v4
	s_nop 1
	v_cndmask_b32_e32 v1, v1, v5, vcc
; %bb.88:
	s_or_b64 exec, exec, s[2:3]
	v_lshrrev_b32_e32 v4, 24, v0
	s_movk_i32 s2, 0x80
	v_and_or_b32 v1, v4, s2, v1
	global_store_byte v[2:3], v1, off
.LBB23_89:
	s_mov_b64 s[4:5], 0
	s_mov_b64 s[2:3], -1
.LBB23_90:
	s_andn2_b64 vcc, exec, s[4:5]
	s_cbranch_vccnz .LBB23_98
; %bb.91:
	s_cmp_gt_i32 s9, 14
	s_mov_b64 s[4:5], -1
	s_cbranch_scc0 .LBB23_95
; %bb.92:
	s_cmp_eq_u32 s9, 15
	s_mov_b64 s[0:1], -1
	s_cbranch_scc0 .LBB23_94
; %bb.93:
	v_bfe_u32 v1, v0, 16, 1
	s_movk_i32 s0, 0x7fff
	v_add3_u32 v1, v0, v1, s0
	v_cmp_o_f32_e32 vcc, v0, v0
	v_mov_b32_e32 v4, 0x7fc0
	s_mov_b64 s[2:3], -1
	v_cndmask_b32_sdwa v1, v4, v1, vcc dst_sel:DWORD dst_unused:UNUSED_PAD src0_sel:DWORD src1_sel:WORD_1
	global_store_short v[2:3], v1, off
	s_mov_b64 s[0:1], 0
.LBB23_94:
	s_mov_b64 s[4:5], 0
.LBB23_95:
	s_and_b64 vcc, exec, s[4:5]
	s_cbranch_vccz .LBB23_98
; %bb.96:
	s_cmp_eq_u32 s9, 11
	s_mov_b64 s[0:1], -1
	s_cbranch_scc0 .LBB23_98
; %bb.97:
	v_cmp_neq_f32_e32 vcc, 0, v0
	s_mov_b64 s[2:3], -1
	s_mov_b64 s[0:1], 0
	v_cndmask_b32_e64 v1, 0, 1, vcc
	global_store_byte v[2:3], v1, off
.LBB23_98:
	s_branch .LBB23_25
.LBB23_99:
	s_and_b32 s4, 0xffff, s8
	s_cmp_lt_i32 s4, 5
	s_mov_b64 s[2:3], -1
	s_cbranch_scc1 .LBB23_120
; %bb.100:
	s_cmp_lt_i32 s4, 8
	s_cbranch_scc1 .LBB23_110
; %bb.101:
	s_cmp_lt_i32 s4, 9
	s_cbranch_scc1 .LBB23_107
; %bb.102:
	s_cmp_gt_i32 s4, 9
	s_cbranch_scc0 .LBB23_104
; %bb.103:
	v_mov_b32_e32 v6, 0
	v_cvt_f64_f32_e32 v[4:5], v0
	v_mov_b32_e32 v7, v6
	global_store_dwordx4 v[2:3], v[4:7], off
	s_mov_b64 s[2:3], 0
.LBB23_104:
	s_andn2_b64 vcc, exec, s[2:3]
	s_cbranch_vccnz .LBB23_106
; %bb.105:
	v_mov_b32_e32 v1, 0
	global_store_dwordx2 v[2:3], v[0:1], off
.LBB23_106:
	s_mov_b64 s[2:3], 0
.LBB23_107:
	s_andn2_b64 vcc, exec, s[2:3]
	s_cbranch_vccnz .LBB23_109
; %bb.108:
	v_cvt_f16_f32_e32 v1, v0
	global_store_dword v[2:3], v1, off
.LBB23_109:
	s_mov_b64 s[2:3], 0
.LBB23_110:
	s_andn2_b64 vcc, exec, s[2:3]
	s_cbranch_vccnz .LBB23_119
; %bb.111:
	s_cmp_lt_i32 s4, 6
	s_mov_b64 s[2:3], -1
	s_cbranch_scc1 .LBB23_117
; %bb.112:
	s_cmp_gt_i32 s4, 6
	s_cbranch_scc0 .LBB23_114
; %bb.113:
	v_cvt_f64_f32_e32 v[4:5], v0
	global_store_dwordx2 v[2:3], v[4:5], off
	s_mov_b64 s[2:3], 0
.LBB23_114:
	s_andn2_b64 vcc, exec, s[2:3]
	s_cbranch_vccnz .LBB23_116
; %bb.115:
	global_store_dword v[2:3], v0, off
.LBB23_116:
	s_mov_b64 s[2:3], 0
.LBB23_117:
	s_andn2_b64 vcc, exec, s[2:3]
	s_cbranch_vccnz .LBB23_119
; %bb.118:
	v_cvt_f16_f32_e32 v1, v0
	global_store_short v[2:3], v1, off
.LBB23_119:
	s_mov_b64 s[2:3], 0
.LBB23_120:
	s_andn2_b64 vcc, exec, s[2:3]
	s_cbranch_vccnz .LBB23_136
; %bb.121:
	s_cmp_lt_i32 s4, 2
	s_mov_b64 s[2:3], -1
	s_cbranch_scc1 .LBB23_131
; %bb.122:
	s_cmp_lt_i32 s4, 3
	s_cbranch_scc1 .LBB23_128
; %bb.123:
	s_cmp_gt_i32 s4, 3
	s_cbranch_scc0 .LBB23_125
; %bb.124:
	v_trunc_f32_e32 v1, v0
	s_mov_b32 s2, 0x2f800000
	v_mul_f32_e64 v4, |v1|, s2
	v_floor_f32_e32 v4, v4
	s_mov_b32 s2, 0xcf800000
	v_cvt_u32_f32_e32 v5, v4
	v_fma_f32 v4, v4, s2, |v1|
	v_cvt_u32_f32_e32 v4, v4
	v_ashrrev_i32_e32 v1, 31, v1
	v_xor_b32_e32 v5, v5, v1
	s_mov_b64 s[2:3], 0
	v_xor_b32_e32 v4, v4, v1
	v_sub_co_u32_e32 v4, vcc, v4, v1
	s_nop 1
	v_subb_co_u32_e32 v5, vcc, v5, v1, vcc
	global_store_dwordx2 v[2:3], v[4:5], off
.LBB23_125:
	s_andn2_b64 vcc, exec, s[2:3]
	s_cbranch_vccnz .LBB23_127
; %bb.126:
	v_cvt_i32_f32_e32 v1, v0
	global_store_dword v[2:3], v1, off
.LBB23_127:
	s_mov_b64 s[2:3], 0
.LBB23_128:
	s_andn2_b64 vcc, exec, s[2:3]
	s_cbranch_vccnz .LBB23_130
; %bb.129:
	v_cvt_i32_f32_e32 v1, v0
	global_store_short v[2:3], v1, off
.LBB23_130:
	s_mov_b64 s[2:3], 0
.LBB23_131:
	s_andn2_b64 vcc, exec, s[2:3]
	s_cbranch_vccnz .LBB23_136
; %bb.132:
	s_cmp_gt_i32 s4, 0
	s_mov_b64 s[2:3], -1
	s_cbranch_scc0 .LBB23_134
; %bb.133:
	v_cvt_i32_f32_e32 v1, v0
	s_mov_b64 s[2:3], 0
	global_store_byte v[2:3], v1, off
.LBB23_134:
	s_andn2_b64 vcc, exec, s[2:3]
	s_cbranch_vccnz .LBB23_136
; %bb.135:
	v_trunc_f32_e32 v0, v0
	s_mov_b32 s2, 0x2f800000
	v_mul_f32_e64 v1, |v0|, s2
	v_floor_f32_e32 v1, v1
	s_mov_b32 s2, 0xcf800000
	v_fma_f32 v1, v1, s2, |v0|
	v_cvt_u32_f32_e32 v1, v1
	v_ashrrev_i32_e32 v0, 31, v0
	v_xor_b32_e32 v1, v1, v0
	v_sub_u32_e32 v0, v1, v0
	global_store_byte v[2:3], v0, off
.LBB23_136:
	s_branch .LBB23_26
.LBB23_137:
	s_mov_b64 s[2:3], 0
                                        ; implicit-def: $vgpr26
.LBB23_138:
	s_and_b64 s[58:59], s[0:1], exec
	s_orn2_b64 s[0:1], s[2:3], exec
.LBB23_139:
	s_or_b64 exec, exec, s[60:61]
	s_mov_b64 s[2:3], 0
                                        ; implicit-def: $sgpr10
                                        ; implicit-def: $vgpr2_vgpr3
                                        ; implicit-def: $vgpr0
	s_and_saveexec_b64 s[60:61], s[0:1]
	s_cbranch_execz .LBB23_147
; %bb.140:
	v_cmp_gt_i32_e32 vcc, s70, v26
	s_mov_b64 s[4:5], -1
	s_mov_b64 s[62:63], s[58:59]
	s_and_saveexec_b64 s[64:65], vcc
	s_cbranch_execz .LBB23_286
; %bb.141:
	s_andn2_b64 vcc, exec, s[34:35]
	s_cbranch_vccnz .LBB23_150
; %bb.142:
	s_andn2_b64 vcc, exec, s[56:57]
	s_cbranch_vccnz .LBB23_151
; %bb.143:
	s_add_i32 s31, s74, 1
	s_cmp_eq_u32 s72, 2
	s_cbranch_scc1 .LBB23_152
; %bb.144:
	s_and_b32 s30, s31, 28
	s_mov_b32 s62, 0
	v_mov_b32_e32 v24, 0
	v_mov_b32_e32 v2, 0
	s_mov_b64 s[20:21], s[26:27]
	s_mov_b64 s[22:23], s[54:55]
	v_mov_b32_e32 v0, v26
.LBB23_145:                             ; =>This Inner Loop Header: Depth=1
	s_load_dwordx8 s[8:15], s[20:21], 0x4
	s_load_dwordx4 s[16:19], s[20:21], 0x24
	s_load_dwordx8 s[0:7], s[22:23], 0x0
	s_add_u32 s20, s20, 48
	s_addc_u32 s21, s21, 0
	s_waitcnt lgkmcnt(0)
	v_mul_hi_u32 v1, s9, v0
	v_add_u32_e32 v1, v0, v1
	v_lshrrev_b32_e32 v1, s10, v1
	v_mul_lo_u32 v3, v1, s8
	v_mul_hi_u32 v4, s12, v1
	v_sub_u32_e32 v0, v0, v3
	v_add_u32_e32 v3, v1, v4
	v_lshrrev_b32_e32 v3, s13, v3
	v_mul_lo_u32 v5, v3, s11
	v_mul_hi_u32 v6, s15, v3
	v_sub_u32_e32 v1, v1, v5
	v_add_u32_e32 v5, v3, v6
	v_mul_lo_u32 v4, v0, s1
	v_mul_lo_u32 v0, v0, s0
	;; [unrolled: 1-line block ×4, first 2 shown]
	v_lshrrev_b32_e32 v5, s16, v5
	v_add3_u32 v1, v0, v24, v1
	v_add3_u32 v2, v4, v2, v6
	v_mul_lo_u32 v0, v5, s14
	v_mul_hi_u32 v4, s18, v5
	v_sub_u32_e32 v0, v3, v0
	v_add_u32_e32 v3, v5, v4
	v_mul_lo_u32 v4, v0, s4
	v_mul_lo_u32 v6, v0, s5
	v_lshrrev_b32_e32 v0, s19, v3
	s_add_i32 s62, s62, 4
	v_mul_lo_u32 v3, v0, s17
	s_add_u32 s22, s22, 32
	v_sub_u32_e32 v3, v5, v3
	s_addc_u32 s23, s23, 0
	v_mul_lo_u32 v5, v3, s6
	v_mul_lo_u32 v3, v3, s7
	s_cmp_eq_u32 s30, s62
	v_add3_u32 v2, v6, v2, v3
	v_add3_u32 v24, v4, v1, v5
	s_cbranch_scc0 .LBB23_145
; %bb.146:
	v_mov_b32_e32 v1, v2
	s_branch .LBB23_153
.LBB23_147:
	s_or_b64 exec, exec, s[60:61]
	s_mov_b64 s[0:1], 0
	s_and_saveexec_b64 s[4:5], s[58:59]
	s_cbranch_execnz .LBB23_530
.LBB23_148:
	s_or_b64 exec, exec, s[4:5]
	s_and_saveexec_b64 s[4:5], s[64:65]
	s_xor_b64 s[4:5], exec, s[4:5]
	s_cbranch_execz .LBB23_531
.LBB23_149:
	v_cmp_neq_f32_e32 vcc, 0, v0
	s_nop 1
	v_cndmask_b32_e64 v1, 0, 1, vcc
	global_store_byte v[2:3], v1, off
	s_or_b64 exec, exec, s[4:5]
	s_and_saveexec_b64 s[4:5], s[2:3]
	s_xor_b64 s[2:3], exec, s[4:5]
	s_cbranch_execz .LBB23_569
	s_branch .LBB23_532
.LBB23_150:
                                        ; implicit-def: $vgpr2
                                        ; implicit-def: $vgpr24
	s_branch .LBB23_157
.LBB23_151:
	v_mov_b32_e32 v2, 0
	v_mov_b32_e32 v24, 0
	s_branch .LBB23_156
.LBB23_152:
	v_mov_b32_e32 v24, 0
	s_mov_b32 s30, 0
	v_mov_b32_e32 v1, v24
                                        ; implicit-def: $vgpr2
	v_mov_b32_e32 v0, v26
.LBB23_153:
	s_and_b32 s4, s31, 3
	s_cmp_eq_u32 s4, 0
	s_cbranch_scc1 .LBB23_156
; %bb.154:
	s_lshl_b32 s0, s30, 3
	s_add_u32 s0, s26, s0
	s_addc_u32 s1, s27, 0
	s_add_u32 s0, s0, 0xc4
	s_addc_u32 s1, s1, 0
	s_mul_i32 s2, s30, 12
	s_add_u32 s2, s26, s2
	s_addc_u32 s3, s27, 0
.LBB23_155:                             ; =>This Inner Loop Header: Depth=1
	s_load_dwordx2 s[6:7], s[2:3], 0x4
	s_load_dword s5, s[2:3], 0xc
	s_load_dwordx2 s[8:9], s[0:1], 0x0
	v_mov_b32_e32 v2, v1
	s_add_u32 s2, s2, 12
	s_waitcnt lgkmcnt(0)
	v_mul_hi_u32 v1, s7, v0
	v_add_u32_e32 v1, v0, v1
	v_lshrrev_b32_e32 v1, s5, v1
	s_addc_u32 s3, s3, 0
	v_mul_lo_u32 v3, v1, s6
	s_add_u32 s0, s0, 8
	v_sub_u32_e32 v4, v0, v3
	s_addc_u32 s1, s1, 0
	s_add_i32 s4, s4, -1
	v_mad_u64_u32 v[2:3], s[6:7], v4, s9, v[2:3]
	s_cmp_lg_u32 s4, 0
	v_mov_b32_e32 v0, v1
	v_mad_u64_u32 v[24:25], s[6:7], v4, s8, v[24:25]
	v_mov_b32_e32 v1, v2
	s_cbranch_scc1 .LBB23_155
.LBB23_156:
	s_cbranch_execnz .LBB23_159
.LBB23_157:
	s_waitcnt lgkmcnt(0)
	v_mul_hi_u32 v0, s45, v26
	v_add_u32_e32 v0, v26, v0
	v_lshrrev_b32_e32 v0, s46, v0
	v_mul_lo_u32 v1, v0, s44
	v_sub_u32_e32 v1, v26, v1
	v_mul_lo_u32 v2, v1, s41
	s_andn2_b64 vcc, exec, s[52:53]
	v_mul_lo_u32 v24, v1, s40
	s_cbranch_vccnz .LBB23_159
; %bb.158:
	v_mul_hi_u32 v1, s50, v0
	v_add_u32_e32 v1, v0, v1
	v_lshrrev_b32_e32 v1, s51, v1
	v_mul_lo_u32 v1, v1, s47
	v_sub_u32_e32 v0, v0, v1
	v_mad_u64_u32 v[24:25], s[0:1], v0, s42, v[24:25]
	v_mad_u64_u32 v[2:3], s[0:1], v0, s43, v[2:3]
.LBB23_159:
	s_getpc_b64 s[0:1]
	s_add_u32 s0, s0, _ZN2at6native6invokeIZZZNS0_12_GLOBAL__N_119airy_ai_kernel_cudaERNS_18TensorIteratorBaseEENKUlvE_clEvENKUlvE0_clEvEUlfE_j15function_traitsIS7_EEENT1_11result_typeERKT_PrKPcPKT0_PKN3c1010ScalarTypeEi@rel32@lo+4
	s_addc_u32 s1, s1, _ZN2at6native6invokeIZZZNS0_12_GLOBAL__N_119airy_ai_kernel_cudaERNS_18TensorIteratorBaseEENKUlvE_clEvENKUlvE0_clEvEUlfE_j15function_traitsIS7_EEENT1_11result_typeERKT_PrKPcPKT0_PKN3c1010ScalarTypeEi@rel32@hi+12
	s_waitcnt lgkmcnt(0)
	v_mov_b32_e32 v0, s38
	v_mov_b32_e32 v1, s39
	;; [unrolled: 1-line block ×3, first 2 shown]
	s_swappc_b64 s[30:31], s[0:1]
	v_mov_b32_e32 v25, 0
	s_and_b32 s8, s73, 0xff
	s_cmp_lt_i32 s8, 11
	v_lshl_add_u64 v[2:3], s[36:37], 0, v[24:25]
	s_cbranch_scc1 .LBB23_166
; %bb.160:
	s_and_b32 s9, 0xffff, s8
	s_cmp_gt_i32 s9, 25
	s_cbranch_scc0 .LBB23_169
; %bb.161:
	s_cmp_gt_i32 s9, 28
	s_cbranch_scc0 .LBB23_170
; %bb.162:
	;; [unrolled: 3-line block ×4, first 2 shown]
	s_mov_b64 s[4:5], 0
	s_mov_b64 s[0:1], -1
	s_cmp_eq_u32 s9, 46
	s_mov_b64 s[2:3], 0
	s_cbranch_scc0 .LBB23_177
; %bb.165:
	v_bfe_u32 v1, v0, 16, 1
	s_movk_i32 s0, 0x7fff
	v_add3_u32 v1, v0, v1, s0
	v_cmp_o_f32_e32 vcc, v0, v0
	v_mov_b32_e32 v4, 0x7fc0
	s_mov_b64 s[2:3], -1
	v_cndmask_b32_sdwa v1, v4, v1, vcc dst_sel:DWORD dst_unused:UNUSED_PAD src0_sel:DWORD src1_sel:WORD_1
	global_store_dword v[2:3], v1, off
	s_mov_b64 s[0:1], 0
	s_branch .LBB23_177
.LBB23_166:
	s_mov_b64 s[2:3], 0
	s_mov_b64 s[0:1], s[58:59]
	s_cbranch_execnz .LBB23_246
.LBB23_167:
	s_andn2_b64 vcc, exec, s[2:3]
	s_cbranch_vccnz .LBB23_284
.LBB23_168:
	v_add_u32_e32 v26, 0x80, v26
	s_mov_b64 s[2:3], -1
	s_branch .LBB23_285
.LBB23_169:
	s_mov_b64 s[4:5], -1
	s_mov_b64 s[2:3], 0
	s_mov_b64 s[0:1], s[58:59]
	s_branch .LBB23_204
.LBB23_170:
	s_mov_b64 s[4:5], -1
	s_mov_b64 s[2:3], 0
	s_mov_b64 s[0:1], s[58:59]
	s_branch .LBB23_187
.LBB23_171:
	s_andn2_saveexec_b64 s[6:7], s[6:7]
	s_cbranch_execz .LBB23_52
.LBB23_172:
	s_mov_b32 s10, 0x46000000
	v_add_f32_e64 v1, |v0|, s10
	v_and_b32_e32 v1, 0xff, v1
	v_cmp_ne_u32_e32 vcc, 0, v1
	s_andn2_b64 s[4:5], s[4:5], exec
	s_and_b64 s[10:11], vcc, exec
	s_or_b64 s[4:5], s[4:5], s[10:11]
	s_or_b64 exec, exec, s[6:7]
	v_mov_b32_e32 v4, 0
	s_and_saveexec_b64 s[6:7], s[4:5]
	s_cbranch_execnz .LBB23_53
	s_branch .LBB23_54
.LBB23_173:
	s_mov_b64 s[4:5], -1
	s_mov_b64 s[2:3], 0
	s_mov_b64 s[0:1], s[58:59]
	s_branch .LBB23_183
.LBB23_174:
	s_andn2_saveexec_b64 s[6:7], s[6:7]
	s_cbranch_execz .LBB23_64
.LBB23_175:
	s_mov_b32 s10, 0x42800000
	v_add_f32_e64 v1, |v0|, s10
	v_and_b32_e32 v1, 0xff, v1
	v_cmp_ne_u32_e32 vcc, 0, v1
	s_andn2_b64 s[4:5], s[4:5], exec
	s_and_b64 s[10:11], vcc, exec
	s_or_b64 s[4:5], s[4:5], s[10:11]
	s_or_b64 exec, exec, s[6:7]
	v_mov_b32_e32 v4, 0
	s_and_saveexec_b64 s[6:7], s[4:5]
	s_cbranch_execnz .LBB23_65
	s_branch .LBB23_66
.LBB23_176:
	s_mov_b64 s[4:5], -1
	s_mov_b64 s[2:3], 0
	s_mov_b64 s[0:1], s[58:59]
.LBB23_177:
	s_and_b64 vcc, exec, s[4:5]
	s_cbranch_vccz .LBB23_182
; %bb.178:
	s_cmp_eq_u32 s9, 44
	s_mov_b64 s[0:1], -1
	s_cbranch_scc0 .LBB23_182
; %bb.179:
	v_bfe_u32 v1, v0, 23, 8
	s_movk_i32 s0, 0xff
	v_cmp_ne_u32_e32 vcc, s0, v1
	v_mov_b32_e32 v4, 0xff
	s_and_saveexec_b64 s[2:3], vcc
; %bb.180:
	s_mov_b32 s0, 0x3fffff
	v_and_b32_e32 v5, 0x400000, v0
	v_and_or_b32 v1, v0, s0, v1
	v_cmp_ne_u32_e32 vcc, 0, v5
	v_cmp_ne_u32_e64 s[0:1], 0, v1
	s_and_b64 s[0:1], vcc, s[0:1]
	v_lshrrev_b32_e32 v4, 23, v0
	v_cndmask_b32_e64 v1, 0, 1, s[0:1]
	v_add_u32_e32 v4, v4, v1
; %bb.181:
	s_or_b64 exec, exec, s[2:3]
	s_mov_b64 s[2:3], -1
	s_mov_b64 s[0:1], 0
	global_store_byte v[2:3], v4, off
.LBB23_182:
	s_mov_b64 s[4:5], 0
.LBB23_183:
	s_and_b64 vcc, exec, s[4:5]
	s_cbranch_vccz .LBB23_186
; %bb.184:
	s_cmp_eq_u32 s9, 29
	s_mov_b64 s[0:1], -1
	s_cbranch_scc0 .LBB23_186
; %bb.185:
	v_trunc_f32_e32 v1, v0
	v_mul_f32_e32 v4, 0x2f800000, v1
	v_floor_f32_e32 v4, v4
	v_fmamk_f32 v1, v4, 0xcf800000, v1
	v_cvt_u32_f32_e32 v5, v4
	v_cvt_u32_f32_e32 v4, v1
	s_mov_b64 s[2:3], -1
	s_mov_b64 s[0:1], 0
	s_mov_b64 s[4:5], 0
	global_store_dwordx2 v[2:3], v[4:5], off
	s_branch .LBB23_187
.LBB23_186:
	s_mov_b64 s[4:5], 0
.LBB23_187:
	s_and_b64 vcc, exec, s[4:5]
	s_cbranch_vccz .LBB23_203
; %bb.188:
	s_cmp_lt_i32 s9, 27
	s_mov_b64 s[2:3], -1
	s_cbranch_scc1 .LBB23_194
; %bb.189:
	v_cvt_u32_f32_e32 v1, v0
	s_cmp_gt_i32 s9, 27
	s_cbranch_scc0 .LBB23_191
; %bb.190:
	s_mov_b64 s[2:3], 0
	global_store_dword v[2:3], v1, off
.LBB23_191:
	s_andn2_b64 vcc, exec, s[2:3]
	s_cbranch_vccnz .LBB23_193
; %bb.192:
	global_store_short v[2:3], v1, off
.LBB23_193:
	s_mov_b64 s[2:3], 0
.LBB23_194:
	s_andn2_b64 vcc, exec, s[2:3]
	s_cbranch_vccnz .LBB23_202
; %bb.195:
	v_and_b32_e32 v1, 0x7fffffff, v0
	s_mov_b32 s2, 0x43800000
	v_cmp_gt_u32_e32 vcc, s2, v1
	v_mov_b32_e32 v4, 0x80
	s_and_saveexec_b64 s[2:3], vcc
	s_cbranch_execz .LBB23_201
; %bb.196:
	s_mov_b32 s4, 0x3bffffff
	v_cmp_lt_u32_e32 vcc, s4, v1
	s_mov_b64 s[4:5], 0
                                        ; implicit-def: $vgpr1
	s_and_saveexec_b64 s[6:7], vcc
	s_xor_b64 s[6:7], exec, s[6:7]
	s_cbranch_execz .LBB23_314
; %bb.197:
	v_bfe_u32 v1, v0, 20, 1
	s_mov_b32 s10, 0x487ffff
	v_add3_u32 v1, v0, v1, s10
	s_mov_b64 s[4:5], exec
	v_lshrrev_b32_e32 v1, 20, v1
	s_andn2_saveexec_b64 s[6:7], s[6:7]
	s_cbranch_execnz .LBB23_315
.LBB23_198:
	s_or_b64 exec, exec, s[6:7]
	v_mov_b32_e32 v4, 0
	s_and_saveexec_b64 s[6:7], s[4:5]
.LBB23_199:
	v_lshrrev_b32_e32 v4, 24, v0
	s_movk_i32 s4, 0x80
	v_and_or_b32 v4, v4, s4, v1
.LBB23_200:
	s_or_b64 exec, exec, s[6:7]
.LBB23_201:
	s_or_b64 exec, exec, s[2:3]
	global_store_byte v[2:3], v4, off
.LBB23_202:
	s_mov_b64 s[2:3], -1
.LBB23_203:
	s_mov_b64 s[4:5], 0
.LBB23_204:
	s_and_b64 vcc, exec, s[4:5]
	s_cbranch_vccz .LBB23_245
; %bb.205:
	s_cmp_gt_i32 s9, 22
	s_mov_b64 s[4:5], -1
	s_cbranch_scc0 .LBB23_237
; %bb.206:
	s_cmp_lt_i32 s9, 24
	s_mov_b64 s[2:3], -1
	s_cbranch_scc1 .LBB23_226
; %bb.207:
	s_cmp_gt_i32 s9, 24
	s_cbranch_scc0 .LBB23_215
; %bb.208:
	v_and_b32_e32 v1, 0x7fffffff, v0
	s_mov_b32 s2, 0x47800000
	v_cmp_gt_u32_e32 vcc, s2, v1
	v_mov_b32_e32 v4, 0x80
	s_and_saveexec_b64 s[2:3], vcc
	s_cbranch_execz .LBB23_214
; %bb.209:
	s_mov_b32 s4, 0x37ffffff
	v_cmp_lt_u32_e32 vcc, s4, v1
	s_mov_b64 s[4:5], 0
                                        ; implicit-def: $vgpr1
	s_and_saveexec_b64 s[6:7], vcc
	s_xor_b64 s[6:7], exec, s[6:7]
	s_cbranch_execz .LBB23_317
; %bb.210:
	v_bfe_u32 v1, v0, 21, 1
	s_mov_b32 s10, 0x88fffff
	v_add3_u32 v1, v0, v1, s10
	s_mov_b64 s[4:5], exec
	v_lshrrev_b32_e32 v1, 21, v1
	s_andn2_saveexec_b64 s[6:7], s[6:7]
	s_cbranch_execnz .LBB23_318
.LBB23_211:
	s_or_b64 exec, exec, s[6:7]
	v_mov_b32_e32 v4, 0
	s_and_saveexec_b64 s[6:7], s[4:5]
.LBB23_212:
	v_lshrrev_b32_e32 v4, 24, v0
	s_movk_i32 s4, 0x80
	v_and_or_b32 v4, v4, s4, v1
.LBB23_213:
	s_or_b64 exec, exec, s[6:7]
.LBB23_214:
	s_or_b64 exec, exec, s[2:3]
	s_mov_b64 s[2:3], 0
	global_store_byte v[2:3], v4, off
.LBB23_215:
	s_and_b64 vcc, exec, s[2:3]
	s_cbranch_vccz .LBB23_225
; %bb.216:
	v_and_b32_e32 v4, 0x7fffffff, v0
	s_mov_b32 s2, 0x43f00000
	v_cmp_gt_u32_e32 vcc, s2, v4
                                        ; implicit-def: $vgpr1
	s_and_saveexec_b64 s[2:3], vcc
	s_xor_b64 s[2:3], exec, s[2:3]
	s_cbranch_execz .LBB23_222
; %bb.217:
	s_mov_b32 s4, 0x3c7fffff
	v_cmp_lt_u32_e32 vcc, s4, v4
                                        ; implicit-def: $vgpr1
	s_and_saveexec_b64 s[4:5], vcc
	s_xor_b64 s[4:5], exec, s[4:5]
; %bb.218:
	v_bfe_u32 v1, v0, 20, 1
	s_mov_b32 s6, 0x407ffff
	v_add3_u32 v1, v0, v1, s6
	v_lshrrev_b32_e32 v4, 20, v1
	v_and_b32_e32 v1, 0xff00000, v1
	s_mov_b32 s6, 0x7f00000
	v_mov_b32_e32 v5, 0x7e
	v_cmp_ne_u32_e32 vcc, s6, v1
	s_nop 1
	v_cndmask_b32_e32 v1, v5, v4, vcc
; %bb.219:
	s_andn2_saveexec_b64 s[4:5], s[4:5]
; %bb.220:
	s_mov_b32 s6, 0x46800000
	v_add_f32_e64 v1, |v0|, s6
; %bb.221:
	s_or_b64 exec, exec, s[4:5]
                                        ; implicit-def: $vgpr4
.LBB23_222:
	s_andn2_saveexec_b64 s[2:3], s[2:3]
; %bb.223:
	s_mov_b32 s4, 0x7f800000
	v_mov_b32_e32 v1, 0x7e
	v_mov_b32_e32 v5, 0x7f
	v_cmp_lt_u32_e32 vcc, s4, v4
	s_nop 1
	v_cndmask_b32_e32 v1, v1, v5, vcc
; %bb.224:
	s_or_b64 exec, exec, s[2:3]
	v_lshrrev_b32_e32 v4, 24, v0
	s_movk_i32 s2, 0x80
	v_and_or_b32 v1, v4, s2, v1
	global_store_byte v[2:3], v1, off
.LBB23_225:
	s_mov_b64 s[2:3], 0
.LBB23_226:
	s_andn2_b64 vcc, exec, s[2:3]
	s_cbranch_vccnz .LBB23_236
; %bb.227:
	v_and_b32_e32 v4, 0x7fffffff, v0
	s_mov_b32 s2, 0x47800000
	v_cmp_gt_u32_e32 vcc, s2, v4
                                        ; implicit-def: $vgpr1
	s_and_saveexec_b64 s[2:3], vcc
	s_xor_b64 s[2:3], exec, s[2:3]
	s_cbranch_execz .LBB23_233
; %bb.228:
	s_mov_b32 s4, 0x387fffff
	v_cmp_lt_u32_e32 vcc, s4, v4
                                        ; implicit-def: $vgpr1
	s_and_saveexec_b64 s[4:5], vcc
	s_xor_b64 s[4:5], exec, s[4:5]
; %bb.229:
	v_bfe_u32 v1, v0, 21, 1
	s_mov_b32 s6, 0x80fffff
	v_add3_u32 v1, v0, v1, s6
	v_lshrrev_b32_e32 v1, 21, v1
; %bb.230:
	s_andn2_saveexec_b64 s[4:5], s[4:5]
; %bb.231:
	s_mov_b32 s6, 0x43000000
	v_add_f32_e64 v1, |v0|, s6
; %bb.232:
	s_or_b64 exec, exec, s[4:5]
                                        ; implicit-def: $vgpr4
.LBB23_233:
	s_andn2_saveexec_b64 s[2:3], s[2:3]
; %bb.234:
	s_mov_b32 s4, 0x7f800000
	v_mov_b32_e32 v1, 0x7c
	v_mov_b32_e32 v5, 0x7f
	v_cmp_lt_u32_e32 vcc, s4, v4
	s_nop 1
	v_cndmask_b32_e32 v1, v1, v5, vcc
; %bb.235:
	s_or_b64 exec, exec, s[2:3]
	v_lshrrev_b32_e32 v4, 24, v0
	s_movk_i32 s2, 0x80
	v_and_or_b32 v1, v4, s2, v1
	global_store_byte v[2:3], v1, off
.LBB23_236:
	s_mov_b64 s[4:5], 0
	s_mov_b64 s[2:3], -1
.LBB23_237:
	s_andn2_b64 vcc, exec, s[4:5]
	s_cbranch_vccnz .LBB23_245
; %bb.238:
	s_cmp_gt_i32 s9, 14
	s_mov_b64 s[4:5], -1
	s_cbranch_scc0 .LBB23_242
; %bb.239:
	s_cmp_eq_u32 s9, 15
	s_mov_b64 s[0:1], -1
	s_cbranch_scc0 .LBB23_241
; %bb.240:
	v_bfe_u32 v1, v0, 16, 1
	s_movk_i32 s0, 0x7fff
	v_add3_u32 v1, v0, v1, s0
	v_cmp_o_f32_e32 vcc, v0, v0
	v_mov_b32_e32 v4, 0x7fc0
	s_mov_b64 s[2:3], -1
	v_cndmask_b32_sdwa v1, v4, v1, vcc dst_sel:DWORD dst_unused:UNUSED_PAD src0_sel:DWORD src1_sel:WORD_1
	global_store_short v[2:3], v1, off
	s_mov_b64 s[0:1], 0
.LBB23_241:
	s_mov_b64 s[4:5], 0
.LBB23_242:
	s_and_b64 vcc, exec, s[4:5]
	s_cbranch_vccz .LBB23_245
; %bb.243:
	s_cmp_eq_u32 s9, 11
	s_mov_b64 s[0:1], -1
	s_cbranch_scc0 .LBB23_245
; %bb.244:
	v_cmp_neq_f32_e32 vcc, 0, v0
	s_mov_b64 s[2:3], -1
	s_mov_b64 s[0:1], 0
	v_cndmask_b32_e64 v1, 0, 1, vcc
	global_store_byte v[2:3], v1, off
.LBB23_245:
	s_branch .LBB23_167
.LBB23_246:
	s_and_b32 s4, 0xffff, s8
	s_cmp_lt_i32 s4, 5
	s_mov_b64 s[2:3], -1
	s_cbranch_scc1 .LBB23_267
; %bb.247:
	s_cmp_lt_i32 s4, 8
	s_cbranch_scc1 .LBB23_257
; %bb.248:
	s_cmp_lt_i32 s4, 9
	s_cbranch_scc1 .LBB23_254
; %bb.249:
	s_cmp_gt_i32 s4, 9
	s_cbranch_scc0 .LBB23_251
; %bb.250:
	v_mov_b32_e32 v6, 0
	v_cvt_f64_f32_e32 v[4:5], v0
	v_mov_b32_e32 v7, v6
	s_mov_b64 s[2:3], 0
	global_store_dwordx4 v[2:3], v[4:7], off
.LBB23_251:
	s_andn2_b64 vcc, exec, s[2:3]
	s_cbranch_vccnz .LBB23_253
; %bb.252:
	v_mov_b32_e32 v1, 0
	global_store_dwordx2 v[2:3], v[0:1], off
.LBB23_253:
	s_mov_b64 s[2:3], 0
.LBB23_254:
	s_andn2_b64 vcc, exec, s[2:3]
	s_cbranch_vccnz .LBB23_256
; %bb.255:
	v_cvt_f16_f32_e32 v1, v0
	global_store_dword v[2:3], v1, off
.LBB23_256:
	s_mov_b64 s[2:3], 0
.LBB23_257:
	s_andn2_b64 vcc, exec, s[2:3]
	s_cbranch_vccnz .LBB23_266
; %bb.258:
	s_cmp_lt_i32 s4, 6
	s_mov_b64 s[2:3], -1
	s_cbranch_scc1 .LBB23_264
; %bb.259:
	s_cmp_gt_i32 s4, 6
	s_cbranch_scc0 .LBB23_261
; %bb.260:
	v_cvt_f64_f32_e32 v[4:5], v0
	s_mov_b64 s[2:3], 0
	global_store_dwordx2 v[2:3], v[4:5], off
.LBB23_261:
	s_andn2_b64 vcc, exec, s[2:3]
	s_cbranch_vccnz .LBB23_263
; %bb.262:
	global_store_dword v[2:3], v0, off
.LBB23_263:
	s_mov_b64 s[2:3], 0
.LBB23_264:
	s_andn2_b64 vcc, exec, s[2:3]
	s_cbranch_vccnz .LBB23_266
; %bb.265:
	v_cvt_f16_f32_e32 v1, v0
	global_store_short v[2:3], v1, off
.LBB23_266:
	s_mov_b64 s[2:3], 0
.LBB23_267:
	s_andn2_b64 vcc, exec, s[2:3]
	s_cbranch_vccnz .LBB23_283
; %bb.268:
	s_cmp_lt_i32 s4, 2
	s_mov_b64 s[2:3], -1
	s_cbranch_scc1 .LBB23_278
; %bb.269:
	s_cmp_lt_i32 s4, 3
	s_cbranch_scc1 .LBB23_275
; %bb.270:
	s_cmp_gt_i32 s4, 3
	s_cbranch_scc0 .LBB23_272
; %bb.271:
	v_trunc_f32_e32 v1, v0
	s_mov_b32 s2, 0x2f800000
	v_mul_f32_e64 v4, |v1|, s2
	v_floor_f32_e32 v4, v4
	s_mov_b32 s2, 0xcf800000
	v_cvt_u32_f32_e32 v5, v4
	v_fma_f32 v4, v4, s2, |v1|
	v_cvt_u32_f32_e32 v4, v4
	v_ashrrev_i32_e32 v1, 31, v1
	v_xor_b32_e32 v5, v5, v1
	s_mov_b64 s[2:3], 0
	v_xor_b32_e32 v4, v4, v1
	v_sub_co_u32_e32 v4, vcc, v4, v1
	s_nop 1
	v_subb_co_u32_e32 v5, vcc, v5, v1, vcc
	global_store_dwordx2 v[2:3], v[4:5], off
.LBB23_272:
	s_andn2_b64 vcc, exec, s[2:3]
	s_cbranch_vccnz .LBB23_274
; %bb.273:
	v_cvt_i32_f32_e32 v1, v0
	global_store_dword v[2:3], v1, off
.LBB23_274:
	s_mov_b64 s[2:3], 0
.LBB23_275:
	s_andn2_b64 vcc, exec, s[2:3]
	s_cbranch_vccnz .LBB23_277
; %bb.276:
	v_cvt_i32_f32_e32 v1, v0
	global_store_short v[2:3], v1, off
.LBB23_277:
	s_mov_b64 s[2:3], 0
.LBB23_278:
	s_andn2_b64 vcc, exec, s[2:3]
	s_cbranch_vccnz .LBB23_283
; %bb.279:
	s_cmp_gt_i32 s4, 0
	s_mov_b64 s[2:3], -1
	s_cbranch_scc0 .LBB23_281
; %bb.280:
	v_cvt_i32_f32_e32 v1, v0
	s_mov_b64 s[2:3], 0
	global_store_byte v[2:3], v1, off
.LBB23_281:
	s_andn2_b64 vcc, exec, s[2:3]
	s_cbranch_vccnz .LBB23_283
; %bb.282:
	v_trunc_f32_e32 v0, v0
	s_mov_b32 s2, 0x2f800000
	v_mul_f32_e64 v1, |v0|, s2
	v_floor_f32_e32 v1, v1
	s_mov_b32 s2, 0xcf800000
	v_fma_f32 v1, v1, s2, |v0|
	v_cvt_u32_f32_e32 v1, v1
	v_ashrrev_i32_e32 v0, 31, v0
	v_xor_b32_e32 v1, v1, v0
	v_sub_u32_e32 v0, v1, v0
	global_store_byte v[2:3], v0, off
.LBB23_283:
	s_branch .LBB23_168
.LBB23_284:
	s_mov_b64 s[2:3], 0
                                        ; implicit-def: $vgpr26
.LBB23_285:
	s_andn2_b64 s[4:5], s[58:59], exec
	s_and_b64 s[0:1], s[0:1], exec
	s_or_b64 s[62:63], s[4:5], s[0:1]
	s_orn2_b64 s[4:5], s[2:3], exec
.LBB23_286:
	s_or_b64 exec, exec, s[64:65]
	s_mov_b64 s[0:1], 0
	s_mov_b64 s[2:3], 0
                                        ; implicit-def: $sgpr10
                                        ; implicit-def: $vgpr2_vgpr3
                                        ; implicit-def: $vgpr0
	s_and_saveexec_b64 s[64:65], s[4:5]
	s_cbranch_execz .LBB23_529
; %bb.287:
	v_cmp_gt_i32_e32 vcc, s70, v26
	s_mov_b64 s[2:3], -1
	s_mov_b64 s[68:69], s[62:63]
	s_and_saveexec_b64 s[66:67], vcc
	s_cbranch_execz .LBB23_432
; %bb.288:
	s_andn2_b64 vcc, exec, s[34:35]
	s_cbranch_vccnz .LBB23_294
; %bb.289:
	s_andn2_b64 vcc, exec, s[56:57]
	s_cbranch_vccnz .LBB23_295
; %bb.290:
	s_add_i32 s31, s74, 1
	s_cmp_eq_u32 s72, 2
	s_cbranch_scc1 .LBB23_296
; %bb.291:
	s_and_b32 s30, s31, 28
	s_mov_b32 s68, 0
	v_mov_b32_e32 v24, 0
	v_mov_b32_e32 v2, 0
	s_mov_b64 s[20:21], s[26:27]
	s_mov_b64 s[22:23], s[54:55]
	v_mov_b32_e32 v0, v26
.LBB23_292:                             ; =>This Inner Loop Header: Depth=1
	s_load_dwordx8 s[8:15], s[20:21], 0x4
	s_load_dwordx4 s[16:19], s[20:21], 0x24
	s_load_dwordx8 s[0:7], s[22:23], 0x0
	s_add_u32 s20, s20, 48
	s_addc_u32 s21, s21, 0
	s_waitcnt lgkmcnt(0)
	v_mul_hi_u32 v1, s9, v0
	v_add_u32_e32 v1, v0, v1
	v_lshrrev_b32_e32 v1, s10, v1
	v_mul_lo_u32 v3, v1, s8
	v_mul_hi_u32 v4, s12, v1
	v_sub_u32_e32 v0, v0, v3
	v_add_u32_e32 v3, v1, v4
	v_lshrrev_b32_e32 v3, s13, v3
	v_mul_lo_u32 v5, v3, s11
	v_mul_hi_u32 v6, s15, v3
	v_sub_u32_e32 v1, v1, v5
	v_add_u32_e32 v5, v3, v6
	v_mul_lo_u32 v4, v0, s1
	v_mul_lo_u32 v0, v0, s0
	;; [unrolled: 1-line block ×4, first 2 shown]
	v_lshrrev_b32_e32 v5, s16, v5
	v_add3_u32 v1, v0, v24, v1
	v_add3_u32 v2, v4, v2, v6
	v_mul_lo_u32 v0, v5, s14
	v_mul_hi_u32 v4, s18, v5
	v_sub_u32_e32 v0, v3, v0
	v_add_u32_e32 v3, v5, v4
	v_mul_lo_u32 v4, v0, s4
	v_mul_lo_u32 v6, v0, s5
	v_lshrrev_b32_e32 v0, s19, v3
	s_add_i32 s68, s68, 4
	v_mul_lo_u32 v3, v0, s17
	s_add_u32 s22, s22, 32
	v_sub_u32_e32 v3, v5, v3
	s_addc_u32 s23, s23, 0
	v_mul_lo_u32 v5, v3, s6
	v_mul_lo_u32 v3, v3, s7
	s_cmp_eq_u32 s30, s68
	v_add3_u32 v2, v6, v2, v3
	v_add3_u32 v24, v4, v1, v5
	s_cbranch_scc0 .LBB23_292
; %bb.293:
	v_mov_b32_e32 v1, v2
	s_branch .LBB23_297
.LBB23_294:
	s_mov_b64 s[0:1], -1
                                        ; implicit-def: $vgpr2
                                        ; implicit-def: $vgpr24
	s_branch .LBB23_301
.LBB23_295:
	v_mov_b32_e32 v2, 0
	v_mov_b32_e32 v24, 0
	s_branch .LBB23_300
.LBB23_296:
	v_mov_b32_e32 v24, 0
	s_mov_b32 s30, 0
	v_mov_b32_e32 v1, v24
                                        ; implicit-def: $vgpr2
	v_mov_b32_e32 v0, v26
.LBB23_297:
	s_and_b32 s4, s31, 3
	s_cmp_eq_u32 s4, 0
	s_cbranch_scc1 .LBB23_300
; %bb.298:
	s_lshl_b32 s0, s30, 3
	s_add_u32 s0, s26, s0
	s_addc_u32 s1, s27, 0
	s_add_u32 s0, s0, 0xc4
	s_addc_u32 s1, s1, 0
	s_mul_i32 s2, s30, 12
	s_add_u32 s2, s26, s2
	s_addc_u32 s3, s27, 0
.LBB23_299:                             ; =>This Inner Loop Header: Depth=1
	s_load_dwordx2 s[6:7], s[2:3], 0x4
	s_load_dword s5, s[2:3], 0xc
	s_load_dwordx2 s[8:9], s[0:1], 0x0
	v_mov_b32_e32 v2, v1
	s_add_u32 s2, s2, 12
	s_waitcnt lgkmcnt(0)
	v_mul_hi_u32 v1, s7, v0
	v_add_u32_e32 v1, v0, v1
	v_lshrrev_b32_e32 v1, s5, v1
	s_addc_u32 s3, s3, 0
	v_mul_lo_u32 v3, v1, s6
	s_add_u32 s0, s0, 8
	v_sub_u32_e32 v4, v0, v3
	s_addc_u32 s1, s1, 0
	s_add_i32 s4, s4, -1
	v_mad_u64_u32 v[2:3], s[6:7], v4, s9, v[2:3]
	s_cmp_lg_u32 s4, 0
	v_mov_b32_e32 v0, v1
	v_mad_u64_u32 v[24:25], s[6:7], v4, s8, v[24:25]
	v_mov_b32_e32 v1, v2
	s_cbranch_scc1 .LBB23_299
.LBB23_300:
	s_mov_b64 s[0:1], 0
.LBB23_301:
	s_andn2_b64 vcc, exec, s[0:1]
	s_cbranch_vccnz .LBB23_304
; %bb.302:
	s_waitcnt lgkmcnt(0)
	v_mul_hi_u32 v0, s45, v26
	v_add_u32_e32 v0, v26, v0
	v_lshrrev_b32_e32 v0, s46, v0
	v_mul_lo_u32 v1, v0, s44
	v_sub_u32_e32 v1, v26, v1
	v_mul_lo_u32 v2, v1, s41
	s_andn2_b64 vcc, exec, s[52:53]
	v_mul_lo_u32 v24, v1, s40
	s_cbranch_vccnz .LBB23_304
; %bb.303:
	v_mul_hi_u32 v1, s50, v0
	v_add_u32_e32 v1, v0, v1
	v_lshrrev_b32_e32 v1, s51, v1
	v_mul_lo_u32 v1, v1, s47
	v_sub_u32_e32 v0, v0, v1
	v_mad_u64_u32 v[24:25], s[0:1], v0, s42, v[24:25]
	v_mad_u64_u32 v[2:3], s[0:1], v0, s43, v[2:3]
.LBB23_304:
	s_getpc_b64 s[0:1]
	s_add_u32 s0, s0, _ZN2at6native6invokeIZZZNS0_12_GLOBAL__N_119airy_ai_kernel_cudaERNS_18TensorIteratorBaseEENKUlvE_clEvENKUlvE0_clEvEUlfE_j15function_traitsIS7_EEENT1_11result_typeERKT_PrKPcPKT0_PKN3c1010ScalarTypeEi@rel32@lo+4
	s_addc_u32 s1, s1, _ZN2at6native6invokeIZZZNS0_12_GLOBAL__N_119airy_ai_kernel_cudaERNS_18TensorIteratorBaseEENKUlvE_clEvENKUlvE0_clEvEUlfE_j15function_traitsIS7_EEENT1_11result_typeERKT_PrKPcPKT0_PKN3c1010ScalarTypeEi@rel32@hi+12
	s_waitcnt lgkmcnt(0)
	v_mov_b32_e32 v0, s38
	v_mov_b32_e32 v1, s39
	;; [unrolled: 1-line block ×3, first 2 shown]
	s_swappc_b64 s[30:31], s[0:1]
	v_mov_b32_e32 v25, 0
	s_and_b32 s8, s73, 0xff
	s_cmp_lt_i32 s8, 11
	v_lshl_add_u64 v[2:3], s[36:37], 0, v[24:25]
	s_cbranch_scc1 .LBB23_311
; %bb.305:
	s_and_b32 s9, 0xffff, s8
	s_cmp_gt_i32 s9, 25
	s_cbranch_scc0 .LBB23_312
; %bb.306:
	s_cmp_gt_i32 s9, 28
	s_cbranch_scc0 .LBB23_313
; %bb.307:
	;; [unrolled: 3-line block ×4, first 2 shown]
	s_mov_b64 s[4:5], 0
	s_mov_b64 s[0:1], -1
	s_cmp_eq_u32 s9, 46
	s_mov_b64 s[2:3], 0
	s_cbranch_scc0 .LBB23_320
; %bb.310:
	v_bfe_u32 v1, v0, 16, 1
	s_movk_i32 s0, 0x7fff
	v_add3_u32 v1, v0, v1, s0
	v_cmp_o_f32_e32 vcc, v0, v0
	v_mov_b32_e32 v4, 0x7fc0
	s_mov_b64 s[2:3], -1
	v_cndmask_b32_sdwa v1, v4, v1, vcc dst_sel:DWORD dst_unused:UNUSED_PAD src0_sel:DWORD src1_sel:WORD_1
	global_store_dword v[2:3], v1, off
	s_mov_b64 s[0:1], 0
	s_branch .LBB23_320
.LBB23_311:
	s_mov_b64 s[4:5], -1
	s_mov_b64 s[2:3], 0
	s_mov_b64 s[0:1], s[62:63]
	s_branch .LBB23_389
.LBB23_312:
	s_mov_b64 s[4:5], -1
	s_mov_b64 s[2:3], 0
	s_mov_b64 s[0:1], s[62:63]
	s_branch .LBB23_347
.LBB23_313:
	s_mov_b64 s[4:5], -1
	s_mov_b64 s[2:3], 0
	s_mov_b64 s[0:1], s[62:63]
	s_branch .LBB23_330
.LBB23_314:
	s_andn2_saveexec_b64 s[6:7], s[6:7]
	s_cbranch_execz .LBB23_198
.LBB23_315:
	s_mov_b32 s10, 0x46000000
	v_add_f32_e64 v1, |v0|, s10
	v_and_b32_e32 v1, 0xff, v1
	v_cmp_ne_u32_e32 vcc, 0, v1
	s_andn2_b64 s[4:5], s[4:5], exec
	s_and_b64 s[10:11], vcc, exec
	s_or_b64 s[4:5], s[4:5], s[10:11]
	s_or_b64 exec, exec, s[6:7]
	v_mov_b32_e32 v4, 0
	s_and_saveexec_b64 s[6:7], s[4:5]
	s_cbranch_execnz .LBB23_199
	s_branch .LBB23_200
.LBB23_316:
	s_mov_b64 s[4:5], -1
	s_mov_b64 s[2:3], 0
	s_mov_b64 s[0:1], s[62:63]
	s_branch .LBB23_326
.LBB23_317:
	s_andn2_saveexec_b64 s[6:7], s[6:7]
	s_cbranch_execz .LBB23_211
.LBB23_318:
	s_mov_b32 s10, 0x42800000
	v_add_f32_e64 v1, |v0|, s10
	v_and_b32_e32 v1, 0xff, v1
	v_cmp_ne_u32_e32 vcc, 0, v1
	s_andn2_b64 s[4:5], s[4:5], exec
	s_and_b64 s[10:11], vcc, exec
	s_or_b64 s[4:5], s[4:5], s[10:11]
	s_or_b64 exec, exec, s[6:7]
	v_mov_b32_e32 v4, 0
	s_and_saveexec_b64 s[6:7], s[4:5]
	s_cbranch_execnz .LBB23_212
	s_branch .LBB23_213
.LBB23_319:
	s_mov_b64 s[4:5], -1
	s_mov_b64 s[2:3], 0
	s_mov_b64 s[0:1], s[62:63]
.LBB23_320:
	s_and_b64 vcc, exec, s[4:5]
	s_cbranch_vccz .LBB23_325
; %bb.321:
	s_cmp_eq_u32 s9, 44
	s_mov_b64 s[0:1], -1
	s_cbranch_scc0 .LBB23_325
; %bb.322:
	v_bfe_u32 v1, v0, 23, 8
	s_movk_i32 s0, 0xff
	v_cmp_ne_u32_e32 vcc, s0, v1
	v_mov_b32_e32 v4, 0xff
	s_and_saveexec_b64 s[2:3], vcc
; %bb.323:
	s_mov_b32 s0, 0x3fffff
	v_and_b32_e32 v5, 0x400000, v0
	v_and_or_b32 v1, v0, s0, v1
	v_cmp_ne_u32_e32 vcc, 0, v5
	v_cmp_ne_u32_e64 s[0:1], 0, v1
	s_and_b64 s[0:1], vcc, s[0:1]
	v_lshrrev_b32_e32 v4, 23, v0
	v_cndmask_b32_e64 v1, 0, 1, s[0:1]
	v_add_u32_e32 v4, v4, v1
; %bb.324:
	s_or_b64 exec, exec, s[2:3]
	s_mov_b64 s[2:3], -1
	s_mov_b64 s[0:1], 0
	global_store_byte v[2:3], v4, off
.LBB23_325:
	s_mov_b64 s[4:5], 0
.LBB23_326:
	s_and_b64 vcc, exec, s[4:5]
	s_cbranch_vccz .LBB23_329
; %bb.327:
	s_cmp_eq_u32 s9, 29
	s_mov_b64 s[0:1], -1
	s_cbranch_scc0 .LBB23_329
; %bb.328:
	v_trunc_f32_e32 v1, v0
	v_mul_f32_e32 v4, 0x2f800000, v1
	v_floor_f32_e32 v4, v4
	v_fmamk_f32 v1, v4, 0xcf800000, v1
	v_cvt_u32_f32_e32 v5, v4
	v_cvt_u32_f32_e32 v4, v1
	s_mov_b64 s[2:3], -1
	s_mov_b64 s[0:1], 0
	s_mov_b64 s[4:5], 0
	global_store_dwordx2 v[2:3], v[4:5], off
	s_branch .LBB23_330
.LBB23_329:
	s_mov_b64 s[4:5], 0
.LBB23_330:
	s_and_b64 vcc, exec, s[4:5]
	s_cbranch_vccz .LBB23_346
; %bb.331:
	s_cmp_lt_i32 s9, 27
	s_mov_b64 s[2:3], -1
	s_cbranch_scc1 .LBB23_337
; %bb.332:
	v_cvt_u32_f32_e32 v1, v0
	s_cmp_gt_i32 s9, 27
	s_cbranch_scc0 .LBB23_334
; %bb.333:
	s_mov_b64 s[2:3], 0
	global_store_dword v[2:3], v1, off
.LBB23_334:
	s_andn2_b64 vcc, exec, s[2:3]
	s_cbranch_vccnz .LBB23_336
; %bb.335:
	global_store_short v[2:3], v1, off
.LBB23_336:
	s_mov_b64 s[2:3], 0
.LBB23_337:
	s_andn2_b64 vcc, exec, s[2:3]
	s_cbranch_vccnz .LBB23_345
; %bb.338:
	v_and_b32_e32 v1, 0x7fffffff, v0
	s_mov_b32 s2, 0x43800000
	v_cmp_gt_u32_e32 vcc, s2, v1
	v_mov_b32_e32 v4, 0x80
	s_and_saveexec_b64 s[2:3], vcc
	s_cbranch_execz .LBB23_344
; %bb.339:
	s_mov_b32 s4, 0x3bffffff
	v_cmp_lt_u32_e32 vcc, s4, v1
	s_mov_b64 s[4:5], 0
                                        ; implicit-def: $vgpr1
	s_and_saveexec_b64 s[6:7], vcc
	s_xor_b64 s[6:7], exec, s[6:7]
	s_cbranch_execz .LBB23_1116
; %bb.340:
	v_bfe_u32 v1, v0, 20, 1
	s_mov_b32 s10, 0x487ffff
	v_add3_u32 v1, v0, v1, s10
	s_mov_b64 s[4:5], exec
	v_lshrrev_b32_e32 v1, 20, v1
	s_andn2_saveexec_b64 s[6:7], s[6:7]
	s_cbranch_execnz .LBB23_1117
.LBB23_341:
	s_or_b64 exec, exec, s[6:7]
	v_mov_b32_e32 v4, 0
	s_and_saveexec_b64 s[6:7], s[4:5]
.LBB23_342:
	v_lshrrev_b32_e32 v4, 24, v0
	s_movk_i32 s4, 0x80
	v_and_or_b32 v4, v4, s4, v1
.LBB23_343:
	s_or_b64 exec, exec, s[6:7]
.LBB23_344:
	s_or_b64 exec, exec, s[2:3]
	global_store_byte v[2:3], v4, off
.LBB23_345:
	s_mov_b64 s[2:3], -1
.LBB23_346:
	s_mov_b64 s[4:5], 0
.LBB23_347:
	s_and_b64 vcc, exec, s[4:5]
	s_cbranch_vccz .LBB23_388
; %bb.348:
	s_cmp_gt_i32 s9, 22
	s_mov_b64 s[4:5], -1
	s_cbranch_scc0 .LBB23_380
; %bb.349:
	s_cmp_lt_i32 s9, 24
	s_mov_b64 s[2:3], -1
	s_cbranch_scc1 .LBB23_369
; %bb.350:
	s_cmp_gt_i32 s9, 24
	s_cbranch_scc0 .LBB23_358
; %bb.351:
	v_and_b32_e32 v1, 0x7fffffff, v0
	s_mov_b32 s2, 0x47800000
	v_cmp_gt_u32_e32 vcc, s2, v1
	v_mov_b32_e32 v4, 0x80
	s_and_saveexec_b64 s[2:3], vcc
	s_cbranch_execz .LBB23_357
; %bb.352:
	s_mov_b32 s4, 0x37ffffff
	v_cmp_lt_u32_e32 vcc, s4, v1
	s_mov_b64 s[4:5], 0
                                        ; implicit-def: $vgpr1
	s_and_saveexec_b64 s[6:7], vcc
	s_xor_b64 s[6:7], exec, s[6:7]
	s_cbranch_execz .LBB23_1123
; %bb.353:
	v_bfe_u32 v1, v0, 21, 1
	s_mov_b32 s10, 0x88fffff
	v_add3_u32 v1, v0, v1, s10
	s_mov_b64 s[4:5], exec
	v_lshrrev_b32_e32 v1, 21, v1
	s_andn2_saveexec_b64 s[6:7], s[6:7]
	s_cbranch_execnz .LBB23_1124
.LBB23_354:
	s_or_b64 exec, exec, s[6:7]
	v_mov_b32_e32 v4, 0
	s_and_saveexec_b64 s[6:7], s[4:5]
.LBB23_355:
	v_lshrrev_b32_e32 v4, 24, v0
	s_movk_i32 s4, 0x80
	v_and_or_b32 v4, v4, s4, v1
.LBB23_356:
	s_or_b64 exec, exec, s[6:7]
.LBB23_357:
	s_or_b64 exec, exec, s[2:3]
	s_mov_b64 s[2:3], 0
	global_store_byte v[2:3], v4, off
.LBB23_358:
	s_and_b64 vcc, exec, s[2:3]
	s_cbranch_vccz .LBB23_368
; %bb.359:
	v_and_b32_e32 v4, 0x7fffffff, v0
	s_mov_b32 s2, 0x43f00000
	v_cmp_gt_u32_e32 vcc, s2, v4
                                        ; implicit-def: $vgpr1
	s_and_saveexec_b64 s[2:3], vcc
	s_xor_b64 s[2:3], exec, s[2:3]
	s_cbranch_execz .LBB23_365
; %bb.360:
	s_mov_b32 s4, 0x3c7fffff
	v_cmp_lt_u32_e32 vcc, s4, v4
                                        ; implicit-def: $vgpr1
	s_and_saveexec_b64 s[4:5], vcc
	s_xor_b64 s[4:5], exec, s[4:5]
; %bb.361:
	v_bfe_u32 v1, v0, 20, 1
	s_mov_b32 s6, 0x407ffff
	v_add3_u32 v1, v0, v1, s6
	v_lshrrev_b32_e32 v4, 20, v1
	v_and_b32_e32 v1, 0xff00000, v1
	s_mov_b32 s6, 0x7f00000
	v_mov_b32_e32 v5, 0x7e
	v_cmp_ne_u32_e32 vcc, s6, v1
	s_nop 1
	v_cndmask_b32_e32 v1, v5, v4, vcc
; %bb.362:
	s_andn2_saveexec_b64 s[4:5], s[4:5]
; %bb.363:
	s_mov_b32 s6, 0x46800000
	v_add_f32_e64 v1, |v0|, s6
; %bb.364:
	s_or_b64 exec, exec, s[4:5]
                                        ; implicit-def: $vgpr4
.LBB23_365:
	s_andn2_saveexec_b64 s[2:3], s[2:3]
; %bb.366:
	s_mov_b32 s4, 0x7f800000
	v_mov_b32_e32 v1, 0x7e
	v_mov_b32_e32 v5, 0x7f
	v_cmp_lt_u32_e32 vcc, s4, v4
	s_nop 1
	v_cndmask_b32_e32 v1, v1, v5, vcc
; %bb.367:
	s_or_b64 exec, exec, s[2:3]
	v_lshrrev_b32_e32 v4, 24, v0
	s_movk_i32 s2, 0x80
	v_and_or_b32 v1, v4, s2, v1
	global_store_byte v[2:3], v1, off
.LBB23_368:
	s_mov_b64 s[2:3], 0
.LBB23_369:
	s_andn2_b64 vcc, exec, s[2:3]
	s_cbranch_vccnz .LBB23_379
; %bb.370:
	v_and_b32_e32 v4, 0x7fffffff, v0
	s_mov_b32 s2, 0x47800000
	v_cmp_gt_u32_e32 vcc, s2, v4
                                        ; implicit-def: $vgpr1
	s_and_saveexec_b64 s[2:3], vcc
	s_xor_b64 s[2:3], exec, s[2:3]
	s_cbranch_execz .LBB23_376
; %bb.371:
	s_mov_b32 s4, 0x387fffff
	v_cmp_lt_u32_e32 vcc, s4, v4
                                        ; implicit-def: $vgpr1
	s_and_saveexec_b64 s[4:5], vcc
	s_xor_b64 s[4:5], exec, s[4:5]
; %bb.372:
	v_bfe_u32 v1, v0, 21, 1
	s_mov_b32 s6, 0x80fffff
	v_add3_u32 v1, v0, v1, s6
	v_lshrrev_b32_e32 v1, 21, v1
; %bb.373:
	s_andn2_saveexec_b64 s[4:5], s[4:5]
; %bb.374:
	s_mov_b32 s6, 0x43000000
	v_add_f32_e64 v1, |v0|, s6
; %bb.375:
	s_or_b64 exec, exec, s[4:5]
                                        ; implicit-def: $vgpr4
.LBB23_376:
	s_andn2_saveexec_b64 s[2:3], s[2:3]
; %bb.377:
	s_mov_b32 s4, 0x7f800000
	v_mov_b32_e32 v1, 0x7c
	v_mov_b32_e32 v5, 0x7f
	v_cmp_lt_u32_e32 vcc, s4, v4
	s_nop 1
	v_cndmask_b32_e32 v1, v1, v5, vcc
; %bb.378:
	s_or_b64 exec, exec, s[2:3]
	v_lshrrev_b32_e32 v4, 24, v0
	s_movk_i32 s2, 0x80
	v_and_or_b32 v1, v4, s2, v1
	global_store_byte v[2:3], v1, off
.LBB23_379:
	s_mov_b64 s[4:5], 0
	s_mov_b64 s[2:3], -1
.LBB23_380:
	s_andn2_b64 vcc, exec, s[4:5]
	s_cbranch_vccnz .LBB23_388
; %bb.381:
	s_cmp_gt_i32 s9, 14
	s_mov_b64 s[4:5], -1
	s_cbranch_scc0 .LBB23_385
; %bb.382:
	s_cmp_eq_u32 s9, 15
	s_mov_b64 s[0:1], -1
	s_cbranch_scc0 .LBB23_384
; %bb.383:
	v_bfe_u32 v1, v0, 16, 1
	s_movk_i32 s0, 0x7fff
	v_add3_u32 v1, v0, v1, s0
	v_cmp_o_f32_e32 vcc, v0, v0
	v_mov_b32_e32 v4, 0x7fc0
	s_mov_b64 s[2:3], -1
	v_cndmask_b32_sdwa v1, v4, v1, vcc dst_sel:DWORD dst_unused:UNUSED_PAD src0_sel:DWORD src1_sel:WORD_1
	global_store_short v[2:3], v1, off
	s_mov_b64 s[0:1], 0
.LBB23_384:
	s_mov_b64 s[4:5], 0
.LBB23_385:
	s_and_b64 vcc, exec, s[4:5]
	s_cbranch_vccz .LBB23_388
; %bb.386:
	s_cmp_eq_u32 s9, 11
	s_mov_b64 s[0:1], -1
	s_cbranch_scc0 .LBB23_388
; %bb.387:
	v_cmp_neq_f32_e32 vcc, 0, v0
	s_mov_b64 s[2:3], -1
	s_mov_b64 s[0:1], 0
	v_cndmask_b32_e64 v1, 0, 1, vcc
	global_store_byte v[2:3], v1, off
.LBB23_388:
	s_mov_b64 s[4:5], 0
.LBB23_389:
	s_and_b64 vcc, exec, s[4:5]
	s_cbranch_vccz .LBB23_428
; %bb.390:
	s_and_b32 s4, 0xffff, s8
	s_cmp_lt_i32 s4, 5
	s_mov_b64 s[2:3], -1
	s_cbranch_scc1 .LBB23_411
; %bb.391:
	s_cmp_lt_i32 s4, 8
	s_cbranch_scc1 .LBB23_401
; %bb.392:
	s_cmp_lt_i32 s4, 9
	s_cbranch_scc1 .LBB23_398
; %bb.393:
	s_cmp_gt_i32 s4, 9
	s_cbranch_scc0 .LBB23_395
; %bb.394:
	v_mov_b32_e32 v6, 0
	v_cvt_f64_f32_e32 v[4:5], v0
	v_mov_b32_e32 v7, v6
	s_mov_b64 s[2:3], 0
	global_store_dwordx4 v[2:3], v[4:7], off
.LBB23_395:
	s_andn2_b64 vcc, exec, s[2:3]
	s_cbranch_vccnz .LBB23_397
; %bb.396:
	v_mov_b32_e32 v1, 0
	global_store_dwordx2 v[2:3], v[0:1], off
.LBB23_397:
	s_mov_b64 s[2:3], 0
.LBB23_398:
	s_andn2_b64 vcc, exec, s[2:3]
	s_cbranch_vccnz .LBB23_400
; %bb.399:
	v_cvt_f16_f32_e32 v1, v0
	global_store_dword v[2:3], v1, off
.LBB23_400:
	s_mov_b64 s[2:3], 0
.LBB23_401:
	s_andn2_b64 vcc, exec, s[2:3]
	s_cbranch_vccnz .LBB23_410
; %bb.402:
	s_cmp_lt_i32 s4, 6
	s_mov_b64 s[2:3], -1
	s_cbranch_scc1 .LBB23_408
; %bb.403:
	s_cmp_gt_i32 s4, 6
	s_cbranch_scc0 .LBB23_405
; %bb.404:
	v_cvt_f64_f32_e32 v[4:5], v0
	s_mov_b64 s[2:3], 0
	global_store_dwordx2 v[2:3], v[4:5], off
.LBB23_405:
	s_andn2_b64 vcc, exec, s[2:3]
	s_cbranch_vccnz .LBB23_407
; %bb.406:
	global_store_dword v[2:3], v0, off
.LBB23_407:
	s_mov_b64 s[2:3], 0
.LBB23_408:
	s_andn2_b64 vcc, exec, s[2:3]
	s_cbranch_vccnz .LBB23_410
; %bb.409:
	v_cvt_f16_f32_e32 v1, v0
	global_store_short v[2:3], v1, off
.LBB23_410:
	s_mov_b64 s[2:3], 0
.LBB23_411:
	s_andn2_b64 vcc, exec, s[2:3]
	s_cbranch_vccnz .LBB23_427
; %bb.412:
	s_cmp_lt_i32 s4, 2
	s_mov_b64 s[2:3], -1
	s_cbranch_scc1 .LBB23_422
; %bb.413:
	s_cmp_lt_i32 s4, 3
	s_cbranch_scc1 .LBB23_419
; %bb.414:
	s_cmp_gt_i32 s4, 3
	s_cbranch_scc0 .LBB23_416
; %bb.415:
	v_trunc_f32_e32 v1, v0
	s_mov_b32 s2, 0x2f800000
	v_mul_f32_e64 v4, |v1|, s2
	v_floor_f32_e32 v4, v4
	s_mov_b32 s2, 0xcf800000
	v_cvt_u32_f32_e32 v5, v4
	v_fma_f32 v4, v4, s2, |v1|
	v_cvt_u32_f32_e32 v4, v4
	v_ashrrev_i32_e32 v1, 31, v1
	v_xor_b32_e32 v5, v5, v1
	s_mov_b64 s[2:3], 0
	v_xor_b32_e32 v4, v4, v1
	v_sub_co_u32_e32 v4, vcc, v4, v1
	s_nop 1
	v_subb_co_u32_e32 v5, vcc, v5, v1, vcc
	global_store_dwordx2 v[2:3], v[4:5], off
.LBB23_416:
	s_andn2_b64 vcc, exec, s[2:3]
	s_cbranch_vccnz .LBB23_418
; %bb.417:
	v_cvt_i32_f32_e32 v1, v0
	global_store_dword v[2:3], v1, off
.LBB23_418:
	s_mov_b64 s[2:3], 0
.LBB23_419:
	s_andn2_b64 vcc, exec, s[2:3]
	s_cbranch_vccnz .LBB23_421
; %bb.420:
	v_cvt_i32_f32_e32 v1, v0
	global_store_short v[2:3], v1, off
.LBB23_421:
	s_mov_b64 s[2:3], 0
.LBB23_422:
	s_andn2_b64 vcc, exec, s[2:3]
	s_cbranch_vccnz .LBB23_427
; %bb.423:
	s_cmp_gt_i32 s4, 0
	s_mov_b64 s[2:3], -1
	s_cbranch_scc0 .LBB23_425
; %bb.424:
	v_cvt_i32_f32_e32 v1, v0
	s_mov_b64 s[2:3], 0
	global_store_byte v[2:3], v1, off
.LBB23_425:
	s_andn2_b64 vcc, exec, s[2:3]
	s_cbranch_vccnz .LBB23_427
; %bb.426:
	v_trunc_f32_e32 v0, v0
	s_mov_b32 s2, 0x2f800000
	v_mul_f32_e64 v1, |v0|, s2
	v_floor_f32_e32 v1, v1
	s_mov_b32 s2, 0xcf800000
	v_fma_f32 v1, v1, s2, |v0|
	v_cvt_u32_f32_e32 v1, v1
	v_ashrrev_i32_e32 v0, 31, v0
	v_xor_b32_e32 v1, v1, v0
	v_sub_u32_e32 v0, v1, v0
	global_store_byte v[2:3], v0, off
.LBB23_427:
	s_mov_b64 s[2:3], -1
.LBB23_428:
	s_andn2_b64 vcc, exec, s[2:3]
	s_cbranch_vccnz .LBB23_430
; %bb.429:
	v_add_u32_e32 v26, 0x80, v26
	s_mov_b64 s[2:3], -1
	s_branch .LBB23_431
.LBB23_430:
	s_mov_b64 s[2:3], 0
                                        ; implicit-def: $vgpr26
.LBB23_431:
	s_andn2_b64 s[4:5], s[62:63], exec
	s_and_b64 s[0:1], s[0:1], exec
	s_or_b64 s[68:69], s[4:5], s[0:1]
	s_orn2_b64 s[2:3], s[2:3], exec
.LBB23_432:
	s_or_b64 exec, exec, s[66:67]
	s_mov_b64 s[0:1], 0
	s_mov_b64 s[6:7], 0
                                        ; implicit-def: $sgpr10
                                        ; implicit-def: $vgpr2_vgpr3
                                        ; implicit-def: $vgpr0
	s_and_saveexec_b64 s[66:67], s[2:3]
	s_cbranch_execz .LBB23_528
; %bb.433:
	v_cmp_gt_i32_e32 vcc, s70, v26
	s_mov_b64 s[2:3], 0
	s_mov_b64 s[4:5], s[68:69]
                                        ; implicit-def: $sgpr10
                                        ; implicit-def: $vgpr2_vgpr3
                                        ; implicit-def: $vgpr0
	s_and_saveexec_b64 s[70:71], vcc
	s_cbranch_execz .LBB23_527
; %bb.434:
	s_andn2_b64 vcc, exec, s[34:35]
	s_cbranch_vccnz .LBB23_440
; %bb.435:
	s_andn2_b64 vcc, exec, s[56:57]
	s_cbranch_vccnz .LBB23_441
; %bb.436:
	s_add_i32 s74, s74, 1
	s_cmp_eq_u32 s72, 2
	s_cbranch_scc1 .LBB23_442
; %bb.437:
	s_and_b32 s22, s74, 28
	s_mov_b32 s23, 0
	v_mov_b32_e32 v24, 0
	v_mov_b32_e32 v2, 0
	s_mov_b64 s[20:21], s[26:27]
	v_mov_b32_e32 v0, v26
.LBB23_438:                             ; =>This Inner Loop Header: Depth=1
	s_load_dwordx8 s[8:15], s[20:21], 0x4
	s_load_dwordx4 s[16:19], s[20:21], 0x24
	s_load_dwordx8 s[0:7], s[54:55], 0x0
	s_add_u32 s20, s20, 48
	s_addc_u32 s21, s21, 0
	s_waitcnt lgkmcnt(0)
	v_mul_hi_u32 v1, s9, v0
	v_add_u32_e32 v1, v0, v1
	v_lshrrev_b32_e32 v1, s10, v1
	v_mul_lo_u32 v3, v1, s8
	v_mul_hi_u32 v4, s12, v1
	v_sub_u32_e32 v0, v0, v3
	v_add_u32_e32 v3, v1, v4
	v_lshrrev_b32_e32 v3, s13, v3
	v_mul_lo_u32 v5, v3, s11
	v_mul_hi_u32 v6, s15, v3
	v_sub_u32_e32 v1, v1, v5
	v_add_u32_e32 v5, v3, v6
	v_mul_lo_u32 v4, v0, s1
	v_mul_lo_u32 v0, v0, s0
	;; [unrolled: 1-line block ×4, first 2 shown]
	v_lshrrev_b32_e32 v5, s16, v5
	v_add3_u32 v1, v0, v24, v1
	v_add3_u32 v2, v4, v2, v6
	v_mul_lo_u32 v0, v5, s14
	v_mul_hi_u32 v4, s18, v5
	v_sub_u32_e32 v0, v3, v0
	v_add_u32_e32 v3, v5, v4
	v_mul_lo_u32 v4, v0, s4
	v_mul_lo_u32 v6, v0, s5
	v_lshrrev_b32_e32 v0, s19, v3
	s_add_i32 s23, s23, 4
	v_mul_lo_u32 v3, v0, s17
	s_add_u32 s54, s54, 32
	v_sub_u32_e32 v3, v5, v3
	s_addc_u32 s55, s55, 0
	v_mul_lo_u32 v5, v3, s6
	v_mul_lo_u32 v3, v3, s7
	s_cmp_eq_u32 s22, s23
	v_add3_u32 v2, v6, v2, v3
	v_add3_u32 v24, v4, v1, v5
	s_cbranch_scc0 .LBB23_438
; %bb.439:
	v_mov_b32_e32 v1, v2
	s_branch .LBB23_443
.LBB23_440:
	s_mov_b64 s[0:1], -1
                                        ; implicit-def: $vgpr2
                                        ; implicit-def: $vgpr24
	s_branch .LBB23_447
.LBB23_441:
	v_mov_b32_e32 v2, 0
	v_mov_b32_e32 v24, 0
	s_branch .LBB23_446
.LBB23_442:
	v_mov_b32_e32 v24, 0
	s_mov_b32 s22, 0
	v_mov_b32_e32 v1, v24
                                        ; implicit-def: $vgpr2
	v_mov_b32_e32 v0, v26
.LBB23_443:
	s_and_b32 s4, s74, 3
	s_cmp_eq_u32 s4, 0
	s_cbranch_scc1 .LBB23_446
; %bb.444:
	s_lshl_b32 s0, s22, 3
	s_add_u32 s0, s26, s0
	s_addc_u32 s1, s27, 0
	s_add_u32 s0, s0, 0xc4
	s_addc_u32 s1, s1, 0
	s_mul_i32 s2, s22, 12
	s_add_u32 s2, s26, s2
	s_addc_u32 s3, s27, 0
.LBB23_445:                             ; =>This Inner Loop Header: Depth=1
	s_load_dwordx2 s[6:7], s[2:3], 0x4
	s_load_dword s5, s[2:3], 0xc
	s_load_dwordx2 s[8:9], s[0:1], 0x0
	v_mov_b32_e32 v2, v1
	s_add_u32 s2, s2, 12
	s_waitcnt lgkmcnt(0)
	v_mul_hi_u32 v1, s7, v0
	v_add_u32_e32 v1, v0, v1
	v_lshrrev_b32_e32 v1, s5, v1
	s_addc_u32 s3, s3, 0
	v_mul_lo_u32 v3, v1, s6
	s_add_u32 s0, s0, 8
	v_sub_u32_e32 v4, v0, v3
	s_addc_u32 s1, s1, 0
	s_add_i32 s4, s4, -1
	v_mad_u64_u32 v[2:3], s[6:7], v4, s9, v[2:3]
	s_cmp_lg_u32 s4, 0
	v_mov_b32_e32 v0, v1
	v_mad_u64_u32 v[24:25], s[6:7], v4, s8, v[24:25]
	v_mov_b32_e32 v1, v2
	s_cbranch_scc1 .LBB23_445
.LBB23_446:
	s_mov_b64 s[0:1], 0
.LBB23_447:
	s_andn2_b64 vcc, exec, s[0:1]
	s_cbranch_vccnz .LBB23_450
; %bb.448:
	s_waitcnt lgkmcnt(0)
	v_mul_hi_u32 v0, s45, v26
	v_add_u32_e32 v0, v26, v0
	v_lshrrev_b32_e32 v0, s46, v0
	v_mul_lo_u32 v1, v0, s44
	v_sub_u32_e32 v1, v26, v1
	v_mul_lo_u32 v2, v1, s41
	s_andn2_b64 vcc, exec, s[52:53]
	v_mul_lo_u32 v24, v1, s40
	s_cbranch_vccnz .LBB23_450
; %bb.449:
	v_mul_hi_u32 v1, s50, v0
	v_add_u32_e32 v1, v0, v1
	v_lshrrev_b32_e32 v1, s51, v1
	v_mul_lo_u32 v1, v1, s47
	v_sub_u32_e32 v0, v0, v1
	v_mad_u64_u32 v[24:25], s[0:1], v0, s42, v[24:25]
	v_mad_u64_u32 v[2:3], s[0:1], v0, s43, v[2:3]
.LBB23_450:
	s_getpc_b64 s[0:1]
	s_add_u32 s0, s0, _ZN2at6native6invokeIZZZNS0_12_GLOBAL__N_119airy_ai_kernel_cudaERNS_18TensorIteratorBaseEENKUlvE_clEvENKUlvE0_clEvEUlfE_j15function_traitsIS7_EEENT1_11result_typeERKT_PrKPcPKT0_PKN3c1010ScalarTypeEi@rel32@lo+4
	s_addc_u32 s1, s1, _ZN2at6native6invokeIZZZNS0_12_GLOBAL__N_119airy_ai_kernel_cudaERNS_18TensorIteratorBaseEENKUlvE_clEvENKUlvE0_clEvEUlfE_j15function_traitsIS7_EEENT1_11result_typeERKT_PrKPcPKT0_PKN3c1010ScalarTypeEi@rel32@hi+12
	s_waitcnt lgkmcnt(0)
	v_mov_b32_e32 v0, s38
	v_mov_b32_e32 v1, s39
	;; [unrolled: 1-line block ×3, first 2 shown]
	s_swappc_b64 s[30:31], s[0:1]
	v_mov_b32_e32 v25, 0
	s_and_b32 s10, s73, 0xff
	s_cmp_lt_i32 s10, 11
	v_lshl_add_u64 v[2:3], s[36:37], 0, v[24:25]
	s_cbranch_scc1 .LBB23_467
; %bb.451:
	s_and_b32 s11, 0xffff, s10
	s_mov_b64 s[4:5], -1
	s_cmp_gt_i32 s11, 25
	s_mov_b64 s[0:1], s[68:69]
	s_cbranch_scc0 .LBB23_485
; %bb.452:
	s_mov_b64 s[2:3], -1
	s_cmp_gt_i32 s11, 28
	s_mov_b64 s[0:1], s[68:69]
	s_cbranch_scc0 .LBB23_469
; %bb.453:
	s_cmp_gt_i32 s11, 43
	s_mov_b64 s[0:1], s[68:69]
	s_cbranch_scc0 .LBB23_464
; %bb.454:
	;; [unrolled: 4-line block ×3, first 2 shown]
	s_cmp_eq_u32 s11, 46
	s_mov_b64 s[0:1], -1
	s_cbranch_scc0 .LBB23_457
; %bb.456:
	v_bfe_u32 v1, v0, 16, 1
	s_movk_i32 s0, 0x7fff
	v_add3_u32 v1, v0, v1, s0
	v_cmp_o_f32_e32 vcc, v0, v0
	v_mov_b32_e32 v4, 0x7fc0
	s_mov_b64 s[0:1], 0
	v_cndmask_b32_sdwa v1, v4, v1, vcc dst_sel:DWORD dst_unused:UNUSED_PAD src0_sel:DWORD src1_sel:WORD_1
	global_store_dword v[2:3], v1, off
.LBB23_457:
	s_mov_b64 s[2:3], 0
.LBB23_458:
	s_and_b64 vcc, exec, s[2:3]
	s_cbranch_vccz .LBB23_463
; %bb.459:
	s_cmp_eq_u32 s11, 44
	s_mov_b64 s[0:1], -1
	s_cbranch_scc0 .LBB23_463
; %bb.460:
	v_bfe_u32 v1, v0, 23, 8
	s_movk_i32 s0, 0xff
	v_cmp_ne_u32_e32 vcc, s0, v1
	v_mov_b32_e32 v4, 0xff
	s_and_saveexec_b64 s[2:3], vcc
; %bb.461:
	s_mov_b32 s0, 0x3fffff
	v_and_b32_e32 v5, 0x400000, v0
	v_and_or_b32 v1, v0, s0, v1
	v_cmp_ne_u32_e32 vcc, 0, v5
	v_cmp_ne_u32_e64 s[0:1], 0, v1
	s_and_b64 s[0:1], vcc, s[0:1]
	v_lshrrev_b32_e32 v4, 23, v0
	v_cndmask_b32_e64 v1, 0, 1, s[0:1]
	v_add_u32_e32 v4, v4, v1
; %bb.462:
	s_or_b64 exec, exec, s[2:3]
	s_mov_b64 s[0:1], 0
	global_store_byte v[2:3], v4, off
.LBB23_463:
	s_mov_b64 s[2:3], 0
.LBB23_464:
	s_and_b64 vcc, exec, s[2:3]
	s_cbranch_vccz .LBB23_468
; %bb.465:
	s_cmp_eq_u32 s11, 29
	s_mov_b64 s[0:1], -1
	s_cbranch_scc0 .LBB23_468
; %bb.466:
	v_trunc_f32_e32 v1, v0
	v_mul_f32_e32 v4, 0x2f800000, v1
	v_floor_f32_e32 v4, v4
	v_fmamk_f32 v1, v4, 0xcf800000, v1
	v_cvt_u32_f32_e32 v5, v4
	v_cvt_u32_f32_e32 v4, v1
	s_mov_b64 s[0:1], 0
	s_mov_b64 s[2:3], 0
	global_store_dwordx2 v[2:3], v[4:5], off
	s_branch .LBB23_469
.LBB23_467:
	s_mov_b64 s[4:5], 0
	s_mov_b64 s[2:3], -1
	s_mov_b64 s[0:1], s[68:69]
	s_branch .LBB23_526
.LBB23_468:
	s_mov_b64 s[2:3], 0
.LBB23_469:
	s_and_b64 vcc, exec, s[2:3]
	s_cbranch_vccz .LBB23_484
; %bb.470:
	s_cmp_lt_i32 s11, 27
	s_mov_b64 s[2:3], -1
	s_cbranch_scc1 .LBB23_476
; %bb.471:
	v_cvt_u32_f32_e32 v1, v0
	s_cmp_gt_i32 s11, 27
	s_cbranch_scc0 .LBB23_473
; %bb.472:
	s_mov_b64 s[2:3], 0
	global_store_dword v[2:3], v1, off
.LBB23_473:
	s_andn2_b64 vcc, exec, s[2:3]
	s_cbranch_vccnz .LBB23_475
; %bb.474:
	global_store_short v[2:3], v1, off
.LBB23_475:
	s_mov_b64 s[2:3], 0
.LBB23_476:
	s_andn2_b64 vcc, exec, s[2:3]
	s_cbranch_vccnz .LBB23_484
; %bb.477:
	v_and_b32_e32 v1, 0x7fffffff, v0
	s_mov_b32 s2, 0x43800000
	v_cmp_gt_u32_e32 vcc, s2, v1
	v_mov_b32_e32 v4, 0x80
	s_and_saveexec_b64 s[2:3], vcc
	s_cbranch_execz .LBB23_483
; %bb.478:
	s_mov_b32 s4, 0x3bffffff
	v_cmp_lt_u32_e32 vcc, s4, v1
	s_mov_b64 s[4:5], 0
                                        ; implicit-def: $vgpr1
	s_and_saveexec_b64 s[6:7], vcc
	s_xor_b64 s[6:7], exec, s[6:7]
	s_cbranch_execz .LBB23_1125
; %bb.479:
	v_bfe_u32 v1, v0, 20, 1
	s_mov_b32 s8, 0x487ffff
	v_add3_u32 v1, v0, v1, s8
	s_mov_b64 s[4:5], exec
	v_lshrrev_b32_e32 v1, 20, v1
	s_andn2_saveexec_b64 s[6:7], s[6:7]
	s_cbranch_execnz .LBB23_1126
.LBB23_480:
	s_or_b64 exec, exec, s[6:7]
	v_mov_b32_e32 v4, 0
	s_and_saveexec_b64 s[6:7], s[4:5]
.LBB23_481:
	v_lshrrev_b32_e32 v4, 24, v0
	s_movk_i32 s4, 0x80
	v_and_or_b32 v4, v4, s4, v1
.LBB23_482:
	s_or_b64 exec, exec, s[6:7]
.LBB23_483:
	s_or_b64 exec, exec, s[2:3]
	global_store_byte v[2:3], v4, off
.LBB23_484:
	s_mov_b64 s[4:5], 0
.LBB23_485:
	s_mov_b64 s[2:3], 0
	s_and_b64 vcc, exec, s[4:5]
	s_cbranch_vccz .LBB23_525
; %bb.486:
	s_cmp_gt_i32 s11, 22
	s_mov_b64 s[4:5], -1
	s_cbranch_scc0 .LBB23_518
; %bb.487:
	s_cmp_lt_i32 s11, 24
	s_cbranch_scc1 .LBB23_507
; %bb.488:
	s_cmp_gt_i32 s11, 24
	s_cbranch_scc0 .LBB23_496
; %bb.489:
	v_and_b32_e32 v1, 0x7fffffff, v0
	s_mov_b32 s4, 0x47800000
	v_cmp_gt_u32_e32 vcc, s4, v1
	v_mov_b32_e32 v4, 0x80
	s_and_saveexec_b64 s[4:5], vcc
	s_cbranch_execz .LBB23_495
; %bb.490:
	s_mov_b32 s6, 0x37ffffff
	v_cmp_lt_u32_e32 vcc, s6, v1
	s_mov_b64 s[6:7], 0
                                        ; implicit-def: $vgpr1
	s_and_saveexec_b64 s[8:9], vcc
	s_xor_b64 s[8:9], exec, s[8:9]
	s_cbranch_execz .LBB23_1129
; %bb.491:
	v_bfe_u32 v1, v0, 21, 1
	s_mov_b32 s12, 0x88fffff
	v_add3_u32 v1, v0, v1, s12
	s_mov_b64 s[6:7], exec
	v_lshrrev_b32_e32 v1, 21, v1
	s_andn2_saveexec_b64 s[8:9], s[8:9]
	s_cbranch_execnz .LBB23_1130
.LBB23_492:
	s_or_b64 exec, exec, s[8:9]
	v_mov_b32_e32 v4, 0
	s_and_saveexec_b64 s[8:9], s[6:7]
.LBB23_493:
	v_lshrrev_b32_e32 v4, 24, v0
	s_movk_i32 s6, 0x80
	v_and_or_b32 v4, v4, s6, v1
.LBB23_494:
	s_or_b64 exec, exec, s[8:9]
.LBB23_495:
	s_or_b64 exec, exec, s[4:5]
	s_mov_b64 s[4:5], 0
	global_store_byte v[2:3], v4, off
.LBB23_496:
	s_and_b64 vcc, exec, s[4:5]
	s_cbranch_vccz .LBB23_506
; %bb.497:
	v_and_b32_e32 v4, 0x7fffffff, v0
	s_mov_b32 s4, 0x43f00000
	v_cmp_gt_u32_e32 vcc, s4, v4
                                        ; implicit-def: $vgpr1
	s_and_saveexec_b64 s[4:5], vcc
	s_xor_b64 s[4:5], exec, s[4:5]
	s_cbranch_execz .LBB23_503
; %bb.498:
	s_mov_b32 s6, 0x3c7fffff
	v_cmp_lt_u32_e32 vcc, s6, v4
                                        ; implicit-def: $vgpr1
	s_and_saveexec_b64 s[6:7], vcc
	s_xor_b64 s[6:7], exec, s[6:7]
; %bb.499:
	v_bfe_u32 v1, v0, 20, 1
	s_mov_b32 s8, 0x407ffff
	v_add3_u32 v1, v0, v1, s8
	v_lshrrev_b32_e32 v4, 20, v1
	v_and_b32_e32 v1, 0xff00000, v1
	s_mov_b32 s8, 0x7f00000
	v_mov_b32_e32 v5, 0x7e
	v_cmp_ne_u32_e32 vcc, s8, v1
	s_nop 1
	v_cndmask_b32_e32 v1, v5, v4, vcc
; %bb.500:
	s_andn2_saveexec_b64 s[6:7], s[6:7]
; %bb.501:
	s_mov_b32 s8, 0x46800000
	v_add_f32_e64 v1, |v0|, s8
; %bb.502:
	s_or_b64 exec, exec, s[6:7]
                                        ; implicit-def: $vgpr4
.LBB23_503:
	s_andn2_saveexec_b64 s[4:5], s[4:5]
; %bb.504:
	s_mov_b32 s6, 0x7f800000
	v_mov_b32_e32 v1, 0x7e
	v_mov_b32_e32 v5, 0x7f
	v_cmp_lt_u32_e32 vcc, s6, v4
	s_nop 1
	v_cndmask_b32_e32 v1, v1, v5, vcc
; %bb.505:
	s_or_b64 exec, exec, s[4:5]
	v_lshrrev_b32_e32 v4, 24, v0
	s_movk_i32 s4, 0x80
	v_and_or_b32 v1, v4, s4, v1
	global_store_byte v[2:3], v1, off
.LBB23_506:
	s_mov_b64 s[4:5], 0
.LBB23_507:
	s_andn2_b64 vcc, exec, s[4:5]
	s_cbranch_vccnz .LBB23_517
; %bb.508:
	v_and_b32_e32 v4, 0x7fffffff, v0
	s_mov_b32 s4, 0x47800000
	v_cmp_gt_u32_e32 vcc, s4, v4
                                        ; implicit-def: $vgpr1
	s_and_saveexec_b64 s[4:5], vcc
	s_xor_b64 s[4:5], exec, s[4:5]
	s_cbranch_execz .LBB23_514
; %bb.509:
	s_mov_b32 s6, 0x387fffff
	v_cmp_lt_u32_e32 vcc, s6, v4
                                        ; implicit-def: $vgpr1
	s_and_saveexec_b64 s[6:7], vcc
	s_xor_b64 s[6:7], exec, s[6:7]
; %bb.510:
	v_bfe_u32 v1, v0, 21, 1
	s_mov_b32 s8, 0x80fffff
	v_add3_u32 v1, v0, v1, s8
	v_lshrrev_b32_e32 v1, 21, v1
; %bb.511:
	s_andn2_saveexec_b64 s[6:7], s[6:7]
; %bb.512:
	s_mov_b32 s8, 0x43000000
	v_add_f32_e64 v1, |v0|, s8
; %bb.513:
	s_or_b64 exec, exec, s[6:7]
                                        ; implicit-def: $vgpr4
.LBB23_514:
	s_andn2_saveexec_b64 s[4:5], s[4:5]
; %bb.515:
	s_mov_b32 s6, 0x7f800000
	v_mov_b32_e32 v1, 0x7c
	v_mov_b32_e32 v5, 0x7f
	v_cmp_lt_u32_e32 vcc, s6, v4
	s_nop 1
	v_cndmask_b32_e32 v1, v1, v5, vcc
; %bb.516:
	s_or_b64 exec, exec, s[4:5]
	v_lshrrev_b32_e32 v4, 24, v0
	s_movk_i32 s4, 0x80
	v_and_or_b32 v1, v4, s4, v1
	global_store_byte v[2:3], v1, off
.LBB23_517:
	s_mov_b64 s[4:5], 0
.LBB23_518:
	s_andn2_b64 vcc, exec, s[4:5]
	s_mov_b64 s[4:5], 0
	s_cbranch_vccnz .LBB23_526
; %bb.519:
	s_cmp_gt_i32 s11, 14
	s_mov_b64 s[6:7], -1
	s_cbranch_scc0 .LBB23_523
; %bb.520:
	s_cmp_eq_u32 s11, 15
	s_mov_b64 s[0:1], -1
	s_cbranch_scc0 .LBB23_522
; %bb.521:
	v_bfe_u32 v1, v0, 16, 1
	s_movk_i32 s0, 0x7fff
	v_add3_u32 v1, v0, v1, s0
	v_cmp_o_f32_e32 vcc, v0, v0
	v_mov_b32_e32 v4, 0x7fc0
	s_mov_b64 s[0:1], 0
	v_cndmask_b32_sdwa v1, v4, v1, vcc dst_sel:DWORD dst_unused:UNUSED_PAD src0_sel:DWORD src1_sel:WORD_1
	global_store_short v[2:3], v1, off
.LBB23_522:
	s_mov_b64 s[6:7], 0
.LBB23_523:
	s_and_b64 vcc, exec, s[6:7]
	s_cbranch_vccz .LBB23_526
; %bb.524:
	s_cmp_lg_u32 s11, 11
	s_cselect_b64 s[6:7], -1, 0
	s_andn2_b64 s[0:1], s[0:1], exec
	s_and_b64 s[6:7], s[6:7], exec
	s_mov_b64 s[4:5], -1
	s_or_b64 s[0:1], s[0:1], s[6:7]
	s_branch .LBB23_526
.LBB23_525:
	s_mov_b64 s[4:5], 0
.LBB23_526:
	s_and_b64 s[6:7], s[2:3], exec
	s_and_b64 s[2:3], s[4:5], exec
	s_andn2_b64 s[4:5], s[68:69], exec
	s_and_b64 s[0:1], s[0:1], exec
	s_or_b64 s[4:5], s[4:5], s[0:1]
.LBB23_527:
	s_or_b64 exec, exec, s[70:71]
	s_and_b64 s[0:1], s[2:3], exec
	s_andn2_b64 s[2:3], s[68:69], exec
	s_and_b64 s[4:5], s[4:5], exec
	s_and_b64 s[6:7], s[6:7], exec
	s_or_b64 s[68:69], s[2:3], s[4:5]
.LBB23_528:
	s_or_b64 exec, exec, s[66:67]
	s_and_b64 s[2:3], s[6:7], exec
	s_andn2_b64 s[4:5], s[62:63], exec
	s_and_b64 s[6:7], s[68:69], exec
	s_and_b64 s[0:1], s[0:1], exec
	s_or_b64 s[62:63], s[4:5], s[6:7]
.LBB23_529:
	s_or_b64 exec, exec, s[64:65]
	s_and_b64 s[64:65], s[0:1], exec
	s_andn2_b64 s[0:1], s[58:59], exec
	s_and_b64 s[4:5], s[62:63], exec
	s_and_b64 s[2:3], s[2:3], exec
	s_or_b64 s[58:59], s[0:1], s[4:5]
	s_or_b64 exec, exec, s[60:61]
	s_mov_b64 s[0:1], 0
	s_and_saveexec_b64 s[4:5], s[58:59]
	s_cbranch_execz .LBB23_148
.LBB23_530:
	s_mov_b64 s[0:1], exec
	s_andn2_b64 s[64:65], s[64:65], exec
	s_trap 2
	s_or_b64 exec, exec, s[4:5]
	s_and_saveexec_b64 s[4:5], s[64:65]
	s_xor_b64 s[4:5], exec, s[4:5]
	s_cbranch_execnz .LBB23_149
.LBB23_531:
	s_or_b64 exec, exec, s[4:5]
	s_and_saveexec_b64 s[4:5], s[2:3]
	s_xor_b64 s[2:3], exec, s[4:5]
	s_cbranch_execz .LBB23_569
.LBB23_532:
	s_sext_i32_i16 s6, s10
	s_cmp_lt_i32 s6, 5
	s_mov_b64 s[4:5], -1
	s_cbranch_scc1 .LBB23_553
; %bb.533:
	s_cmp_lt_i32 s6, 8
	s_cbranch_scc1 .LBB23_543
; %bb.534:
	s_cmp_lt_i32 s6, 9
	s_cbranch_scc1 .LBB23_540
; %bb.535:
	s_cmp_gt_i32 s6, 9
	s_cbranch_scc0 .LBB23_537
; %bb.536:
	v_mov_b32_e32 v6, 0
	v_cvt_f64_f32_e32 v[4:5], v0
	v_mov_b32_e32 v7, v6
	s_mov_b64 s[4:5], 0
	global_store_dwordx4 v[2:3], v[4:7], off
.LBB23_537:
	s_andn2_b64 vcc, exec, s[4:5]
	s_cbranch_vccnz .LBB23_539
; %bb.538:
	v_mov_b32_e32 v1, 0
	global_store_dwordx2 v[2:3], v[0:1], off
.LBB23_539:
	s_mov_b64 s[4:5], 0
.LBB23_540:
	s_andn2_b64 vcc, exec, s[4:5]
	s_cbranch_vccnz .LBB23_542
; %bb.541:
	v_cvt_f16_f32_e32 v1, v0
	global_store_dword v[2:3], v1, off
.LBB23_542:
	s_mov_b64 s[4:5], 0
.LBB23_543:
	s_andn2_b64 vcc, exec, s[4:5]
	s_cbranch_vccnz .LBB23_552
; %bb.544:
	s_sext_i32_i16 s6, s10
	s_cmp_lt_i32 s6, 6
	s_mov_b64 s[4:5], -1
	s_cbranch_scc1 .LBB23_550
; %bb.545:
	s_cmp_gt_i32 s6, 6
	s_cbranch_scc0 .LBB23_547
; %bb.546:
	v_cvt_f64_f32_e32 v[4:5], v0
	s_mov_b64 s[4:5], 0
	global_store_dwordx2 v[2:3], v[4:5], off
.LBB23_547:
	s_andn2_b64 vcc, exec, s[4:5]
	s_cbranch_vccnz .LBB23_549
; %bb.548:
	global_store_dword v[2:3], v0, off
.LBB23_549:
	s_mov_b64 s[4:5], 0
.LBB23_550:
	s_andn2_b64 vcc, exec, s[4:5]
	s_cbranch_vccnz .LBB23_552
; %bb.551:
	v_cvt_f16_f32_e32 v1, v0
	global_store_short v[2:3], v1, off
.LBB23_552:
	s_mov_b64 s[4:5], 0
.LBB23_553:
	s_andn2_b64 vcc, exec, s[4:5]
	s_cbranch_vccnz .LBB23_569
; %bb.554:
	s_sext_i32_i16 s6, s10
	s_cmp_lt_i32 s6, 2
	s_mov_b64 s[4:5], -1
	s_cbranch_scc1 .LBB23_564
; %bb.555:
	s_cmp_lt_i32 s6, 3
	s_cbranch_scc1 .LBB23_561
; %bb.556:
	s_cmp_gt_i32 s6, 3
	s_cbranch_scc0 .LBB23_558
; %bb.557:
	v_trunc_f32_e32 v1, v0
	s_mov_b32 s4, 0x2f800000
	v_mul_f32_e64 v4, |v1|, s4
	v_floor_f32_e32 v4, v4
	s_mov_b32 s4, 0xcf800000
	v_cvt_u32_f32_e32 v5, v4
	v_fma_f32 v4, v4, s4, |v1|
	v_cvt_u32_f32_e32 v4, v4
	v_ashrrev_i32_e32 v1, 31, v1
	v_xor_b32_e32 v5, v5, v1
	s_mov_b64 s[4:5], 0
	v_xor_b32_e32 v4, v4, v1
	v_sub_co_u32_e32 v4, vcc, v4, v1
	s_nop 1
	v_subb_co_u32_e32 v5, vcc, v5, v1, vcc
	global_store_dwordx2 v[2:3], v[4:5], off
.LBB23_558:
	s_andn2_b64 vcc, exec, s[4:5]
	s_cbranch_vccnz .LBB23_560
; %bb.559:
	v_cvt_i32_f32_e32 v1, v0
	global_store_dword v[2:3], v1, off
.LBB23_560:
	s_mov_b64 s[4:5], 0
.LBB23_561:
	s_andn2_b64 vcc, exec, s[4:5]
	s_cbranch_vccnz .LBB23_563
; %bb.562:
	v_cvt_i32_f32_e32 v1, v0
	global_store_short v[2:3], v1, off
.LBB23_563:
	s_mov_b64 s[4:5], 0
.LBB23_564:
	s_andn2_b64 vcc, exec, s[4:5]
	s_cbranch_vccnz .LBB23_569
; %bb.565:
	s_sext_i32_i16 s4, s10
	s_cmp_gt_i32 s4, 0
	s_mov_b64 s[4:5], -1
	s_cbranch_scc0 .LBB23_567
; %bb.566:
	v_cvt_i32_f32_e32 v1, v0
	s_mov_b64 s[4:5], 0
	global_store_byte v[2:3], v1, off
.LBB23_567:
	s_andn2_b64 vcc, exec, s[4:5]
	s_cbranch_vccnz .LBB23_569
; %bb.568:
	v_trunc_f32_e32 v0, v0
	s_mov_b32 s4, 0x2f800000
	v_mul_f32_e64 v1, |v0|, s4
	v_floor_f32_e32 v1, v1
	s_mov_b32 s4, 0xcf800000
	v_fma_f32 v1, v1, s4, |v0|
	v_cvt_u32_f32_e32 v1, v1
	v_ashrrev_i32_e32 v0, 31, v0
	v_xor_b32_e32 v1, v1, v0
	v_sub_u32_e32 v0, v1, v0
	global_store_byte v[2:3], v0, off
.LBB23_569:
	s_or_b64 exec, exec, s[2:3]
	s_waitcnt lgkmcnt(0)
	s_and_b64 s[40:41], s[0:1], exec
                                        ; implicit-def: $vgpr4
                                        ; implicit-def: $vgpr26
.LBB23_570:
	s_or_saveexec_b64 s[42:43], s[48:49]
	s_mov_b64 s[0:1], 0
                                        ; implicit-def: $sgpr12
                                        ; implicit-def: $vgpr2_vgpr3
                                        ; implicit-def: $vgpr0
	s_xor_b64 exec, exec, s[42:43]
	s_cbranch_execz .LBB23_1059
; %bb.571:
	v_cndmask_b32_e64 v0, 0, 1, s[34:35]
	v_cmp_ne_u32_e64 s[0:1], 1, v0
	s_andn2_b64 vcc, exec, s[34:35]
	s_cbranch_vccnz .LBB23_577
; %bb.572:
	s_cmp_lg_u32 s33, 0
	s_mov_b32 s30, 0
	s_cbranch_scc0 .LBB23_578
; %bb.573:
	s_min_u32 s31, s72, 15
	s_add_i32 s31, s31, 1
	s_cmp_eq_u32 s72, 2
	s_cbranch_scc1 .LBB23_579
; %bb.574:
	s_and_b32 s30, s31, 28
	s_add_u32 s2, s26, 0xc4
	s_addc_u32 s3, s27, 0
	s_mov_b32 s34, 0
	v_mov_b32_e32 v38, 0
	v_mov_b32_e32 v2, 0
	s_mov_b64 s[28:29], s[26:27]
	v_mov_b32_e32 v0, v26
.LBB23_575:                             ; =>This Inner Loop Header: Depth=1
	s_load_dwordx8 s[12:19], s[28:29], 0x4
	s_load_dwordx4 s[20:23], s[28:29], 0x24
	s_load_dwordx8 s[4:11], s[2:3], 0x0
	s_add_u32 s28, s28, 48
	s_addc_u32 s29, s29, 0
	s_waitcnt lgkmcnt(0)
	v_mul_hi_u32 v1, s13, v0
	v_add_u32_e32 v1, v0, v1
	v_lshrrev_b32_e32 v1, s14, v1
	v_mul_lo_u32 v3, v1, s12
	v_mul_hi_u32 v5, s16, v1
	v_sub_u32_e32 v0, v0, v3
	v_add_u32_e32 v3, v1, v5
	v_lshrrev_b32_e32 v3, s17, v3
	v_mul_lo_u32 v6, v3, s15
	v_mul_hi_u32 v7, s19, v3
	v_sub_u32_e32 v1, v1, v6
	v_add_u32_e32 v6, v3, v7
	v_mul_lo_u32 v5, v0, s5
	v_mul_lo_u32 v0, v0, s4
	;; [unrolled: 1-line block ×4, first 2 shown]
	v_lshrrev_b32_e32 v6, s20, v6
	v_add3_u32 v1, v0, v38, v1
	v_add3_u32 v2, v5, v2, v7
	v_mul_lo_u32 v0, v6, s18
	v_mul_hi_u32 v5, s22, v6
	v_sub_u32_e32 v0, v3, v0
	v_add_u32_e32 v3, v6, v5
	v_mul_lo_u32 v5, v0, s8
	v_mul_lo_u32 v7, v0, s9
	v_lshrrev_b32_e32 v0, s23, v3
	s_add_i32 s34, s34, 4
	v_mul_lo_u32 v3, v0, s21
	s_add_u32 s2, s2, 32
	v_sub_u32_e32 v3, v6, v3
	s_addc_u32 s3, s3, 0
	v_mul_lo_u32 v6, v3, s10
	v_mul_lo_u32 v3, v3, s11
	s_cmp_lg_u32 s30, s34
	v_add3_u32 v2, v7, v2, v3
	v_add3_u32 v38, v5, v1, v6
	s_cbranch_scc1 .LBB23_575
; %bb.576:
	v_mov_b32_e32 v1, v2
	s_and_b32 s6, s31, 3
	s_cmp_eq_u32 s6, 0
	s_cbranch_scc0 .LBB23_580
	s_branch .LBB23_582
.LBB23_577:
                                        ; implicit-def: $vgpr2
                                        ; implicit-def: $vgpr38
	s_branch .LBB23_583
.LBB23_578:
	v_mov_b32_e32 v2, 0
	v_mov_b32_e32 v38, 0
	s_branch .LBB23_582
.LBB23_579:
	v_mov_b32_e32 v38, 0
                                        ; implicit-def: $vgpr2
	v_mov_b32_e32 v1, v38
	v_mov_b32_e32 v0, v26
	s_and_b32 s6, s31, 3
	s_cmp_eq_u32 s6, 0
	s_cbranch_scc1 .LBB23_582
.LBB23_580:
	s_lshl_b32 s2, s30, 3
	s_add_u32 s2, s26, s2
	s_addc_u32 s3, s27, 0
	s_add_u32 s2, s2, 0xc4
	s_addc_u32 s3, s3, 0
	s_mul_i32 s4, s30, 12
	s_add_u32 s4, s26, s4
	s_addc_u32 s5, s27, 0
.LBB23_581:                             ; =>This Inner Loop Header: Depth=1
	s_load_dwordx2 s[8:9], s[4:5], 0x4
	s_load_dword s7, s[4:5], 0xc
	s_load_dwordx2 s[10:11], s[2:3], 0x0
	v_mov_b32_e32 v2, v1
	s_add_u32 s4, s4, 12
	s_waitcnt lgkmcnt(0)
	v_mul_hi_u32 v1, s9, v0
	v_add_u32_e32 v1, v0, v1
	v_lshrrev_b32_e32 v1, s7, v1
	s_addc_u32 s5, s5, 0
	v_mul_lo_u32 v3, v1, s8
	s_add_u32 s2, s2, 8
	v_sub_u32_e32 v5, v0, v3
	s_addc_u32 s3, s3, 0
	s_add_i32 s6, s6, -1
	v_mad_u64_u32 v[2:3], s[8:9], v5, s11, v[2:3]
	s_cmp_lg_u32 s6, 0
	v_mov_b32_e32 v0, v1
	v_mad_u64_u32 v[38:39], s[8:9], v5, s10, v[38:39]
	v_mov_b32_e32 v1, v2
	s_cbranch_scc1 .LBB23_581
.LBB23_582:
	s_cbranch_execnz .LBB23_585
.LBB23_583:
	s_load_dwordx4 s[4:7], s[26:27], 0x4
	s_load_dwordx2 s[2:3], s[26:27], 0xc4
	s_cmp_lt_u32 s33, 2
	s_waitcnt lgkmcnt(0)
	v_mul_hi_u32 v0, s5, v26
	v_add_u32_e32 v0, v26, v0
	v_lshrrev_b32_e32 v0, s6, v0
	v_mul_lo_u32 v1, v0, s4
	v_sub_u32_e32 v1, v26, v1
	v_mul_lo_u32 v2, v1, s3
	v_mul_lo_u32 v38, v1, s2
	s_cbranch_scc1 .LBB23_585
; %bb.584:
	s_load_dwordx4 s[4:7], s[26:27], 0x10
	s_load_dwordx2 s[2:3], s[26:27], 0xcc
	s_waitcnt lgkmcnt(0)
	v_mul_hi_u32 v1, s5, v0
	v_add_u32_e32 v1, v0, v1
	v_lshrrev_b32_e32 v1, s6, v1
	v_mul_lo_u32 v1, v1, s4
	v_sub_u32_e32 v0, v0, v1
	v_mad_u64_u32 v[38:39], s[4:5], v0, s2, v[38:39]
	v_mad_u64_u32 v[2:3], s[2:3], v0, s3, v[2:3]
.LBB23_585:
	s_and_b64 vcc, exec, s[0:1]
	v_add_u32_e32 v0, 0x80, v26
	s_cbranch_vccnz .LBB23_591
; %bb.586:
	s_cmp_lg_u32 s33, 0
	s_mov_b32 s30, 0
	s_cbranch_scc0 .LBB23_592
; %bb.587:
	s_min_u32 s31, s72, 15
	s_add_i32 s31, s31, 1
	s_cmp_eq_u32 s72, 2
	s_cbranch_scc1 .LBB23_593
; %bb.588:
	s_and_b32 s30, s31, 28
	s_add_u32 s2, s26, 0xc4
	s_addc_u32 s3, s27, 0
	s_mov_b32 s34, 0
	v_mov_b32_e32 v36, 0
	v_mov_b32_e32 v22, 0
	s_mov_b64 s[28:29], s[26:27]
	v_mov_b32_e32 v3, v0
.LBB23_589:                             ; =>This Inner Loop Header: Depth=1
	s_load_dwordx8 s[12:19], s[28:29], 0x4
	s_load_dwordx4 s[20:23], s[28:29], 0x24
	s_load_dwordx8 s[4:11], s[2:3], 0x0
	s_add_u32 s28, s28, 48
	s_addc_u32 s29, s29, 0
	s_waitcnt lgkmcnt(0)
	v_mul_hi_u32 v1, s13, v3
	v_add_u32_e32 v1, v3, v1
	v_lshrrev_b32_e32 v1, s14, v1
	v_mul_lo_u32 v5, v1, s12
	v_mul_hi_u32 v6, s16, v1
	v_sub_u32_e32 v3, v3, v5
	v_add_u32_e32 v5, v1, v6
	v_lshrrev_b32_e32 v5, s17, v5
	v_mul_lo_u32 v7, v5, s15
	v_mul_hi_u32 v8, s19, v5
	v_sub_u32_e32 v1, v1, v7
	v_add_u32_e32 v7, v5, v8
	v_mul_lo_u32 v6, v3, s5
	v_mul_lo_u32 v3, v3, s4
	v_mul_lo_u32 v8, v1, s7
	v_mul_lo_u32 v1, v1, s6
	v_lshrrev_b32_e32 v7, s20, v7
	v_add3_u32 v1, v3, v36, v1
	v_add3_u32 v6, v6, v22, v8
	v_mul_lo_u32 v3, v7, s18
	v_mul_hi_u32 v8, s22, v7
	v_sub_u32_e32 v3, v5, v3
	v_add_u32_e32 v5, v7, v8
	v_mul_lo_u32 v8, v3, s8
	v_mul_lo_u32 v9, v3, s9
	v_lshrrev_b32_e32 v3, s23, v5
	s_add_i32 s34, s34, 4
	v_mul_lo_u32 v5, v3, s21
	s_add_u32 s2, s2, 32
	v_sub_u32_e32 v5, v7, v5
	s_addc_u32 s3, s3, 0
	v_mul_lo_u32 v7, v5, s10
	v_mul_lo_u32 v5, v5, s11
	s_cmp_lg_u32 s30, s34
	v_add3_u32 v22, v9, v6, v5
	v_add3_u32 v36, v8, v1, v7
	s_cbranch_scc1 .LBB23_589
; %bb.590:
	v_mov_b32_e32 v1, v22
	s_and_b32 s6, s31, 3
	s_cmp_eq_u32 s6, 0
	s_cbranch_scc0 .LBB23_594
	s_branch .LBB23_596
.LBB23_591:
                                        ; implicit-def: $vgpr22
                                        ; implicit-def: $vgpr36
	s_branch .LBB23_597
.LBB23_592:
	v_mov_b32_e32 v22, 0
	v_mov_b32_e32 v36, 0
	s_branch .LBB23_596
.LBB23_593:
	v_mov_b32_e32 v36, 0
                                        ; implicit-def: $vgpr22
	v_mov_b32_e32 v1, v36
	v_mov_b32_e32 v3, v0
	s_and_b32 s6, s31, 3
	s_cmp_eq_u32 s6, 0
	s_cbranch_scc1 .LBB23_596
.LBB23_594:
	s_lshl_b32 s2, s30, 3
	s_add_u32 s2, s26, s2
	s_addc_u32 s3, s27, 0
	s_add_u32 s2, s2, 0xc4
	s_addc_u32 s3, s3, 0
	s_mul_i32 s4, s30, 12
	s_add_u32 s4, s26, s4
	s_addc_u32 s5, s27, 0
.LBB23_595:                             ; =>This Inner Loop Header: Depth=1
	s_load_dwordx2 s[8:9], s[4:5], 0x4
	s_load_dword s7, s[4:5], 0xc
	s_load_dwordx2 s[10:11], s[2:3], 0x0
	v_mov_b32_e32 v6, v1
	s_add_u32 s4, s4, 12
	s_waitcnt lgkmcnt(0)
	v_mul_hi_u32 v1, s9, v3
	v_add_u32_e32 v1, v3, v1
	v_lshrrev_b32_e32 v1, s7, v1
	s_addc_u32 s5, s5, 0
	v_mul_lo_u32 v5, v1, s8
	s_add_u32 s2, s2, 8
	v_sub_u32_e32 v5, v3, v5
	s_addc_u32 s3, s3, 0
	s_add_i32 s6, s6, -1
	v_mad_u64_u32 v[22:23], s[8:9], v5, s11, v[6:7]
	s_cmp_lg_u32 s6, 0
	v_mov_b32_e32 v3, v1
	v_mad_u64_u32 v[36:37], s[8:9], v5, s10, v[36:37]
	v_mov_b32_e32 v1, v22
	s_cbranch_scc1 .LBB23_595
.LBB23_596:
	s_cbranch_execnz .LBB23_599
.LBB23_597:
	s_load_dwordx4 s[4:7], s[26:27], 0x4
	s_load_dwordx2 s[2:3], s[26:27], 0xc4
	s_cmp_lt_u32 s33, 2
	s_waitcnt lgkmcnt(0)
	v_mul_hi_u32 v1, s5, v0
	v_add_u32_e32 v1, v0, v1
	v_lshrrev_b32_e32 v1, s6, v1
	v_mul_lo_u32 v3, v1, s4
	v_sub_u32_e32 v0, v0, v3
	v_mul_lo_u32 v22, v0, s3
	v_mul_lo_u32 v36, v0, s2
	s_cbranch_scc1 .LBB23_599
; %bb.598:
	s_load_dwordx4 s[4:7], s[26:27], 0x10
	s_load_dwordx2 s[2:3], s[26:27], 0xcc
	s_waitcnt lgkmcnt(0)
	v_mul_hi_u32 v0, s5, v1
	v_add_u32_e32 v0, v1, v0
	v_lshrrev_b32_e32 v0, s6, v0
	v_mul_lo_u32 v0, v0, s4
	v_sub_u32_e32 v0, v1, v0
	v_mad_u64_u32 v[36:37], s[4:5], v0, s2, v[36:37]
	v_mad_u64_u32 v[22:23], s[2:3], v0, s3, v[22:23]
.LBB23_599:
	s_and_b64 vcc, exec, s[0:1]
	v_add_u32_e32 v0, 0x100, v26
	s_cbranch_vccnz .LBB23_605
; %bb.600:
	s_cmp_lg_u32 s33, 0
	s_mov_b32 s30, 0
	s_cbranch_scc0 .LBB23_606
; %bb.601:
	s_min_u32 s31, s72, 15
	s_add_i32 s31, s31, 1
	s_cmp_eq_u32 s72, 2
	s_cbranch_scc1 .LBB23_607
; %bb.602:
	s_and_b32 s30, s31, 28
	s_add_u32 s2, s26, 0xc4
	s_addc_u32 s3, s27, 0
	s_mov_b32 s34, 0
	v_mov_b32_e32 v34, 0
	v_mov_b32_e32 v28, 0
	s_mov_b64 s[28:29], s[26:27]
	v_mov_b32_e32 v3, v0
.LBB23_603:                             ; =>This Inner Loop Header: Depth=1
	s_load_dwordx8 s[12:19], s[28:29], 0x4
	s_load_dwordx4 s[20:23], s[28:29], 0x24
	s_load_dwordx8 s[4:11], s[2:3], 0x0
	s_add_u32 s28, s28, 48
	s_addc_u32 s29, s29, 0
	s_waitcnt lgkmcnt(0)
	v_mul_hi_u32 v1, s13, v3
	v_add_u32_e32 v1, v3, v1
	v_lshrrev_b32_e32 v1, s14, v1
	v_mul_lo_u32 v5, v1, s12
	v_mul_hi_u32 v6, s16, v1
	v_sub_u32_e32 v3, v3, v5
	v_add_u32_e32 v5, v1, v6
	v_lshrrev_b32_e32 v5, s17, v5
	v_mul_lo_u32 v7, v5, s15
	v_mul_hi_u32 v8, s19, v5
	v_sub_u32_e32 v1, v1, v7
	v_add_u32_e32 v7, v5, v8
	v_mul_lo_u32 v6, v3, s5
	v_mul_lo_u32 v3, v3, s4
	;; [unrolled: 1-line block ×4, first 2 shown]
	v_lshrrev_b32_e32 v7, s20, v7
	v_add3_u32 v1, v3, v34, v1
	v_add3_u32 v6, v6, v28, v8
	v_mul_lo_u32 v3, v7, s18
	v_mul_hi_u32 v8, s22, v7
	v_sub_u32_e32 v3, v5, v3
	v_add_u32_e32 v5, v7, v8
	v_mul_lo_u32 v8, v3, s8
	v_mul_lo_u32 v9, v3, s9
	v_lshrrev_b32_e32 v3, s23, v5
	s_add_i32 s34, s34, 4
	v_mul_lo_u32 v5, v3, s21
	s_add_u32 s2, s2, 32
	v_sub_u32_e32 v5, v7, v5
	s_addc_u32 s3, s3, 0
	v_mul_lo_u32 v7, v5, s10
	v_mul_lo_u32 v5, v5, s11
	s_cmp_lg_u32 s30, s34
	v_add3_u32 v28, v9, v6, v5
	v_add3_u32 v34, v8, v1, v7
	s_cbranch_scc1 .LBB23_603
; %bb.604:
	v_mov_b32_e32 v1, v28
	s_and_b32 s6, s31, 3
	s_cmp_eq_u32 s6, 0
	s_cbranch_scc0 .LBB23_608
	s_branch .LBB23_610
.LBB23_605:
                                        ; implicit-def: $vgpr28
                                        ; implicit-def: $vgpr34
	s_branch .LBB23_611
.LBB23_606:
	v_mov_b32_e32 v28, 0
	v_mov_b32_e32 v34, 0
	s_branch .LBB23_610
.LBB23_607:
	v_mov_b32_e32 v34, 0
                                        ; implicit-def: $vgpr28
	v_mov_b32_e32 v1, v34
	v_mov_b32_e32 v3, v0
	s_and_b32 s6, s31, 3
	s_cmp_eq_u32 s6, 0
	s_cbranch_scc1 .LBB23_610
.LBB23_608:
	s_lshl_b32 s2, s30, 3
	s_add_u32 s2, s26, s2
	s_addc_u32 s3, s27, 0
	s_add_u32 s2, s2, 0xc4
	s_addc_u32 s3, s3, 0
	s_mul_i32 s4, s30, 12
	s_add_u32 s4, s26, s4
	s_addc_u32 s5, s27, 0
.LBB23_609:                             ; =>This Inner Loop Header: Depth=1
	s_load_dwordx2 s[8:9], s[4:5], 0x4
	s_load_dword s7, s[4:5], 0xc
	s_load_dwordx2 s[10:11], s[2:3], 0x0
	v_mov_b32_e32 v6, v1
	s_add_u32 s4, s4, 12
	s_waitcnt lgkmcnt(0)
	v_mul_hi_u32 v1, s9, v3
	v_add_u32_e32 v1, v3, v1
	v_lshrrev_b32_e32 v1, s7, v1
	s_addc_u32 s5, s5, 0
	v_mul_lo_u32 v5, v1, s8
	s_add_u32 s2, s2, 8
	v_sub_u32_e32 v5, v3, v5
	s_addc_u32 s3, s3, 0
	s_add_i32 s6, s6, -1
	v_mad_u64_u32 v[28:29], s[8:9], v5, s11, v[6:7]
	s_cmp_lg_u32 s6, 0
	v_mov_b32_e32 v3, v1
	v_mad_u64_u32 v[34:35], s[8:9], v5, s10, v[34:35]
	v_mov_b32_e32 v1, v28
	s_cbranch_scc1 .LBB23_609
.LBB23_610:
	s_cbranch_execnz .LBB23_613
.LBB23_611:
	s_load_dwordx4 s[4:7], s[26:27], 0x4
	s_load_dwordx2 s[2:3], s[26:27], 0xc4
	s_cmp_lt_u32 s33, 2
	s_waitcnt lgkmcnt(0)
	v_mul_hi_u32 v1, s5, v0
	v_add_u32_e32 v1, v0, v1
	v_lshrrev_b32_e32 v1, s6, v1
	v_mul_lo_u32 v3, v1, s4
	v_sub_u32_e32 v0, v0, v3
	v_mul_lo_u32 v28, v0, s3
	v_mul_lo_u32 v34, v0, s2
	s_cbranch_scc1 .LBB23_613
; %bb.612:
	s_load_dwordx4 s[4:7], s[26:27], 0x10
	s_load_dwordx2 s[2:3], s[26:27], 0xcc
	s_waitcnt lgkmcnt(0)
	v_mul_hi_u32 v0, s5, v1
	v_add_u32_e32 v0, v1, v0
	v_lshrrev_b32_e32 v0, s6, v0
	v_mul_lo_u32 v0, v0, s4
	v_sub_u32_e32 v0, v1, v0
	v_mad_u64_u32 v[34:35], s[4:5], v0, s2, v[34:35]
	v_mad_u64_u32 v[28:29], s[2:3], v0, s3, v[28:29]
.LBB23_613:
	s_and_b64 vcc, exec, s[0:1]
	s_cbranch_vccnz .LBB23_619
; %bb.614:
	s_cmp_lg_u32 s33, 0
	s_mov_b32 s28, 0
	s_cbranch_scc0 .LBB23_620
; %bb.615:
	s_min_u32 s29, s72, 15
	s_add_i32 s29, s29, 1
	s_cmp_eq_u32 s72, 2
	s_cbranch_scc1 .LBB23_621
; %bb.616:
	s_and_b32 s28, s29, 28
	s_add_u32 s20, s26, 0xc4
	s_addc_u32 s21, s27, 0
	s_mov_b32 s30, 0
	v_mov_b32_e32 v32, 0
	v_mov_b32_e32 v30, 0
	s_mov_b64 s[22:23], s[26:27]
	v_mov_b32_e32 v0, v4
.LBB23_617:                             ; =>This Inner Loop Header: Depth=1
	s_load_dwordx8 s[8:15], s[22:23], 0x4
	s_load_dwordx4 s[16:19], s[22:23], 0x24
	s_load_dwordx8 s[0:7], s[20:21], 0x0
	s_add_u32 s22, s22, 48
	s_addc_u32 s23, s23, 0
	s_waitcnt lgkmcnt(0)
	v_mul_hi_u32 v1, s9, v0
	v_add_u32_e32 v1, v0, v1
	v_lshrrev_b32_e32 v1, s10, v1
	v_mul_lo_u32 v3, v1, s8
	v_mul_hi_u32 v5, s12, v1
	v_sub_u32_e32 v0, v0, v3
	v_add_u32_e32 v3, v1, v5
	v_lshrrev_b32_e32 v3, s13, v3
	v_mul_lo_u32 v6, v3, s11
	v_mul_hi_u32 v7, s15, v3
	v_sub_u32_e32 v1, v1, v6
	v_add_u32_e32 v6, v3, v7
	v_mul_lo_u32 v5, v0, s1
	v_mul_lo_u32 v0, v0, s0
	;; [unrolled: 1-line block ×4, first 2 shown]
	v_lshrrev_b32_e32 v6, s16, v6
	v_add3_u32 v1, v0, v32, v1
	v_add3_u32 v5, v5, v30, v7
	v_mul_lo_u32 v0, v6, s14
	v_mul_hi_u32 v7, s18, v6
	v_sub_u32_e32 v0, v3, v0
	v_add_u32_e32 v3, v6, v7
	v_mul_lo_u32 v7, v0, s4
	v_mul_lo_u32 v8, v0, s5
	v_lshrrev_b32_e32 v0, s19, v3
	s_add_i32 s30, s30, 4
	v_mul_lo_u32 v3, v0, s17
	s_add_u32 s20, s20, 32
	v_sub_u32_e32 v3, v6, v3
	s_addc_u32 s21, s21, 0
	v_mul_lo_u32 v6, v3, s6
	v_mul_lo_u32 v3, v3, s7
	s_cmp_lg_u32 s28, s30
	v_add3_u32 v30, v8, v5, v3
	v_add3_u32 v32, v7, v1, v6
	s_cbranch_scc1 .LBB23_617
; %bb.618:
	v_mov_b32_e32 v1, v30
	s_and_b32 s4, s29, 3
	s_cmp_eq_u32 s4, 0
	s_cbranch_scc0 .LBB23_622
	s_branch .LBB23_624
.LBB23_619:
                                        ; implicit-def: $vgpr30
                                        ; implicit-def: $vgpr32
	s_branch .LBB23_625
.LBB23_620:
	v_mov_b32_e32 v30, 0
	v_mov_b32_e32 v32, 0
	s_branch .LBB23_624
.LBB23_621:
	v_mov_b32_e32 v32, 0
                                        ; implicit-def: $vgpr30
	v_mov_b32_e32 v1, v32
	v_mov_b32_e32 v0, v4
	s_and_b32 s4, s29, 3
	s_cmp_eq_u32 s4, 0
	s_cbranch_scc1 .LBB23_624
.LBB23_622:
	s_lshl_b32 s0, s28, 3
	s_add_u32 s0, s26, s0
	s_addc_u32 s1, s27, 0
	s_add_u32 s0, s0, 0xc4
	s_addc_u32 s1, s1, 0
	s_mul_i32 s2, s28, 12
	s_add_u32 s2, s26, s2
	s_addc_u32 s3, s27, 0
.LBB23_623:                             ; =>This Inner Loop Header: Depth=1
	s_load_dwordx2 s[6:7], s[2:3], 0x4
	s_load_dword s5, s[2:3], 0xc
	s_load_dwordx2 s[8:9], s[0:1], 0x0
	v_mov_b32_e32 v6, v1
	s_add_u32 s2, s2, 12
	s_waitcnt lgkmcnt(0)
	v_mul_hi_u32 v1, s7, v0
	v_add_u32_e32 v1, v0, v1
	v_lshrrev_b32_e32 v1, s5, v1
	s_addc_u32 s3, s3, 0
	v_mul_lo_u32 v3, v1, s6
	s_add_u32 s0, s0, 8
	v_sub_u32_e32 v3, v0, v3
	s_addc_u32 s1, s1, 0
	s_add_i32 s4, s4, -1
	v_mad_u64_u32 v[30:31], s[6:7], v3, s9, v[6:7]
	s_cmp_lg_u32 s4, 0
	v_mov_b32_e32 v0, v1
	v_mad_u64_u32 v[32:33], s[6:7], v3, s8, v[32:33]
	v_mov_b32_e32 v1, v30
	s_cbranch_scc1 .LBB23_623
.LBB23_624:
	s_cbranch_execnz .LBB23_627
.LBB23_625:
	s_load_dwordx4 s[0:3], s[26:27], 0x4
	s_load_dwordx2 s[4:5], s[26:27], 0xc4
	s_cmp_lt_u32 s33, 2
	s_waitcnt lgkmcnt(0)
	v_mul_hi_u32 v0, s1, v4
	v_add_u32_e32 v0, v4, v0
	v_lshrrev_b32_e32 v0, s2, v0
	v_mul_lo_u32 v1, v0, s0
	v_sub_u32_e32 v1, v4, v1
	v_mul_lo_u32 v30, v1, s5
	v_mul_lo_u32 v32, v1, s4
	s_cbranch_scc1 .LBB23_627
; %bb.626:
	s_load_dwordx4 s[0:3], s[26:27], 0x10
	s_load_dwordx2 s[4:5], s[26:27], 0xcc
	s_waitcnt lgkmcnt(0)
	v_mul_hi_u32 v1, s1, v0
	v_add_u32_e32 v1, v0, v1
	v_lshrrev_b32_e32 v1, s2, v1
	v_mul_lo_u32 v1, v1, s0
	v_sub_u32_e32 v0, v0, v1
	v_mad_u64_u32 v[32:33], s[0:1], v0, s4, v[32:33]
	v_mad_u64_u32 v[30:31], s[0:1], v0, s5, v[30:31]
.LBB23_627:
	s_load_dword s28, s[24:25], 0x160
	s_load_dwordx4 s[36:39], s[26:27], 0x148
	s_getpc_b64 s[24:25]
	s_add_u32 s24, s24, _ZN2at6native6invokeIZZZNS0_12_GLOBAL__N_119airy_ai_kernel_cudaERNS_18TensorIteratorBaseEENKUlvE_clEvENKUlvE0_clEvEUlfE_j15function_traitsIS7_EEENT1_11result_typeERKT_PrKPcPKT0_PKN3c1010ScalarTypeEi@rel32@lo+4
	s_addc_u32 s25, s25, _ZN2at6native6invokeIZZZNS0_12_GLOBAL__N_119airy_ai_kernel_cudaERNS_18TensorIteratorBaseEENKUlvE_clEvENKUlvE0_clEvEUlfE_j15function_traitsIS7_EEENT1_11result_typeERKT_PrKPcPKT0_PKN3c1010ScalarTypeEi@rel32@hi+12
	s_waitcnt lgkmcnt(0)
	s_lshr_b32 s26, s28, 16
	v_mov_b32_e32 v0, s38
	v_mov_b32_e32 v1, s39
	v_mov_b32_e32 v3, s26
	s_swappc_b64 s[30:31], s[24:25]
	v_mov_b32_e32 v26, v0
	v_mov_b32_e32 v0, s38
	v_mov_b32_e32 v1, s39
	v_mov_b32_e32 v2, v22
	v_mov_b32_e32 v3, s26
	s_swappc_b64 s[30:31], s[24:25]
	v_mov_b32_e32 v24, v0
	v_mov_b32_e32 v0, s38
	;; [unrolled: 6-line block ×3, first 2 shown]
	v_mov_b32_e32 v1, s39
	v_mov_b32_e32 v2, v30
	;; [unrolled: 1-line block ×3, first 2 shown]
	s_swappc_b64 s[30:31], s[24:25]
	v_mov_b32_e32 v39, 0
	s_bfe_u32 s10, s28, 0x80008
	s_cmp_lt_i32 s10, 11
	v_lshl_add_u64 v[2:3], s[36:37], 0, v[38:39]
	s_cbranch_scc1 .LBB23_706
; %bb.628:
	s_and_b32 s11, 0xffff, s10
	s_mov_b64 s[2:3], -1
	s_mov_b64 s[4:5], 0
	s_cmp_gt_i32 s11, 25
	s_mov_b64 s[6:7], 0
	s_mov_b64 s[0:1], 0
	s_cbranch_scc0 .LBB23_661
; %bb.629:
	s_cmp_gt_i32 s11, 28
	s_cbranch_scc0 .LBB23_644
; %bb.630:
	s_cmp_gt_i32 s11, 43
	s_cbranch_scc0 .LBB23_640
; %bb.631:
	s_cmp_gt_i32 s11, 45
	s_cbranch_scc0 .LBB23_634
; %bb.632:
	s_mov_b64 s[0:1], -1
	s_mov_b64 s[2:3], 0
	s_cmp_eq_u32 s11, 46
	s_cbranch_scc0 .LBB23_634
; %bb.633:
	v_bfe_u32 v1, v26, 16, 1
	s_movk_i32 s0, 0x7fff
	v_add3_u32 v1, v26, v1, s0
	v_cmp_o_f32_e32 vcc, v26, v26
	v_mov_b32_e32 v4, 0x7fc0
	s_mov_b64 s[0:1], 0
	v_cndmask_b32_sdwa v1, v4, v1, vcc dst_sel:DWORD dst_unused:UNUSED_PAD src0_sel:DWORD src1_sel:WORD_1
	global_store_dword v[2:3], v1, off
	s_mov_b64 s[6:7], -1
.LBB23_634:
	s_and_b64 vcc, exec, s[2:3]
	s_cbranch_vccz .LBB23_639
; %bb.635:
	s_cmp_eq_u32 s11, 44
	s_mov_b64 s[0:1], -1
	s_cbranch_scc0 .LBB23_639
; %bb.636:
	v_bfe_u32 v1, v26, 23, 8
	s_movk_i32 s0, 0xff
	v_cmp_ne_u32_e32 vcc, s0, v1
	v_mov_b32_e32 v4, 0xff
	s_and_saveexec_b64 s[2:3], vcc
; %bb.637:
	s_mov_b32 s0, 0x3fffff
	v_and_b32_e32 v5, 0x400000, v26
	v_and_or_b32 v1, v26, s0, v1
	v_cmp_ne_u32_e32 vcc, 0, v5
	v_cmp_ne_u32_e64 s[0:1], 0, v1
	s_and_b64 s[0:1], vcc, s[0:1]
	v_lshrrev_b32_e32 v4, 23, v26
	v_cndmask_b32_e64 v1, 0, 1, s[0:1]
	v_add_u32_e32 v4, v4, v1
; %bb.638:
	s_or_b64 exec, exec, s[2:3]
	s_mov_b64 s[0:1], 0
	s_mov_b64 s[6:7], -1
	global_store_byte v[2:3], v4, off
.LBB23_639:
	s_mov_b64 s[2:3], 0
.LBB23_640:
	s_and_b64 vcc, exec, s[2:3]
	s_cbranch_vccz .LBB23_643
; %bb.641:
	s_cmp_eq_u32 s11, 29
	s_mov_b64 s[0:1], -1
	s_cbranch_scc0 .LBB23_643
; %bb.642:
	v_trunc_f32_e32 v1, v26
	v_mul_f32_e32 v4, 0x2f800000, v1
	v_floor_f32_e32 v4, v4
	v_fmamk_f32 v1, v4, 0xcf800000, v1
	v_cvt_u32_f32_e32 v5, v4
	v_cvt_u32_f32_e32 v4, v1
	s_mov_b64 s[0:1], 0
	s_mov_b64 s[6:7], -1
	global_store_dwordx2 v[2:3], v[4:5], off
.LBB23_643:
	s_mov_b64 s[2:3], 0
.LBB23_644:
	s_and_b64 vcc, exec, s[2:3]
	s_cbranch_vccz .LBB23_660
; %bb.645:
	s_cmp_lt_i32 s11, 27
	s_mov_b64 s[2:3], -1
	s_cbranch_scc1 .LBB23_651
; %bb.646:
	s_cmp_gt_i32 s11, 27
	s_cbranch_scc0 .LBB23_648
; %bb.647:
	v_cvt_u32_f32_e32 v1, v26
	s_mov_b64 s[2:3], 0
	global_store_dword v[2:3], v1, off
.LBB23_648:
	s_andn2_b64 vcc, exec, s[2:3]
	s_cbranch_vccnz .LBB23_650
; %bb.649:
	v_cvt_u32_f32_e32 v1, v26
	global_store_short v[2:3], v1, off
.LBB23_650:
	s_mov_b64 s[2:3], 0
.LBB23_651:
	s_andn2_b64 vcc, exec, s[2:3]
	s_cbranch_vccnz .LBB23_659
; %bb.652:
	v_and_b32_e32 v1, 0x7fffffff, v26
	s_mov_b32 s2, 0x43800000
	v_cmp_gt_u32_e32 vcc, s2, v1
	v_mov_b32_e32 v4, 0x80
	s_and_saveexec_b64 s[2:3], vcc
	s_cbranch_execz .LBB23_658
; %bb.653:
	s_mov_b32 s6, 0x3bffffff
	v_cmp_lt_u32_e32 vcc, s6, v1
	s_mov_b64 s[6:7], 0
                                        ; implicit-def: $vgpr1
	s_and_saveexec_b64 s[8:9], vcc
	s_xor_b64 s[8:9], exec, s[8:9]
	s_cbranch_execz .LBB23_1103
; %bb.654:
	v_bfe_u32 v1, v26, 20, 1
	s_mov_b32 s12, 0x487ffff
	v_add3_u32 v1, v26, v1, s12
	s_mov_b64 s[6:7], exec
	v_lshrrev_b32_e32 v1, 20, v1
	s_andn2_saveexec_b64 s[8:9], s[8:9]
	s_cbranch_execnz .LBB23_1104
.LBB23_655:
	s_or_b64 exec, exec, s[8:9]
	v_mov_b32_e32 v4, 0
	s_and_saveexec_b64 s[8:9], s[6:7]
.LBB23_656:
	v_lshrrev_b32_e32 v4, 24, v26
	s_movk_i32 s6, 0x80
	v_and_or_b32 v4, v4, s6, v1
.LBB23_657:
	s_or_b64 exec, exec, s[8:9]
.LBB23_658:
	s_or_b64 exec, exec, s[2:3]
	global_store_byte v[2:3], v4, off
.LBB23_659:
	s_mov_b64 s[6:7], -1
.LBB23_660:
	s_mov_b64 s[2:3], 0
.LBB23_661:
	s_and_b64 vcc, exec, s[2:3]
	s_cbranch_vccz .LBB23_701
; %bb.662:
	s_cmp_gt_i32 s11, 22
	s_mov_b64 s[2:3], -1
	s_cbranch_scc0 .LBB23_694
; %bb.663:
	s_cmp_lt_i32 s11, 24
	s_cbranch_scc1 .LBB23_683
; %bb.664:
	s_cmp_gt_i32 s11, 24
	s_cbranch_scc0 .LBB23_672
; %bb.665:
	v_and_b32_e32 v1, 0x7fffffff, v26
	s_mov_b32 s2, 0x47800000
	v_cmp_gt_u32_e32 vcc, s2, v1
	v_mov_b32_e32 v4, 0x80
	s_and_saveexec_b64 s[2:3], vcc
	s_cbranch_execz .LBB23_671
; %bb.666:
	s_mov_b32 s4, 0x37ffffff
	v_cmp_lt_u32_e32 vcc, s4, v1
	s_mov_b64 s[4:5], 0
                                        ; implicit-def: $vgpr1
	s_and_saveexec_b64 s[6:7], vcc
	s_xor_b64 s[6:7], exec, s[6:7]
	s_cbranch_execz .LBB23_1106
; %bb.667:
	v_bfe_u32 v1, v26, 21, 1
	s_mov_b32 s8, 0x88fffff
	v_add3_u32 v1, v26, v1, s8
	s_mov_b64 s[4:5], exec
	v_lshrrev_b32_e32 v1, 21, v1
	s_andn2_saveexec_b64 s[6:7], s[6:7]
	s_cbranch_execnz .LBB23_1107
.LBB23_668:
	s_or_b64 exec, exec, s[6:7]
	v_mov_b32_e32 v4, 0
	s_and_saveexec_b64 s[6:7], s[4:5]
.LBB23_669:
	v_lshrrev_b32_e32 v4, 24, v26
	s_movk_i32 s4, 0x80
	v_and_or_b32 v4, v4, s4, v1
.LBB23_670:
	s_or_b64 exec, exec, s[6:7]
.LBB23_671:
	s_or_b64 exec, exec, s[2:3]
	s_mov_b64 s[2:3], 0
	global_store_byte v[2:3], v4, off
.LBB23_672:
	s_and_b64 vcc, exec, s[2:3]
	s_cbranch_vccz .LBB23_682
; %bb.673:
	v_and_b32_e32 v4, 0x7fffffff, v26
	s_mov_b32 s2, 0x43f00000
	v_cmp_gt_u32_e32 vcc, s2, v4
                                        ; implicit-def: $vgpr1
	s_and_saveexec_b64 s[2:3], vcc
	s_xor_b64 s[2:3], exec, s[2:3]
	s_cbranch_execz .LBB23_679
; %bb.674:
	s_mov_b32 s4, 0x3c7fffff
	v_cmp_lt_u32_e32 vcc, s4, v4
                                        ; implicit-def: $vgpr1
	s_and_saveexec_b64 s[4:5], vcc
	s_xor_b64 s[4:5], exec, s[4:5]
; %bb.675:
	v_bfe_u32 v1, v26, 20, 1
	s_mov_b32 s6, 0x407ffff
	v_add3_u32 v1, v26, v1, s6
	v_lshrrev_b32_e32 v4, 20, v1
	v_and_b32_e32 v1, 0xff00000, v1
	s_mov_b32 s6, 0x7f00000
	v_mov_b32_e32 v5, 0x7e
	v_cmp_ne_u32_e32 vcc, s6, v1
	s_nop 1
	v_cndmask_b32_e32 v1, v5, v4, vcc
; %bb.676:
	s_andn2_saveexec_b64 s[4:5], s[4:5]
; %bb.677:
	s_mov_b32 s6, 0x46800000
	v_add_f32_e64 v1, |v26|, s6
; %bb.678:
	s_or_b64 exec, exec, s[4:5]
                                        ; implicit-def: $vgpr4
.LBB23_679:
	s_andn2_saveexec_b64 s[2:3], s[2:3]
; %bb.680:
	s_mov_b32 s4, 0x7f800000
	v_mov_b32_e32 v1, 0x7e
	v_mov_b32_e32 v5, 0x7f
	v_cmp_lt_u32_e32 vcc, s4, v4
	s_nop 1
	v_cndmask_b32_e32 v1, v1, v5, vcc
; %bb.681:
	s_or_b64 exec, exec, s[2:3]
	v_lshrrev_b32_e32 v4, 24, v26
	s_movk_i32 s2, 0x80
	v_and_or_b32 v1, v4, s2, v1
	global_store_byte v[2:3], v1, off
.LBB23_682:
	s_mov_b64 s[2:3], 0
.LBB23_683:
	s_andn2_b64 vcc, exec, s[2:3]
	s_cbranch_vccnz .LBB23_693
; %bb.684:
	v_and_b32_e32 v4, 0x7fffffff, v26
	s_mov_b32 s2, 0x47800000
	v_cmp_gt_u32_e32 vcc, s2, v4
                                        ; implicit-def: $vgpr1
	s_and_saveexec_b64 s[2:3], vcc
	s_xor_b64 s[2:3], exec, s[2:3]
	s_cbranch_execz .LBB23_690
; %bb.685:
	s_mov_b32 s4, 0x387fffff
	v_cmp_lt_u32_e32 vcc, s4, v4
                                        ; implicit-def: $vgpr1
	s_and_saveexec_b64 s[4:5], vcc
	s_xor_b64 s[4:5], exec, s[4:5]
; %bb.686:
	v_bfe_u32 v1, v26, 21, 1
	s_mov_b32 s6, 0x80fffff
	v_add3_u32 v1, v26, v1, s6
	v_lshrrev_b32_e32 v1, 21, v1
; %bb.687:
	s_andn2_saveexec_b64 s[4:5], s[4:5]
; %bb.688:
	s_mov_b32 s6, 0x43000000
	v_add_f32_e64 v1, |v26|, s6
; %bb.689:
	s_or_b64 exec, exec, s[4:5]
                                        ; implicit-def: $vgpr4
.LBB23_690:
	s_andn2_saveexec_b64 s[2:3], s[2:3]
; %bb.691:
	s_mov_b32 s4, 0x7f800000
	v_mov_b32_e32 v1, 0x7c
	v_mov_b32_e32 v5, 0x7f
	v_cmp_lt_u32_e32 vcc, s4, v4
	s_nop 1
	v_cndmask_b32_e32 v1, v1, v5, vcc
; %bb.692:
	s_or_b64 exec, exec, s[2:3]
	v_lshrrev_b32_e32 v4, 24, v26
	s_movk_i32 s2, 0x80
	v_and_or_b32 v1, v4, s2, v1
	global_store_byte v[2:3], v1, off
.LBB23_693:
	s_mov_b64 s[2:3], 0
	s_mov_b64 s[6:7], -1
.LBB23_694:
	s_andn2_b64 vcc, exec, s[2:3]
	s_mov_b64 s[4:5], 0
	s_cbranch_vccnz .LBB23_701
; %bb.695:
	s_cmp_gt_i32 s11, 14
	s_mov_b64 s[2:3], -1
	s_cbranch_scc0 .LBB23_699
; %bb.696:
	s_cmp_eq_u32 s11, 15
	s_mov_b64 s[0:1], -1
	s_cbranch_scc0 .LBB23_698
; %bb.697:
	v_bfe_u32 v1, v26, 16, 1
	s_movk_i32 s0, 0x7fff
	v_add3_u32 v1, v26, v1, s0
	v_cmp_o_f32_e32 vcc, v26, v26
	v_mov_b32_e32 v4, 0x7fc0
	s_mov_b64 s[0:1], 0
	v_cndmask_b32_sdwa v1, v4, v1, vcc dst_sel:DWORD dst_unused:UNUSED_PAD src0_sel:DWORD src1_sel:WORD_1
	global_store_short v[2:3], v1, off
	s_mov_b64 s[6:7], -1
.LBB23_698:
	s_mov_b64 s[2:3], 0
.LBB23_699:
	s_and_b64 vcc, exec, s[2:3]
	s_cbranch_vccz .LBB23_701
; %bb.700:
	s_cmp_lg_u32 s11, 11
	s_mov_b64 s[4:5], -1
	s_cselect_b64 s[0:1], -1, 0
.LBB23_701:
	s_and_b64 vcc, exec, s[0:1]
	s_mov_b64 s[2:3], s[40:41]
	s_cbranch_vccnz .LBB23_1105
; %bb.702:
	s_andn2_b64 vcc, exec, s[4:5]
	s_cbranch_vccnz .LBB23_704
.LBB23_703:
	v_cmp_neq_f32_e32 vcc, 0, v26
	s_mov_b64 s[6:7], -1
	s_nop 0
	v_cndmask_b32_e64 v1, 0, 1, vcc
	global_store_byte v[2:3], v1, off
.LBB23_704:
.LBB23_705:
	s_andn2_b64 vcc, exec, s[6:7]
	s_cbranch_vccz .LBB23_745
	s_branch .LBB23_1057
.LBB23_706:
	s_mov_b64 s[6:7], 0
	s_mov_b64 s[2:3], s[40:41]
	s_cbranch_execz .LBB23_705
; %bb.707:
	s_and_b32 s4, 0xffff, s10
	s_cmp_lt_i32 s4, 5
	s_mov_b64 s[0:1], -1
	s_cbranch_scc1 .LBB23_728
; %bb.708:
	s_cmp_lt_i32 s4, 8
	s_cbranch_scc1 .LBB23_718
; %bb.709:
	s_cmp_lt_i32 s4, 9
	s_cbranch_scc1 .LBB23_715
; %bb.710:
	s_cmp_gt_i32 s4, 9
	s_cbranch_scc0 .LBB23_712
; %bb.711:
	v_mov_b32_e32 v6, 0
	v_cvt_f64_f32_e32 v[4:5], v26
	v_mov_b32_e32 v7, v6
	global_store_dwordx4 v[2:3], v[4:7], off
	s_mov_b64 s[0:1], 0
.LBB23_712:
	s_andn2_b64 vcc, exec, s[0:1]
	s_cbranch_vccnz .LBB23_714
; %bb.713:
	v_mov_b32_e32 v27, 0
	global_store_dwordx2 v[2:3], v[26:27], off
.LBB23_714:
	s_mov_b64 s[0:1], 0
.LBB23_715:
	s_andn2_b64 vcc, exec, s[0:1]
	s_cbranch_vccnz .LBB23_717
; %bb.716:
	v_cvt_f16_f32_e32 v1, v26
	global_store_dword v[2:3], v1, off
.LBB23_717:
	s_mov_b64 s[0:1], 0
.LBB23_718:
	s_andn2_b64 vcc, exec, s[0:1]
	s_cbranch_vccnz .LBB23_727
; %bb.719:
	s_cmp_lt_i32 s4, 6
	s_mov_b64 s[0:1], -1
	s_cbranch_scc1 .LBB23_725
; %bb.720:
	s_cmp_gt_i32 s4, 6
	s_cbranch_scc0 .LBB23_722
; %bb.721:
	v_cvt_f64_f32_e32 v[4:5], v26
	global_store_dwordx2 v[2:3], v[4:5], off
	s_mov_b64 s[0:1], 0
.LBB23_722:
	s_andn2_b64 vcc, exec, s[0:1]
	s_cbranch_vccnz .LBB23_724
; %bb.723:
	global_store_dword v[2:3], v26, off
.LBB23_724:
	s_mov_b64 s[0:1], 0
.LBB23_725:
	s_andn2_b64 vcc, exec, s[0:1]
	s_cbranch_vccnz .LBB23_727
; %bb.726:
	v_cvt_f16_f32_e32 v1, v26
	global_store_short v[2:3], v1, off
.LBB23_727:
	s_mov_b64 s[0:1], 0
.LBB23_728:
	s_andn2_b64 vcc, exec, s[0:1]
	s_cbranch_vccnz .LBB23_744
; %bb.729:
	s_cmp_lt_i32 s4, 2
	s_mov_b64 s[0:1], -1
	s_cbranch_scc1 .LBB23_739
; %bb.730:
	s_cmp_lt_i32 s4, 3
	s_cbranch_scc1 .LBB23_736
; %bb.731:
	s_cmp_gt_i32 s4, 3
	s_cbranch_scc0 .LBB23_733
; %bb.732:
	v_trunc_f32_e32 v1, v26
	s_mov_b32 s0, 0x2f800000
	v_mul_f32_e64 v4, |v1|, s0
	v_floor_f32_e32 v4, v4
	s_mov_b32 s0, 0xcf800000
	v_cvt_u32_f32_e32 v5, v4
	v_fma_f32 v4, v4, s0, |v1|
	v_cvt_u32_f32_e32 v4, v4
	v_ashrrev_i32_e32 v1, 31, v1
	v_xor_b32_e32 v5, v5, v1
	s_mov_b64 s[0:1], 0
	v_xor_b32_e32 v4, v4, v1
	v_sub_co_u32_e32 v4, vcc, v4, v1
	s_nop 1
	v_subb_co_u32_e32 v5, vcc, v5, v1, vcc
	global_store_dwordx2 v[2:3], v[4:5], off
.LBB23_733:
	s_andn2_b64 vcc, exec, s[0:1]
	s_cbranch_vccnz .LBB23_735
; %bb.734:
	v_cvt_i32_f32_e32 v1, v26
	global_store_dword v[2:3], v1, off
.LBB23_735:
	s_mov_b64 s[0:1], 0
.LBB23_736:
	s_andn2_b64 vcc, exec, s[0:1]
	s_cbranch_vccnz .LBB23_738
; %bb.737:
	v_cvt_i32_f32_e32 v1, v26
	global_store_short v[2:3], v1, off
.LBB23_738:
	s_mov_b64 s[0:1], 0
.LBB23_739:
	s_andn2_b64 vcc, exec, s[0:1]
	s_cbranch_vccnz .LBB23_744
; %bb.740:
	s_cmp_gt_i32 s4, 0
	s_mov_b64 s[0:1], -1
	s_cbranch_scc0 .LBB23_742
; %bb.741:
	v_cvt_i32_f32_e32 v1, v26
	s_mov_b64 s[0:1], 0
	global_store_byte v[2:3], v1, off
.LBB23_742:
	s_andn2_b64 vcc, exec, s[0:1]
	s_cbranch_vccnz .LBB23_744
; %bb.743:
	v_trunc_f32_e32 v1, v26
	s_mov_b32 s0, 0x2f800000
	v_mul_f32_e64 v4, |v1|, s0
	v_floor_f32_e32 v4, v4
	s_mov_b32 s0, 0xcf800000
	v_fma_f32 v4, v4, s0, |v1|
	v_cvt_u32_f32_e32 v4, v4
	v_ashrrev_i32_e32 v1, 31, v1
	v_xor_b32_e32 v4, v4, v1
	v_sub_u32_e32 v1, v4, v1
	global_store_byte v[2:3], v1, off
.LBB23_744:
.LBB23_745:
	s_lshr_b32 s0, s28, 8
	v_mov_b32_e32 v37, 0
	s_and_b32 s12, s0, 0xff
	s_cmp_lt_i32 s12, 11
	v_lshl_add_u64 v[2:3], s[36:37], 0, v[36:37]
	s_cbranch_scc1 .LBB23_824
; %bb.746:
	s_and_b32 s13, 0xffff, s12
	s_mov_b64 s[8:9], -1
	s_mov_b64 s[4:5], 0
	s_cmp_gt_i32 s13, 25
	s_mov_b64 s[6:7], 0
	s_mov_b64 s[0:1], 0
	s_cbranch_scc0 .LBB23_779
; %bb.747:
	s_cmp_gt_i32 s13, 28
	s_cbranch_scc0 .LBB23_762
; %bb.748:
	s_cmp_gt_i32 s13, 43
	;; [unrolled: 3-line block ×3, first 2 shown]
	s_cbranch_scc0 .LBB23_752
; %bb.750:
	s_mov_b64 s[0:1], -1
	s_mov_b64 s[8:9], 0
	s_cmp_eq_u32 s13, 46
	s_cbranch_scc0 .LBB23_752
; %bb.751:
	v_bfe_u32 v1, v24, 16, 1
	s_movk_i32 s0, 0x7fff
	v_add3_u32 v1, v24, v1, s0
	v_cmp_o_f32_e32 vcc, v24, v24
	v_mov_b32_e32 v4, 0x7fc0
	s_mov_b64 s[0:1], 0
	v_cndmask_b32_sdwa v1, v4, v1, vcc dst_sel:DWORD dst_unused:UNUSED_PAD src0_sel:DWORD src1_sel:WORD_1
	global_store_dword v[2:3], v1, off
	s_mov_b64 s[6:7], -1
.LBB23_752:
	s_and_b64 vcc, exec, s[8:9]
	s_cbranch_vccz .LBB23_757
; %bb.753:
	s_cmp_eq_u32 s13, 44
	s_mov_b64 s[0:1], -1
	s_cbranch_scc0 .LBB23_757
; %bb.754:
	v_bfe_u32 v1, v24, 23, 8
	s_movk_i32 s0, 0xff
	v_cmp_ne_u32_e32 vcc, s0, v1
	v_mov_b32_e32 v4, 0xff
	s_and_saveexec_b64 s[6:7], vcc
; %bb.755:
	s_mov_b32 s0, 0x3fffff
	v_and_b32_e32 v5, 0x400000, v24
	v_and_or_b32 v1, v24, s0, v1
	v_cmp_ne_u32_e32 vcc, 0, v5
	v_cmp_ne_u32_e64 s[0:1], 0, v1
	s_and_b64 s[0:1], vcc, s[0:1]
	v_lshrrev_b32_e32 v4, 23, v24
	v_cndmask_b32_e64 v1, 0, 1, s[0:1]
	v_add_u32_e32 v4, v4, v1
; %bb.756:
	s_or_b64 exec, exec, s[6:7]
	s_mov_b64 s[0:1], 0
	s_mov_b64 s[6:7], -1
	global_store_byte v[2:3], v4, off
.LBB23_757:
	s_mov_b64 s[8:9], 0
.LBB23_758:
	s_and_b64 vcc, exec, s[8:9]
	s_cbranch_vccz .LBB23_761
; %bb.759:
	s_cmp_eq_u32 s13, 29
	s_mov_b64 s[0:1], -1
	s_cbranch_scc0 .LBB23_761
; %bb.760:
	v_trunc_f32_e32 v1, v24
	v_mul_f32_e32 v4, 0x2f800000, v1
	v_floor_f32_e32 v4, v4
	v_fmamk_f32 v1, v4, 0xcf800000, v1
	v_cvt_u32_f32_e32 v5, v4
	v_cvt_u32_f32_e32 v4, v1
	s_mov_b64 s[0:1], 0
	s_mov_b64 s[6:7], -1
	global_store_dwordx2 v[2:3], v[4:5], off
.LBB23_761:
	s_mov_b64 s[8:9], 0
.LBB23_762:
	s_and_b64 vcc, exec, s[8:9]
	s_cbranch_vccz .LBB23_778
; %bb.763:
	s_cmp_lt_i32 s13, 27
	s_mov_b64 s[6:7], -1
	s_cbranch_scc1 .LBB23_769
; %bb.764:
	s_cmp_gt_i32 s13, 27
	s_cbranch_scc0 .LBB23_766
; %bb.765:
	v_cvt_u32_f32_e32 v1, v24
	s_mov_b64 s[6:7], 0
	global_store_dword v[2:3], v1, off
.LBB23_766:
	s_andn2_b64 vcc, exec, s[6:7]
	s_cbranch_vccnz .LBB23_768
; %bb.767:
	v_cvt_u32_f32_e32 v1, v24
	global_store_short v[2:3], v1, off
.LBB23_768:
	s_mov_b64 s[6:7], 0
.LBB23_769:
	s_andn2_b64 vcc, exec, s[6:7]
	s_cbranch_vccnz .LBB23_777
; %bb.770:
	v_and_b32_e32 v1, 0x7fffffff, v24
	s_mov_b32 s6, 0x43800000
	v_cmp_gt_u32_e32 vcc, s6, v1
	v_mov_b32_e32 v4, 0x80
	s_and_saveexec_b64 s[6:7], vcc
	s_cbranch_execz .LBB23_776
; %bb.771:
	s_mov_b32 s8, 0x3bffffff
	v_cmp_lt_u32_e32 vcc, s8, v1
	s_mov_b64 s[8:9], 0
                                        ; implicit-def: $vgpr1
	s_and_saveexec_b64 s[10:11], vcc
	s_xor_b64 s[10:11], exec, s[10:11]
	s_cbranch_execz .LBB23_1108
; %bb.772:
	v_bfe_u32 v1, v24, 20, 1
	s_mov_b32 s14, 0x487ffff
	v_add3_u32 v1, v24, v1, s14
	s_mov_b64 s[8:9], exec
	v_lshrrev_b32_e32 v1, 20, v1
	s_andn2_saveexec_b64 s[10:11], s[10:11]
	s_cbranch_execnz .LBB23_1109
.LBB23_773:
	s_or_b64 exec, exec, s[10:11]
	v_mov_b32_e32 v4, 0
	s_and_saveexec_b64 s[10:11], s[8:9]
.LBB23_774:
	v_lshrrev_b32_e32 v4, 24, v24
	s_movk_i32 s8, 0x80
	v_and_or_b32 v4, v4, s8, v1
.LBB23_775:
	s_or_b64 exec, exec, s[10:11]
.LBB23_776:
	s_or_b64 exec, exec, s[6:7]
	global_store_byte v[2:3], v4, off
.LBB23_777:
	s_mov_b64 s[6:7], -1
.LBB23_778:
	s_mov_b64 s[8:9], 0
.LBB23_779:
	s_and_b64 vcc, exec, s[8:9]
	s_cbranch_vccz .LBB23_819
; %bb.780:
	s_cmp_gt_i32 s13, 22
	s_mov_b64 s[4:5], -1
	s_cbranch_scc0 .LBB23_812
; %bb.781:
	s_cmp_lt_i32 s13, 24
	s_cbranch_scc1 .LBB23_801
; %bb.782:
	s_cmp_gt_i32 s13, 24
	s_cbranch_scc0 .LBB23_790
; %bb.783:
	v_and_b32_e32 v1, 0x7fffffff, v24
	s_mov_b32 s4, 0x47800000
	v_cmp_gt_u32_e32 vcc, s4, v1
	v_mov_b32_e32 v4, 0x80
	s_and_saveexec_b64 s[4:5], vcc
	s_cbranch_execz .LBB23_789
; %bb.784:
	s_mov_b32 s6, 0x37ffffff
	v_cmp_lt_u32_e32 vcc, s6, v1
	s_mov_b64 s[6:7], 0
                                        ; implicit-def: $vgpr1
	s_and_saveexec_b64 s[8:9], vcc
	s_xor_b64 s[8:9], exec, s[8:9]
	s_cbranch_execz .LBB23_1111
; %bb.785:
	v_bfe_u32 v1, v24, 21, 1
	s_mov_b32 s10, 0x88fffff
	v_add3_u32 v1, v24, v1, s10
	s_mov_b64 s[6:7], exec
	v_lshrrev_b32_e32 v1, 21, v1
	s_andn2_saveexec_b64 s[8:9], s[8:9]
	s_cbranch_execnz .LBB23_1112
.LBB23_786:
	s_or_b64 exec, exec, s[8:9]
	v_mov_b32_e32 v4, 0
	s_and_saveexec_b64 s[8:9], s[6:7]
.LBB23_787:
	v_lshrrev_b32_e32 v4, 24, v24
	s_movk_i32 s6, 0x80
	v_and_or_b32 v4, v4, s6, v1
.LBB23_788:
	s_or_b64 exec, exec, s[8:9]
.LBB23_789:
	s_or_b64 exec, exec, s[4:5]
	s_mov_b64 s[4:5], 0
	global_store_byte v[2:3], v4, off
.LBB23_790:
	s_and_b64 vcc, exec, s[4:5]
	s_cbranch_vccz .LBB23_800
; %bb.791:
	v_and_b32_e32 v4, 0x7fffffff, v24
	s_mov_b32 s4, 0x43f00000
	v_cmp_gt_u32_e32 vcc, s4, v4
                                        ; implicit-def: $vgpr1
	s_and_saveexec_b64 s[4:5], vcc
	s_xor_b64 s[4:5], exec, s[4:5]
	s_cbranch_execz .LBB23_797
; %bb.792:
	s_mov_b32 s6, 0x3c7fffff
	v_cmp_lt_u32_e32 vcc, s6, v4
                                        ; implicit-def: $vgpr1
	s_and_saveexec_b64 s[6:7], vcc
	s_xor_b64 s[6:7], exec, s[6:7]
; %bb.793:
	v_bfe_u32 v1, v24, 20, 1
	s_mov_b32 s8, 0x407ffff
	v_add3_u32 v1, v24, v1, s8
	v_lshrrev_b32_e32 v4, 20, v1
	v_and_b32_e32 v1, 0xff00000, v1
	s_mov_b32 s8, 0x7f00000
	v_mov_b32_e32 v5, 0x7e
	v_cmp_ne_u32_e32 vcc, s8, v1
	s_nop 1
	v_cndmask_b32_e32 v1, v5, v4, vcc
; %bb.794:
	s_andn2_saveexec_b64 s[6:7], s[6:7]
; %bb.795:
	s_mov_b32 s8, 0x46800000
	v_add_f32_e64 v1, |v24|, s8
; %bb.796:
	s_or_b64 exec, exec, s[6:7]
                                        ; implicit-def: $vgpr4
.LBB23_797:
	s_andn2_saveexec_b64 s[4:5], s[4:5]
; %bb.798:
	s_mov_b32 s6, 0x7f800000
	v_mov_b32_e32 v1, 0x7e
	v_mov_b32_e32 v5, 0x7f
	v_cmp_lt_u32_e32 vcc, s6, v4
	s_nop 1
	v_cndmask_b32_e32 v1, v1, v5, vcc
; %bb.799:
	s_or_b64 exec, exec, s[4:5]
	v_lshrrev_b32_e32 v4, 24, v24
	s_movk_i32 s4, 0x80
	v_and_or_b32 v1, v4, s4, v1
	global_store_byte v[2:3], v1, off
.LBB23_800:
	s_mov_b64 s[4:5], 0
.LBB23_801:
	s_andn2_b64 vcc, exec, s[4:5]
	s_cbranch_vccnz .LBB23_811
; %bb.802:
	v_and_b32_e32 v4, 0x7fffffff, v24
	s_mov_b32 s4, 0x47800000
	v_cmp_gt_u32_e32 vcc, s4, v4
                                        ; implicit-def: $vgpr1
	s_and_saveexec_b64 s[4:5], vcc
	s_xor_b64 s[4:5], exec, s[4:5]
	s_cbranch_execz .LBB23_808
; %bb.803:
	s_mov_b32 s6, 0x387fffff
	v_cmp_lt_u32_e32 vcc, s6, v4
                                        ; implicit-def: $vgpr1
	s_and_saveexec_b64 s[6:7], vcc
	s_xor_b64 s[6:7], exec, s[6:7]
; %bb.804:
	v_bfe_u32 v1, v24, 21, 1
	s_mov_b32 s8, 0x80fffff
	v_add3_u32 v1, v24, v1, s8
	v_lshrrev_b32_e32 v1, 21, v1
; %bb.805:
	s_andn2_saveexec_b64 s[6:7], s[6:7]
; %bb.806:
	s_mov_b32 s8, 0x43000000
	v_add_f32_e64 v1, |v24|, s8
; %bb.807:
	s_or_b64 exec, exec, s[6:7]
                                        ; implicit-def: $vgpr4
.LBB23_808:
	s_andn2_saveexec_b64 s[4:5], s[4:5]
; %bb.809:
	s_mov_b32 s6, 0x7f800000
	v_mov_b32_e32 v1, 0x7c
	v_mov_b32_e32 v5, 0x7f
	v_cmp_lt_u32_e32 vcc, s6, v4
	s_nop 1
	v_cndmask_b32_e32 v1, v1, v5, vcc
; %bb.810:
	s_or_b64 exec, exec, s[4:5]
	v_lshrrev_b32_e32 v4, 24, v24
	s_movk_i32 s4, 0x80
	v_and_or_b32 v1, v4, s4, v1
	global_store_byte v[2:3], v1, off
.LBB23_811:
	s_mov_b64 s[4:5], 0
	s_mov_b64 s[6:7], -1
.LBB23_812:
	s_andn2_b64 vcc, exec, s[4:5]
	s_mov_b64 s[4:5], 0
	s_cbranch_vccnz .LBB23_819
; %bb.813:
	s_cmp_gt_i32 s13, 14
	s_mov_b64 s[8:9], -1
	s_cbranch_scc0 .LBB23_817
; %bb.814:
	s_cmp_eq_u32 s13, 15
	s_mov_b64 s[0:1], -1
	s_cbranch_scc0 .LBB23_816
; %bb.815:
	v_bfe_u32 v1, v24, 16, 1
	s_movk_i32 s0, 0x7fff
	v_add3_u32 v1, v24, v1, s0
	v_cmp_o_f32_e32 vcc, v24, v24
	v_mov_b32_e32 v4, 0x7fc0
	s_mov_b64 s[0:1], 0
	v_cndmask_b32_sdwa v1, v4, v1, vcc dst_sel:DWORD dst_unused:UNUSED_PAD src0_sel:DWORD src1_sel:WORD_1
	global_store_short v[2:3], v1, off
	s_mov_b64 s[6:7], -1
.LBB23_816:
	s_mov_b64 s[8:9], 0
.LBB23_817:
	s_and_b64 vcc, exec, s[8:9]
	s_cbranch_vccz .LBB23_819
; %bb.818:
	s_cmp_lg_u32 s13, 11
	s_mov_b64 s[4:5], -1
	s_cselect_b64 s[0:1], -1, 0
.LBB23_819:
	s_and_b64 vcc, exec, s[0:1]
	s_cbranch_vccnz .LBB23_1110
; %bb.820:
	s_andn2_b64 vcc, exec, s[4:5]
	s_cbranch_vccnz .LBB23_822
.LBB23_821:
	v_cmp_neq_f32_e32 vcc, 0, v24
	s_mov_b64 s[6:7], -1
	s_nop 0
	v_cndmask_b32_e64 v1, 0, 1, vcc
	global_store_byte v[2:3], v1, off
.LBB23_822:
.LBB23_823:
	s_andn2_b64 vcc, exec, s[6:7]
	s_cbranch_vccz .LBB23_863
	s_branch .LBB23_1057
.LBB23_824:
	s_mov_b64 s[6:7], 0
	s_cbranch_execz .LBB23_823
; %bb.825:
	s_and_b32 s4, 0xffff, s12
	s_cmp_lt_i32 s4, 5
	s_mov_b64 s[0:1], -1
	s_cbranch_scc1 .LBB23_846
; %bb.826:
	s_cmp_lt_i32 s4, 8
	s_cbranch_scc1 .LBB23_836
; %bb.827:
	s_cmp_lt_i32 s4, 9
	s_cbranch_scc1 .LBB23_833
; %bb.828:
	s_cmp_gt_i32 s4, 9
	s_cbranch_scc0 .LBB23_830
; %bb.829:
	v_mov_b32_e32 v6, 0
	v_cvt_f64_f32_e32 v[4:5], v24
	v_mov_b32_e32 v7, v6
	global_store_dwordx4 v[2:3], v[4:7], off
	s_mov_b64 s[0:1], 0
.LBB23_830:
	s_andn2_b64 vcc, exec, s[0:1]
	s_cbranch_vccnz .LBB23_832
; %bb.831:
	v_mov_b32_e32 v25, 0
	global_store_dwordx2 v[2:3], v[24:25], off
.LBB23_832:
	s_mov_b64 s[0:1], 0
.LBB23_833:
	s_andn2_b64 vcc, exec, s[0:1]
	s_cbranch_vccnz .LBB23_835
; %bb.834:
	v_cvt_f16_f32_e32 v1, v24
	global_store_dword v[2:3], v1, off
.LBB23_835:
	s_mov_b64 s[0:1], 0
.LBB23_836:
	s_andn2_b64 vcc, exec, s[0:1]
	s_cbranch_vccnz .LBB23_845
; %bb.837:
	s_cmp_lt_i32 s4, 6
	s_mov_b64 s[0:1], -1
	s_cbranch_scc1 .LBB23_843
; %bb.838:
	s_cmp_gt_i32 s4, 6
	s_cbranch_scc0 .LBB23_840
; %bb.839:
	v_cvt_f64_f32_e32 v[4:5], v24
	global_store_dwordx2 v[2:3], v[4:5], off
	s_mov_b64 s[0:1], 0
.LBB23_840:
	s_andn2_b64 vcc, exec, s[0:1]
	s_cbranch_vccnz .LBB23_842
; %bb.841:
	global_store_dword v[2:3], v24, off
.LBB23_842:
	s_mov_b64 s[0:1], 0
.LBB23_843:
	s_andn2_b64 vcc, exec, s[0:1]
	s_cbranch_vccnz .LBB23_845
; %bb.844:
	v_cvt_f16_f32_e32 v1, v24
	global_store_short v[2:3], v1, off
.LBB23_845:
	s_mov_b64 s[0:1], 0
.LBB23_846:
	s_andn2_b64 vcc, exec, s[0:1]
	s_cbranch_vccnz .LBB23_862
; %bb.847:
	s_cmp_lt_i32 s4, 2
	s_mov_b64 s[0:1], -1
	s_cbranch_scc1 .LBB23_857
; %bb.848:
	s_cmp_lt_i32 s4, 3
	s_cbranch_scc1 .LBB23_854
; %bb.849:
	s_cmp_gt_i32 s4, 3
	s_cbranch_scc0 .LBB23_851
; %bb.850:
	v_trunc_f32_e32 v1, v24
	s_mov_b32 s0, 0x2f800000
	v_mul_f32_e64 v4, |v1|, s0
	v_floor_f32_e32 v4, v4
	s_mov_b32 s0, 0xcf800000
	v_cvt_u32_f32_e32 v5, v4
	v_fma_f32 v4, v4, s0, |v1|
	v_cvt_u32_f32_e32 v4, v4
	v_ashrrev_i32_e32 v1, 31, v1
	v_xor_b32_e32 v5, v5, v1
	s_mov_b64 s[0:1], 0
	v_xor_b32_e32 v4, v4, v1
	v_sub_co_u32_e32 v4, vcc, v4, v1
	s_nop 1
	v_subb_co_u32_e32 v5, vcc, v5, v1, vcc
	global_store_dwordx2 v[2:3], v[4:5], off
.LBB23_851:
	s_andn2_b64 vcc, exec, s[0:1]
	s_cbranch_vccnz .LBB23_853
; %bb.852:
	v_cvt_i32_f32_e32 v1, v24
	global_store_dword v[2:3], v1, off
.LBB23_853:
	s_mov_b64 s[0:1], 0
.LBB23_854:
	s_andn2_b64 vcc, exec, s[0:1]
	s_cbranch_vccnz .LBB23_856
; %bb.855:
	v_cvt_i32_f32_e32 v1, v24
	global_store_short v[2:3], v1, off
.LBB23_856:
	s_mov_b64 s[0:1], 0
.LBB23_857:
	s_andn2_b64 vcc, exec, s[0:1]
	s_cbranch_vccnz .LBB23_862
; %bb.858:
	s_cmp_gt_i32 s4, 0
	s_mov_b64 s[0:1], -1
	s_cbranch_scc0 .LBB23_860
; %bb.859:
	v_cvt_i32_f32_e32 v1, v24
	s_mov_b64 s[0:1], 0
	global_store_byte v[2:3], v1, off
.LBB23_860:
	s_andn2_b64 vcc, exec, s[0:1]
	s_cbranch_vccnz .LBB23_862
; %bb.861:
	v_trunc_f32_e32 v1, v24
	s_mov_b32 s0, 0x2f800000
	v_mul_f32_e64 v4, |v1|, s0
	v_floor_f32_e32 v4, v4
	s_mov_b32 s0, 0xcf800000
	v_fma_f32 v4, v4, s0, |v1|
	v_cvt_u32_f32_e32 v4, v4
	v_ashrrev_i32_e32 v1, 31, v1
	v_xor_b32_e32 v4, v4, v1
	v_sub_u32_e32 v1, v4, v1
	global_store_byte v[2:3], v1, off
.LBB23_862:
.LBB23_863:
	v_mov_b32_e32 v35, 0
	s_cmp_lt_i32 s12, 11
	v_lshl_add_u64 v[2:3], s[36:37], 0, v[34:35]
	s_cbranch_scc1 .LBB23_1018
; %bb.864:
	s_and_b32 s13, 0xffff, s12
	s_mov_b64 s[8:9], -1
	s_mov_b64 s[4:5], 0
	s_cmp_gt_i32 s13, 25
	s_mov_b64 s[6:7], 0
	s_mov_b64 s[0:1], 0
	s_cbranch_scc0 .LBB23_897
; %bb.865:
	s_cmp_gt_i32 s13, 28
	s_cbranch_scc0 .LBB23_880
; %bb.866:
	s_cmp_gt_i32 s13, 43
	;; [unrolled: 3-line block ×3, first 2 shown]
	s_cbranch_scc0 .LBB23_870
; %bb.868:
	s_mov_b64 s[0:1], -1
	s_mov_b64 s[8:9], 0
	s_cmp_eq_u32 s13, 46
	s_cbranch_scc0 .LBB23_870
; %bb.869:
	v_bfe_u32 v1, v22, 16, 1
	s_movk_i32 s0, 0x7fff
	v_add3_u32 v1, v22, v1, s0
	v_cmp_o_f32_e32 vcc, v22, v22
	v_mov_b32_e32 v4, 0x7fc0
	s_mov_b64 s[0:1], 0
	v_cndmask_b32_sdwa v1, v4, v1, vcc dst_sel:DWORD dst_unused:UNUSED_PAD src0_sel:DWORD src1_sel:WORD_1
	global_store_dword v[2:3], v1, off
	s_mov_b64 s[6:7], -1
.LBB23_870:
	s_and_b64 vcc, exec, s[8:9]
	s_cbranch_vccz .LBB23_875
; %bb.871:
	s_cmp_eq_u32 s13, 44
	s_mov_b64 s[0:1], -1
	s_cbranch_scc0 .LBB23_875
; %bb.872:
	v_bfe_u32 v1, v22, 23, 8
	s_movk_i32 s0, 0xff
	v_cmp_ne_u32_e32 vcc, s0, v1
	v_mov_b32_e32 v4, 0xff
	s_and_saveexec_b64 s[6:7], vcc
; %bb.873:
	s_mov_b32 s0, 0x3fffff
	v_and_b32_e32 v5, 0x400000, v22
	v_and_or_b32 v1, v22, s0, v1
	v_cmp_ne_u32_e32 vcc, 0, v5
	v_cmp_ne_u32_e64 s[0:1], 0, v1
	s_and_b64 s[0:1], vcc, s[0:1]
	v_lshrrev_b32_e32 v4, 23, v22
	v_cndmask_b32_e64 v1, 0, 1, s[0:1]
	v_add_u32_e32 v4, v4, v1
; %bb.874:
	s_or_b64 exec, exec, s[6:7]
	s_mov_b64 s[0:1], 0
	s_mov_b64 s[6:7], -1
	global_store_byte v[2:3], v4, off
.LBB23_875:
	s_mov_b64 s[8:9], 0
.LBB23_876:
	s_and_b64 vcc, exec, s[8:9]
	s_cbranch_vccz .LBB23_879
; %bb.877:
	s_cmp_eq_u32 s13, 29
	s_mov_b64 s[0:1], -1
	s_cbranch_scc0 .LBB23_879
; %bb.878:
	v_trunc_f32_e32 v1, v22
	v_mul_f32_e32 v4, 0x2f800000, v1
	v_floor_f32_e32 v4, v4
	v_fmamk_f32 v1, v4, 0xcf800000, v1
	v_cvt_u32_f32_e32 v5, v4
	v_cvt_u32_f32_e32 v4, v1
	s_mov_b64 s[0:1], 0
	s_mov_b64 s[6:7], -1
	global_store_dwordx2 v[2:3], v[4:5], off
.LBB23_879:
	s_mov_b64 s[8:9], 0
.LBB23_880:
	s_and_b64 vcc, exec, s[8:9]
	s_cbranch_vccz .LBB23_896
; %bb.881:
	s_cmp_lt_i32 s13, 27
	s_mov_b64 s[6:7], -1
	s_cbranch_scc1 .LBB23_887
; %bb.882:
	v_cvt_u32_f32_e32 v1, v22
	s_cmp_gt_i32 s13, 27
	s_cbranch_scc0 .LBB23_884
; %bb.883:
	s_mov_b64 s[6:7], 0
	global_store_dword v[2:3], v1, off
.LBB23_884:
	s_andn2_b64 vcc, exec, s[6:7]
	s_cbranch_vccnz .LBB23_886
; %bb.885:
	global_store_short v[2:3], v1, off
.LBB23_886:
	s_mov_b64 s[6:7], 0
.LBB23_887:
	s_andn2_b64 vcc, exec, s[6:7]
	s_cbranch_vccnz .LBB23_895
; %bb.888:
	v_and_b32_e32 v1, 0x7fffffff, v22
	s_mov_b32 s6, 0x43800000
	v_cmp_gt_u32_e32 vcc, s6, v1
	v_mov_b32_e32 v4, 0x80
	s_and_saveexec_b64 s[6:7], vcc
	s_cbranch_execz .LBB23_894
; %bb.889:
	s_mov_b32 s8, 0x3bffffff
	v_cmp_lt_u32_e32 vcc, s8, v1
	s_mov_b64 s[8:9], 0
                                        ; implicit-def: $vgpr1
	s_and_saveexec_b64 s[10:11], vcc
	s_xor_b64 s[10:11], exec, s[10:11]
	s_cbranch_execz .LBB23_1113
; %bb.890:
	v_bfe_u32 v1, v22, 20, 1
	s_mov_b32 s14, 0x487ffff
	v_add3_u32 v1, v22, v1, s14
	s_mov_b64 s[8:9], exec
	v_lshrrev_b32_e32 v1, 20, v1
	s_andn2_saveexec_b64 s[10:11], s[10:11]
	s_cbranch_execnz .LBB23_1114
.LBB23_891:
	s_or_b64 exec, exec, s[10:11]
	v_mov_b32_e32 v4, 0
	s_and_saveexec_b64 s[10:11], s[8:9]
.LBB23_892:
	v_lshrrev_b32_e32 v4, 24, v22
	s_movk_i32 s8, 0x80
	v_and_or_b32 v4, v4, s8, v1
.LBB23_893:
	s_or_b64 exec, exec, s[10:11]
.LBB23_894:
	s_or_b64 exec, exec, s[6:7]
	global_store_byte v[2:3], v4, off
.LBB23_895:
	s_mov_b64 s[6:7], -1
.LBB23_896:
	s_mov_b64 s[8:9], 0
.LBB23_897:
	s_and_b64 vcc, exec, s[8:9]
	s_cbranch_vccz .LBB23_937
; %bb.898:
	s_cmp_gt_i32 s13, 22
	s_mov_b64 s[4:5], -1
	s_cbranch_scc0 .LBB23_930
; %bb.899:
	s_cmp_lt_i32 s13, 24
	s_cbranch_scc1 .LBB23_919
; %bb.900:
	s_cmp_gt_i32 s13, 24
	s_cbranch_scc0 .LBB23_908
; %bb.901:
	v_and_b32_e32 v1, 0x7fffffff, v22
	s_mov_b32 s4, 0x47800000
	v_cmp_gt_u32_e32 vcc, s4, v1
	v_mov_b32_e32 v4, 0x80
	s_and_saveexec_b64 s[4:5], vcc
	s_cbranch_execz .LBB23_907
; %bb.902:
	s_mov_b32 s6, 0x37ffffff
	v_cmp_lt_u32_e32 vcc, s6, v1
	s_mov_b64 s[6:7], 0
                                        ; implicit-def: $vgpr1
	s_and_saveexec_b64 s[8:9], vcc
	s_xor_b64 s[8:9], exec, s[8:9]
	s_cbranch_execz .LBB23_1118
; %bb.903:
	v_bfe_u32 v1, v22, 21, 1
	s_mov_b32 s10, 0x88fffff
	v_add3_u32 v1, v22, v1, s10
	s_mov_b64 s[6:7], exec
	v_lshrrev_b32_e32 v1, 21, v1
	s_andn2_saveexec_b64 s[8:9], s[8:9]
	s_cbranch_execnz .LBB23_1119
.LBB23_904:
	s_or_b64 exec, exec, s[8:9]
	v_mov_b32_e32 v4, 0
	s_and_saveexec_b64 s[8:9], s[6:7]
.LBB23_905:
	v_lshrrev_b32_e32 v4, 24, v22
	s_movk_i32 s6, 0x80
	v_and_or_b32 v4, v4, s6, v1
.LBB23_906:
	s_or_b64 exec, exec, s[8:9]
.LBB23_907:
	s_or_b64 exec, exec, s[4:5]
	s_mov_b64 s[4:5], 0
	global_store_byte v[2:3], v4, off
.LBB23_908:
	s_and_b64 vcc, exec, s[4:5]
	s_cbranch_vccz .LBB23_918
; %bb.909:
	v_and_b32_e32 v4, 0x7fffffff, v22
	s_mov_b32 s4, 0x43f00000
	v_cmp_gt_u32_e32 vcc, s4, v4
                                        ; implicit-def: $vgpr1
	s_and_saveexec_b64 s[4:5], vcc
	s_xor_b64 s[4:5], exec, s[4:5]
	s_cbranch_execz .LBB23_915
; %bb.910:
	s_mov_b32 s6, 0x3c7fffff
	v_cmp_lt_u32_e32 vcc, s6, v4
                                        ; implicit-def: $vgpr1
	s_and_saveexec_b64 s[6:7], vcc
	s_xor_b64 s[6:7], exec, s[6:7]
; %bb.911:
	v_bfe_u32 v1, v22, 20, 1
	s_mov_b32 s8, 0x407ffff
	v_add3_u32 v1, v22, v1, s8
	v_lshrrev_b32_e32 v4, 20, v1
	v_and_b32_e32 v1, 0xff00000, v1
	s_mov_b32 s8, 0x7f00000
	v_mov_b32_e32 v5, 0x7e
	v_cmp_ne_u32_e32 vcc, s8, v1
	s_nop 1
	v_cndmask_b32_e32 v1, v5, v4, vcc
; %bb.912:
	s_andn2_saveexec_b64 s[6:7], s[6:7]
; %bb.913:
	s_mov_b32 s8, 0x46800000
	v_add_f32_e64 v1, |v22|, s8
; %bb.914:
	s_or_b64 exec, exec, s[6:7]
                                        ; implicit-def: $vgpr4
.LBB23_915:
	s_andn2_saveexec_b64 s[4:5], s[4:5]
; %bb.916:
	s_mov_b32 s6, 0x7f800000
	v_mov_b32_e32 v1, 0x7e
	v_mov_b32_e32 v5, 0x7f
	v_cmp_lt_u32_e32 vcc, s6, v4
	s_nop 1
	v_cndmask_b32_e32 v1, v1, v5, vcc
; %bb.917:
	s_or_b64 exec, exec, s[4:5]
	v_lshrrev_b32_e32 v4, 24, v22
	s_movk_i32 s4, 0x80
	v_and_or_b32 v1, v4, s4, v1
	global_store_byte v[2:3], v1, off
.LBB23_918:
	s_mov_b64 s[4:5], 0
.LBB23_919:
	s_andn2_b64 vcc, exec, s[4:5]
	s_cbranch_vccnz .LBB23_929
; %bb.920:
	v_and_b32_e32 v4, 0x7fffffff, v22
	s_mov_b32 s4, 0x47800000
	v_cmp_gt_u32_e32 vcc, s4, v4
                                        ; implicit-def: $vgpr1
	s_and_saveexec_b64 s[4:5], vcc
	s_xor_b64 s[4:5], exec, s[4:5]
	s_cbranch_execz .LBB23_926
; %bb.921:
	s_mov_b32 s6, 0x387fffff
	v_cmp_lt_u32_e32 vcc, s6, v4
                                        ; implicit-def: $vgpr1
	s_and_saveexec_b64 s[6:7], vcc
	s_xor_b64 s[6:7], exec, s[6:7]
; %bb.922:
	v_bfe_u32 v1, v22, 21, 1
	s_mov_b32 s8, 0x80fffff
	v_add3_u32 v1, v22, v1, s8
	v_lshrrev_b32_e32 v1, 21, v1
; %bb.923:
	s_andn2_saveexec_b64 s[6:7], s[6:7]
; %bb.924:
	s_mov_b32 s8, 0x43000000
	v_add_f32_e64 v1, |v22|, s8
; %bb.925:
	s_or_b64 exec, exec, s[6:7]
                                        ; implicit-def: $vgpr4
.LBB23_926:
	s_andn2_saveexec_b64 s[4:5], s[4:5]
; %bb.927:
	s_mov_b32 s6, 0x7f800000
	v_mov_b32_e32 v1, 0x7c
	v_mov_b32_e32 v5, 0x7f
	v_cmp_lt_u32_e32 vcc, s6, v4
	s_nop 1
	v_cndmask_b32_e32 v1, v1, v5, vcc
; %bb.928:
	s_or_b64 exec, exec, s[4:5]
	v_lshrrev_b32_e32 v4, 24, v22
	s_movk_i32 s4, 0x80
	v_and_or_b32 v1, v4, s4, v1
	global_store_byte v[2:3], v1, off
.LBB23_929:
	s_mov_b64 s[4:5], 0
	s_mov_b64 s[6:7], -1
.LBB23_930:
	s_andn2_b64 vcc, exec, s[4:5]
	s_mov_b64 s[4:5], 0
	s_cbranch_vccnz .LBB23_937
; %bb.931:
	s_cmp_gt_i32 s13, 14
	s_mov_b64 s[8:9], -1
	s_cbranch_scc0 .LBB23_935
; %bb.932:
	s_cmp_eq_u32 s13, 15
	s_mov_b64 s[0:1], -1
	s_cbranch_scc0 .LBB23_934
; %bb.933:
	v_bfe_u32 v1, v22, 16, 1
	s_movk_i32 s0, 0x7fff
	v_add3_u32 v1, v22, v1, s0
	v_cmp_o_f32_e32 vcc, v22, v22
	v_mov_b32_e32 v4, 0x7fc0
	s_mov_b64 s[0:1], 0
	v_cndmask_b32_sdwa v1, v4, v1, vcc dst_sel:DWORD dst_unused:UNUSED_PAD src0_sel:DWORD src1_sel:WORD_1
	global_store_short v[2:3], v1, off
	s_mov_b64 s[6:7], -1
.LBB23_934:
	s_mov_b64 s[8:9], 0
.LBB23_935:
	s_and_b64 vcc, exec, s[8:9]
	s_cbranch_vccz .LBB23_937
; %bb.936:
	s_cmp_lg_u32 s13, 11
	s_mov_b64 s[4:5], -1
	s_cselect_b64 s[0:1], -1, 0
.LBB23_937:
	s_and_b64 vcc, exec, s[0:1]
	s_cbranch_vccnz .LBB23_1115
; %bb.938:
	s_andn2_b64 vcc, exec, s[4:5]
	s_cbranch_vccnz .LBB23_940
.LBB23_939:
	v_cmp_neq_f32_e32 vcc, 0, v22
	s_mov_b64 s[6:7], -1
	s_nop 0
	v_cndmask_b32_e64 v1, 0, 1, vcc
	global_store_byte v[2:3], v1, off
.LBB23_940:
.LBB23_941:
	s_andn2_b64 vcc, exec, s[6:7]
	s_cbranch_vccnz .LBB23_1057
.LBB23_942:
	v_mov_b32_e32 v33, 0
	s_cmp_lt_i32 s12, 11
	v_lshl_add_u64 v[2:3], s[36:37], 0, v[32:33]
	s_cbranch_scc1 .LBB23_1102
; %bb.943:
	s_and_b32 s13, 0xffff, s12
	s_mov_b64 s[6:7], -1
	s_mov_b64 s[4:5], 0
	s_cmp_gt_i32 s13, 25
	s_mov_b64 s[0:1], 0
	s_cbranch_scc0 .LBB23_976
; %bb.944:
	s_cmp_gt_i32 s13, 28
	s_cbranch_scc0 .LBB23_960
; %bb.945:
	s_cmp_gt_i32 s13, 43
	;; [unrolled: 3-line block ×3, first 2 shown]
	s_cbranch_scc0 .LBB23_950
; %bb.947:
	s_cmp_eq_u32 s13, 46
	s_mov_b64 s[0:1], -1
	s_cbranch_scc0 .LBB23_949
; %bb.948:
	v_bfe_u32 v1, v0, 16, 1
	s_movk_i32 s0, 0x7fff
	v_add3_u32 v1, v0, v1, s0
	v_cmp_o_f32_e32 vcc, v0, v0
	v_mov_b32_e32 v4, 0x7fc0
	s_mov_b64 s[0:1], 0
	v_cndmask_b32_sdwa v1, v4, v1, vcc dst_sel:DWORD dst_unused:UNUSED_PAD src0_sel:DWORD src1_sel:WORD_1
	global_store_dword v[2:3], v1, off
.LBB23_949:
	s_mov_b64 s[6:7], 0
.LBB23_950:
	s_and_b64 vcc, exec, s[6:7]
	s_cbranch_vccz .LBB23_955
; %bb.951:
	s_cmp_eq_u32 s13, 44
	s_mov_b64 s[0:1], -1
	s_cbranch_scc0 .LBB23_955
; %bb.952:
	v_bfe_u32 v1, v0, 23, 8
	s_movk_i32 s0, 0xff
	v_cmp_ne_u32_e32 vcc, s0, v1
	v_mov_b32_e32 v4, 0xff
	s_and_saveexec_b64 s[6:7], vcc
; %bb.953:
	s_mov_b32 s0, 0x3fffff
	v_and_b32_e32 v5, 0x400000, v0
	v_and_or_b32 v1, v0, s0, v1
	v_cmp_ne_u32_e32 vcc, 0, v5
	v_cmp_ne_u32_e64 s[0:1], 0, v1
	s_and_b64 s[0:1], vcc, s[0:1]
	v_lshrrev_b32_e32 v4, 23, v0
	v_cndmask_b32_e64 v1, 0, 1, s[0:1]
	v_add_u32_e32 v4, v4, v1
; %bb.954:
	s_or_b64 exec, exec, s[6:7]
	s_mov_b64 s[0:1], 0
	global_store_byte v[2:3], v4, off
.LBB23_955:
	s_mov_b64 s[6:7], 0
.LBB23_956:
	s_and_b64 vcc, exec, s[6:7]
	s_cbranch_vccz .LBB23_959
; %bb.957:
	s_cmp_eq_u32 s13, 29
	s_mov_b64 s[0:1], -1
	s_cbranch_scc0 .LBB23_959
; %bb.958:
	v_trunc_f32_e32 v1, v0
	v_mul_f32_e32 v4, 0x2f800000, v1
	v_floor_f32_e32 v4, v4
	v_fmamk_f32 v1, v4, 0xcf800000, v1
	v_cvt_u32_f32_e32 v5, v4
	v_cvt_u32_f32_e32 v4, v1
	s_mov_b64 s[0:1], 0
	global_store_dwordx2 v[2:3], v[4:5], off
.LBB23_959:
	s_mov_b64 s[6:7], 0
.LBB23_960:
	s_and_b64 vcc, exec, s[6:7]
	s_cbranch_vccz .LBB23_975
; %bb.961:
	s_cmp_lt_i32 s13, 27
	s_mov_b64 s[6:7], -1
	s_cbranch_scc1 .LBB23_967
; %bb.962:
	v_cvt_u32_f32_e32 v1, v0
	s_cmp_gt_i32 s13, 27
	s_cbranch_scc0 .LBB23_964
; %bb.963:
	global_store_dword v[2:3], v1, off
	s_mov_b64 s[6:7], 0
.LBB23_964:
	s_andn2_b64 vcc, exec, s[6:7]
	s_cbranch_vccnz .LBB23_966
; %bb.965:
	global_store_short v[2:3], v1, off
.LBB23_966:
	s_mov_b64 s[6:7], 0
.LBB23_967:
	s_andn2_b64 vcc, exec, s[6:7]
	s_cbranch_vccnz .LBB23_975
; %bb.968:
	v_and_b32_e32 v1, 0x7fffffff, v0
	s_mov_b32 s6, 0x43800000
	v_cmp_gt_u32_e32 vcc, s6, v1
	v_mov_b32_e32 v4, 0x80
	s_and_saveexec_b64 s[6:7], vcc
	s_cbranch_execz .LBB23_974
; %bb.969:
	s_mov_b32 s8, 0x3bffffff
	v_cmp_lt_u32_e32 vcc, s8, v1
	s_mov_b64 s[8:9], 0
                                        ; implicit-def: $vgpr1
	s_and_saveexec_b64 s[10:11], vcc
	s_xor_b64 s[10:11], exec, s[10:11]
	s_cbranch_execz .LBB23_1120
; %bb.970:
	v_bfe_u32 v1, v0, 20, 1
	s_mov_b32 s14, 0x487ffff
	v_add3_u32 v1, v0, v1, s14
	s_mov_b64 s[8:9], exec
	v_lshrrev_b32_e32 v1, 20, v1
	s_andn2_saveexec_b64 s[10:11], s[10:11]
	s_cbranch_execnz .LBB23_1121
.LBB23_971:
	s_or_b64 exec, exec, s[10:11]
	v_mov_b32_e32 v4, 0
	s_and_saveexec_b64 s[10:11], s[8:9]
.LBB23_972:
	v_lshrrev_b32_e32 v4, 24, v0
	s_movk_i32 s8, 0x80
	v_and_or_b32 v4, v4, s8, v1
.LBB23_973:
	s_or_b64 exec, exec, s[10:11]
.LBB23_974:
	s_or_b64 exec, exec, s[6:7]
	global_store_byte v[2:3], v4, off
.LBB23_975:
	s_mov_b64 s[6:7], 0
.LBB23_976:
	s_and_b64 vcc, exec, s[6:7]
	s_cbranch_vccz .LBB23_1016
; %bb.977:
	s_cmp_gt_i32 s13, 22
	s_mov_b64 s[4:5], -1
	s_cbranch_scc0 .LBB23_1009
; %bb.978:
	s_cmp_lt_i32 s13, 24
	s_cbranch_scc1 .LBB23_998
; %bb.979:
	s_cmp_gt_i32 s13, 24
	s_cbranch_scc0 .LBB23_987
; %bb.980:
	v_and_b32_e32 v1, 0x7fffffff, v0
	s_mov_b32 s4, 0x47800000
	v_cmp_gt_u32_e32 vcc, s4, v1
	v_mov_b32_e32 v4, 0x80
	s_and_saveexec_b64 s[4:5], vcc
	s_cbranch_execz .LBB23_986
; %bb.981:
	s_mov_b32 s6, 0x37ffffff
	v_cmp_lt_u32_e32 vcc, s6, v1
	s_mov_b64 s[6:7], 0
                                        ; implicit-def: $vgpr1
	s_and_saveexec_b64 s[8:9], vcc
	s_xor_b64 s[8:9], exec, s[8:9]
	s_cbranch_execz .LBB23_1127
; %bb.982:
	v_bfe_u32 v1, v0, 21, 1
	s_mov_b32 s10, 0x88fffff
	v_add3_u32 v1, v0, v1, s10
	s_mov_b64 s[6:7], exec
	v_lshrrev_b32_e32 v1, 21, v1
	s_andn2_saveexec_b64 s[8:9], s[8:9]
	s_cbranch_execnz .LBB23_1128
.LBB23_983:
	s_or_b64 exec, exec, s[8:9]
	v_mov_b32_e32 v4, 0
	s_and_saveexec_b64 s[8:9], s[6:7]
.LBB23_984:
	v_lshrrev_b32_e32 v4, 24, v0
	s_movk_i32 s6, 0x80
	v_and_or_b32 v4, v4, s6, v1
.LBB23_985:
	s_or_b64 exec, exec, s[8:9]
.LBB23_986:
	s_or_b64 exec, exec, s[4:5]
	s_mov_b64 s[4:5], 0
	global_store_byte v[2:3], v4, off
.LBB23_987:
	s_and_b64 vcc, exec, s[4:5]
	s_cbranch_vccz .LBB23_997
; %bb.988:
	v_and_b32_e32 v4, 0x7fffffff, v0
	s_mov_b32 s4, 0x43f00000
	v_cmp_gt_u32_e32 vcc, s4, v4
                                        ; implicit-def: $vgpr1
	s_and_saveexec_b64 s[4:5], vcc
	s_xor_b64 s[4:5], exec, s[4:5]
	s_cbranch_execz .LBB23_994
; %bb.989:
	s_mov_b32 s6, 0x3c7fffff
	v_cmp_lt_u32_e32 vcc, s6, v4
                                        ; implicit-def: $vgpr1
	s_and_saveexec_b64 s[6:7], vcc
	s_xor_b64 s[6:7], exec, s[6:7]
; %bb.990:
	v_bfe_u32 v1, v0, 20, 1
	s_mov_b32 s8, 0x407ffff
	v_add3_u32 v1, v0, v1, s8
	v_lshrrev_b32_e32 v4, 20, v1
	v_and_b32_e32 v1, 0xff00000, v1
	s_mov_b32 s8, 0x7f00000
	v_mov_b32_e32 v5, 0x7e
	v_cmp_ne_u32_e32 vcc, s8, v1
	s_nop 1
	v_cndmask_b32_e32 v1, v5, v4, vcc
; %bb.991:
	s_andn2_saveexec_b64 s[6:7], s[6:7]
; %bb.992:
	s_mov_b32 s8, 0x46800000
	v_add_f32_e64 v1, |v0|, s8
; %bb.993:
	s_or_b64 exec, exec, s[6:7]
                                        ; implicit-def: $vgpr4
.LBB23_994:
	s_andn2_saveexec_b64 s[4:5], s[4:5]
; %bb.995:
	s_mov_b32 s6, 0x7f800000
	v_mov_b32_e32 v1, 0x7e
	v_mov_b32_e32 v5, 0x7f
	v_cmp_lt_u32_e32 vcc, s6, v4
	s_nop 1
	v_cndmask_b32_e32 v1, v1, v5, vcc
; %bb.996:
	s_or_b64 exec, exec, s[4:5]
	v_lshrrev_b32_e32 v4, 24, v0
	s_movk_i32 s4, 0x80
	v_and_or_b32 v1, v4, s4, v1
	global_store_byte v[2:3], v1, off
.LBB23_997:
	s_mov_b64 s[4:5], 0
.LBB23_998:
	s_andn2_b64 vcc, exec, s[4:5]
	s_cbranch_vccnz .LBB23_1008
; %bb.999:
	v_and_b32_e32 v4, 0x7fffffff, v0
	s_mov_b32 s4, 0x47800000
	v_cmp_gt_u32_e32 vcc, s4, v4
                                        ; implicit-def: $vgpr1
	s_and_saveexec_b64 s[4:5], vcc
	s_xor_b64 s[4:5], exec, s[4:5]
	s_cbranch_execz .LBB23_1005
; %bb.1000:
	s_mov_b32 s6, 0x387fffff
	v_cmp_lt_u32_e32 vcc, s6, v4
                                        ; implicit-def: $vgpr1
	s_and_saveexec_b64 s[6:7], vcc
	s_xor_b64 s[6:7], exec, s[6:7]
; %bb.1001:
	v_bfe_u32 v1, v0, 21, 1
	s_mov_b32 s8, 0x80fffff
	v_add3_u32 v1, v0, v1, s8
	v_lshrrev_b32_e32 v1, 21, v1
; %bb.1002:
	s_andn2_saveexec_b64 s[6:7], s[6:7]
; %bb.1003:
	s_mov_b32 s8, 0x43000000
	v_add_f32_e64 v1, |v0|, s8
; %bb.1004:
	s_or_b64 exec, exec, s[6:7]
                                        ; implicit-def: $vgpr4
.LBB23_1005:
	s_andn2_saveexec_b64 s[4:5], s[4:5]
; %bb.1006:
	s_mov_b32 s6, 0x7f800000
	v_mov_b32_e32 v1, 0x7c
	v_mov_b32_e32 v5, 0x7f
	v_cmp_lt_u32_e32 vcc, s6, v4
	s_nop 1
	v_cndmask_b32_e32 v1, v1, v5, vcc
; %bb.1007:
	s_or_b64 exec, exec, s[4:5]
	v_lshrrev_b32_e32 v4, 24, v0
	s_movk_i32 s4, 0x80
	v_and_or_b32 v1, v4, s4, v1
	global_store_byte v[2:3], v1, off
.LBB23_1008:
	s_mov_b64 s[4:5], 0
.LBB23_1009:
	s_andn2_b64 vcc, exec, s[4:5]
	s_mov_b64 s[4:5], 0
	s_cbranch_vccnz .LBB23_1016
; %bb.1010:
	s_cmp_gt_i32 s13, 14
	s_mov_b64 s[6:7], -1
	s_cbranch_scc0 .LBB23_1014
; %bb.1011:
	s_cmp_eq_u32 s13, 15
	s_mov_b64 s[0:1], -1
	s_cbranch_scc0 .LBB23_1013
; %bb.1012:
	v_bfe_u32 v1, v0, 16, 1
	s_movk_i32 s0, 0x7fff
	v_add3_u32 v1, v0, v1, s0
	v_cmp_o_f32_e32 vcc, v0, v0
	v_mov_b32_e32 v4, 0x7fc0
	s_mov_b64 s[0:1], 0
	v_cndmask_b32_sdwa v1, v4, v1, vcc dst_sel:DWORD dst_unused:UNUSED_PAD src0_sel:DWORD src1_sel:WORD_1
	global_store_short v[2:3], v1, off
.LBB23_1013:
	s_mov_b64 s[6:7], 0
.LBB23_1014:
	s_and_b64 vcc, exec, s[6:7]
	s_cbranch_vccz .LBB23_1016
; %bb.1015:
	s_cmp_lg_u32 s13, 11
	s_mov_b64 s[4:5], -1
	s_cselect_b64 s[0:1], -1, 0
.LBB23_1016:
	s_and_b64 vcc, exec, s[0:1]
	s_cbranch_vccnz .LBB23_1122
.LBB23_1017:
	s_mov_b64 s[0:1], 0
	s_branch .LBB23_1058
.LBB23_1018:
	s_mov_b64 s[6:7], 0
	s_cbranch_execz .LBB23_941
; %bb.1019:
	s_and_b32 s4, 0xffff, s12
	s_cmp_lt_i32 s4, 5
	s_mov_b64 s[0:1], -1
	s_cbranch_scc1 .LBB23_1040
; %bb.1020:
	s_cmp_lt_i32 s4, 8
	s_cbranch_scc1 .LBB23_1030
; %bb.1021:
	s_cmp_lt_i32 s4, 9
	s_cbranch_scc1 .LBB23_1027
; %bb.1022:
	s_cmp_gt_i32 s4, 9
	s_cbranch_scc0 .LBB23_1024
; %bb.1023:
	v_mov_b32_e32 v6, 0
	v_cvt_f64_f32_e32 v[4:5], v22
	v_mov_b32_e32 v7, v6
	global_store_dwordx4 v[2:3], v[4:7], off
	s_mov_b64 s[0:1], 0
.LBB23_1024:
	s_andn2_b64 vcc, exec, s[0:1]
	s_cbranch_vccnz .LBB23_1026
; %bb.1025:
	v_mov_b32_e32 v23, 0
	global_store_dwordx2 v[2:3], v[22:23], off
.LBB23_1026:
	s_mov_b64 s[0:1], 0
.LBB23_1027:
	s_andn2_b64 vcc, exec, s[0:1]
	s_cbranch_vccnz .LBB23_1029
; %bb.1028:
	v_cvt_f16_f32_e32 v1, v22
	global_store_dword v[2:3], v1, off
.LBB23_1029:
	s_mov_b64 s[0:1], 0
.LBB23_1030:
	s_andn2_b64 vcc, exec, s[0:1]
	s_cbranch_vccnz .LBB23_1039
; %bb.1031:
	s_cmp_lt_i32 s4, 6
	s_mov_b64 s[0:1], -1
	s_cbranch_scc1 .LBB23_1037
; %bb.1032:
	s_cmp_gt_i32 s4, 6
	s_cbranch_scc0 .LBB23_1034
; %bb.1033:
	v_cvt_f64_f32_e32 v[4:5], v22
	global_store_dwordx2 v[2:3], v[4:5], off
	s_mov_b64 s[0:1], 0
.LBB23_1034:
	s_andn2_b64 vcc, exec, s[0:1]
	s_cbranch_vccnz .LBB23_1036
; %bb.1035:
	global_store_dword v[2:3], v22, off
.LBB23_1036:
	s_mov_b64 s[0:1], 0
.LBB23_1037:
	s_andn2_b64 vcc, exec, s[0:1]
	s_cbranch_vccnz .LBB23_1039
; %bb.1038:
	v_cvt_f16_f32_e32 v1, v22
	global_store_short v[2:3], v1, off
.LBB23_1039:
	s_mov_b64 s[0:1], 0
.LBB23_1040:
	s_andn2_b64 vcc, exec, s[0:1]
	s_cbranch_vccnz .LBB23_1056
; %bb.1041:
	s_cmp_lt_i32 s4, 2
	s_mov_b64 s[0:1], -1
	s_cbranch_scc1 .LBB23_1051
; %bb.1042:
	s_cmp_lt_i32 s4, 3
	s_cbranch_scc1 .LBB23_1048
; %bb.1043:
	s_cmp_gt_i32 s4, 3
	s_cbranch_scc0 .LBB23_1045
; %bb.1044:
	v_trunc_f32_e32 v1, v22
	s_mov_b32 s0, 0x2f800000
	v_mul_f32_e64 v4, |v1|, s0
	v_floor_f32_e32 v4, v4
	s_mov_b32 s0, 0xcf800000
	v_cvt_u32_f32_e32 v5, v4
	v_fma_f32 v4, v4, s0, |v1|
	v_cvt_u32_f32_e32 v4, v4
	v_ashrrev_i32_e32 v1, 31, v1
	v_xor_b32_e32 v5, v5, v1
	s_mov_b64 s[0:1], 0
	v_xor_b32_e32 v4, v4, v1
	v_sub_co_u32_e32 v4, vcc, v4, v1
	s_nop 1
	v_subb_co_u32_e32 v5, vcc, v5, v1, vcc
	global_store_dwordx2 v[2:3], v[4:5], off
.LBB23_1045:
	s_andn2_b64 vcc, exec, s[0:1]
	s_cbranch_vccnz .LBB23_1047
; %bb.1046:
	v_cvt_i32_f32_e32 v1, v22
	global_store_dword v[2:3], v1, off
.LBB23_1047:
	s_mov_b64 s[0:1], 0
.LBB23_1048:
	s_andn2_b64 vcc, exec, s[0:1]
	s_cbranch_vccnz .LBB23_1050
; %bb.1049:
	v_cvt_i32_f32_e32 v1, v22
	global_store_short v[2:3], v1, off
.LBB23_1050:
	s_mov_b64 s[0:1], 0
.LBB23_1051:
	s_andn2_b64 vcc, exec, s[0:1]
	s_cbranch_vccnz .LBB23_1056
; %bb.1052:
	s_cmp_gt_i32 s4, 0
	s_mov_b64 s[0:1], -1
	s_cbranch_scc0 .LBB23_1054
; %bb.1053:
	v_cvt_i32_f32_e32 v1, v22
	s_mov_b64 s[0:1], 0
	global_store_byte v[2:3], v1, off
.LBB23_1054:
	s_andn2_b64 vcc, exec, s[0:1]
	s_cbranch_vccnz .LBB23_1056
; %bb.1055:
	v_trunc_f32_e32 v1, v22
	s_mov_b32 s0, 0x2f800000
	v_mul_f32_e64 v4, |v1|, s0
	v_floor_f32_e32 v4, v4
	s_mov_b32 s0, 0xcf800000
	v_fma_f32 v4, v4, s0, |v1|
	v_cvt_u32_f32_e32 v4, v4
	v_ashrrev_i32_e32 v1, 31, v1
	v_xor_b32_e32 v4, v4, v1
	v_sub_u32_e32 v1, v4, v1
	global_store_byte v[2:3], v1, off
.LBB23_1056:
	s_branch .LBB23_942
.LBB23_1057:
	s_mov_b64 s[0:1], 0
	s_mov_b64 s[4:5], 0
                                        ; implicit-def: $sgpr12
                                        ; implicit-def: $vgpr2_vgpr3
.LBB23_1058:
	s_and_b64 s[28:29], s[4:5], exec
	s_andn2_b64 s[4:5], s[40:41], exec
	s_and_b64 s[2:3], s[2:3], exec
	s_and_b64 s[0:1], s[0:1], exec
	s_or_b64 s[40:41], s[4:5], s[2:3]
.LBB23_1059:
	s_or_b64 exec, exec, s[42:43]
	s_and_saveexec_b64 s[2:3], s[40:41]
	s_cbranch_execz .LBB23_1062
; %bb.1060:
	; divergent unreachable
	s_or_b64 exec, exec, s[2:3]
	s_and_saveexec_b64 s[2:3], s[28:29]
	s_xor_b64 s[2:3], exec, s[2:3]
	s_cbranch_execnz .LBB23_1063
.LBB23_1061:
	s_or_b64 exec, exec, s[2:3]
	s_and_saveexec_b64 s[2:3], s[0:1]
	s_cbranch_execnz .LBB23_1064
	s_branch .LBB23_1101
.LBB23_1062:
	s_or_b64 exec, exec, s[2:3]
	s_and_saveexec_b64 s[2:3], s[28:29]
	s_xor_b64 s[2:3], exec, s[2:3]
	s_cbranch_execz .LBB23_1061
.LBB23_1063:
	v_cmp_neq_f32_e32 vcc, 0, v0
	s_nop 1
	v_cndmask_b32_e64 v1, 0, 1, vcc
	global_store_byte v[2:3], v1, off
	s_or_b64 exec, exec, s[2:3]
	s_and_saveexec_b64 s[2:3], s[0:1]
	s_cbranch_execz .LBB23_1101
.LBB23_1064:
	s_sext_i32_i16 s2, s12
	s_cmp_lt_i32 s2, 5
	s_mov_b64 s[0:1], -1
	s_cbranch_scc1 .LBB23_1085
; %bb.1065:
	s_cmp_lt_i32 s2, 8
	s_cbranch_scc1 .LBB23_1075
; %bb.1066:
	s_cmp_lt_i32 s2, 9
	s_cbranch_scc1 .LBB23_1072
; %bb.1067:
	s_cmp_gt_i32 s2, 9
	s_cbranch_scc0 .LBB23_1069
; %bb.1068:
	v_mov_b32_e32 v6, 0
	v_cvt_f64_f32_e32 v[4:5], v0
	v_mov_b32_e32 v7, v6
	global_store_dwordx4 v[2:3], v[4:7], off
	s_mov_b64 s[0:1], 0
.LBB23_1069:
	s_andn2_b64 vcc, exec, s[0:1]
	s_cbranch_vccnz .LBB23_1071
; %bb.1070:
	v_mov_b32_e32 v1, 0
	global_store_dwordx2 v[2:3], v[0:1], off
.LBB23_1071:
	s_mov_b64 s[0:1], 0
.LBB23_1072:
	s_andn2_b64 vcc, exec, s[0:1]
	s_cbranch_vccnz .LBB23_1074
; %bb.1073:
	v_cvt_f16_f32_e32 v1, v0
	global_store_dword v[2:3], v1, off
.LBB23_1074:
	s_mov_b64 s[0:1], 0
.LBB23_1075:
	s_andn2_b64 vcc, exec, s[0:1]
	s_cbranch_vccnz .LBB23_1084
; %bb.1076:
	s_sext_i32_i16 s2, s12
	s_cmp_lt_i32 s2, 6
	s_mov_b64 s[0:1], -1
	s_cbranch_scc1 .LBB23_1082
; %bb.1077:
	s_cmp_gt_i32 s2, 6
	s_cbranch_scc0 .LBB23_1079
; %bb.1078:
	v_cvt_f64_f32_e32 v[4:5], v0
	global_store_dwordx2 v[2:3], v[4:5], off
	s_mov_b64 s[0:1], 0
.LBB23_1079:
	s_andn2_b64 vcc, exec, s[0:1]
	s_cbranch_vccnz .LBB23_1081
; %bb.1080:
	global_store_dword v[2:3], v0, off
.LBB23_1081:
	s_mov_b64 s[0:1], 0
.LBB23_1082:
	s_andn2_b64 vcc, exec, s[0:1]
	s_cbranch_vccnz .LBB23_1084
; %bb.1083:
	v_cvt_f16_f32_e32 v1, v0
	global_store_short v[2:3], v1, off
.LBB23_1084:
	s_mov_b64 s[0:1], 0
.LBB23_1085:
	s_andn2_b64 vcc, exec, s[0:1]
	s_cbranch_vccnz .LBB23_1101
; %bb.1086:
	s_sext_i32_i16 s2, s12
	s_cmp_lt_i32 s2, 2
	s_mov_b64 s[0:1], -1
	s_cbranch_scc1 .LBB23_1096
; %bb.1087:
	s_cmp_lt_i32 s2, 3
	s_cbranch_scc1 .LBB23_1093
; %bb.1088:
	s_cmp_gt_i32 s2, 3
	s_cbranch_scc0 .LBB23_1090
; %bb.1089:
	v_trunc_f32_e32 v1, v0
	s_mov_b32 s0, 0x2f800000
	v_mul_f32_e64 v4, |v1|, s0
	v_floor_f32_e32 v4, v4
	s_mov_b32 s0, 0xcf800000
	v_cvt_u32_f32_e32 v5, v4
	v_fma_f32 v4, v4, s0, |v1|
	v_cvt_u32_f32_e32 v4, v4
	v_ashrrev_i32_e32 v1, 31, v1
	v_xor_b32_e32 v5, v5, v1
	s_mov_b64 s[0:1], 0
	v_xor_b32_e32 v4, v4, v1
	v_sub_co_u32_e32 v4, vcc, v4, v1
	s_nop 1
	v_subb_co_u32_e32 v5, vcc, v5, v1, vcc
	global_store_dwordx2 v[2:3], v[4:5], off
.LBB23_1090:
	s_andn2_b64 vcc, exec, s[0:1]
	s_cbranch_vccnz .LBB23_1092
; %bb.1091:
	v_cvt_i32_f32_e32 v1, v0
	global_store_dword v[2:3], v1, off
.LBB23_1092:
	s_mov_b64 s[0:1], 0
.LBB23_1093:
	s_andn2_b64 vcc, exec, s[0:1]
	s_cbranch_vccnz .LBB23_1095
; %bb.1094:
	v_cvt_i32_f32_e32 v1, v0
	global_store_short v[2:3], v1, off
.LBB23_1095:
	s_mov_b64 s[0:1], 0
.LBB23_1096:
	s_andn2_b64 vcc, exec, s[0:1]
	s_cbranch_vccnz .LBB23_1101
; %bb.1097:
	s_sext_i32_i16 s0, s12
	s_cmp_gt_i32 s0, 0
	s_mov_b64 s[0:1], -1
	s_cbranch_scc0 .LBB23_1099
; %bb.1098:
	v_cvt_i32_f32_e32 v1, v0
	s_mov_b64 s[0:1], 0
	global_store_byte v[2:3], v1, off
.LBB23_1099:
	s_andn2_b64 vcc, exec, s[0:1]
	s_cbranch_vccnz .LBB23_1101
; %bb.1100:
	v_trunc_f32_e32 v0, v0
	s_mov_b32 s0, 0x2f800000
	v_mul_f32_e64 v1, |v0|, s0
	v_floor_f32_e32 v1, v1
	s_mov_b32 s0, 0xcf800000
	v_fma_f32 v1, v1, s0, |v0|
	v_cvt_u32_f32_e32 v1, v1
	v_ashrrev_i32_e32 v0, 31, v0
	v_xor_b32_e32 v1, v1, v0
	v_sub_u32_e32 v0, v1, v0
	global_store_byte v[2:3], v0, off
	s_endpgm
.LBB23_1101:
	s_endpgm
.LBB23_1102:
	s_mov_b64 s[4:5], 0
	s_mov_b64 s[0:1], -1
	s_branch .LBB23_1058
.LBB23_1103:
	s_andn2_saveexec_b64 s[8:9], s[8:9]
	s_cbranch_execz .LBB23_655
.LBB23_1104:
	s_mov_b32 s12, 0x46000000
	v_add_f32_e64 v1, |v26|, s12
	v_and_b32_e32 v1, 0xff, v1
	v_cmp_ne_u32_e32 vcc, 0, v1
	s_andn2_b64 s[6:7], s[6:7], exec
	s_and_b64 s[12:13], vcc, exec
	s_or_b64 s[6:7], s[6:7], s[12:13]
	s_or_b64 exec, exec, s[8:9]
	v_mov_b32_e32 v4, 0
	s_and_saveexec_b64 s[8:9], s[6:7]
	s_cbranch_execnz .LBB23_656
	s_branch .LBB23_657
.LBB23_1105:
	s_or_b64 s[2:3], s[40:41], exec
	s_trap 2
	s_cbranch_execz .LBB23_703
	s_branch .LBB23_704
.LBB23_1106:
	s_andn2_saveexec_b64 s[6:7], s[6:7]
	s_cbranch_execz .LBB23_668
.LBB23_1107:
	s_mov_b32 s8, 0x42800000
	v_add_f32_e64 v1, |v26|, s8
	v_and_b32_e32 v1, 0xff, v1
	v_cmp_ne_u32_e32 vcc, 0, v1
	s_andn2_b64 s[4:5], s[4:5], exec
	s_and_b64 s[8:9], vcc, exec
	s_or_b64 s[4:5], s[4:5], s[8:9]
	s_or_b64 exec, exec, s[6:7]
	v_mov_b32_e32 v4, 0
	s_and_saveexec_b64 s[6:7], s[4:5]
	s_cbranch_execnz .LBB23_669
	s_branch .LBB23_670
.LBB23_1108:
	s_andn2_saveexec_b64 s[10:11], s[10:11]
	s_cbranch_execz .LBB23_773
.LBB23_1109:
	s_mov_b32 s14, 0x46000000
	v_add_f32_e64 v1, |v24|, s14
	v_and_b32_e32 v1, 0xff, v1
	v_cmp_ne_u32_e32 vcc, 0, v1
	s_andn2_b64 s[8:9], s[8:9], exec
	s_and_b64 s[14:15], vcc, exec
	s_or_b64 s[8:9], s[8:9], s[14:15]
	s_or_b64 exec, exec, s[10:11]
	v_mov_b32_e32 v4, 0
	s_and_saveexec_b64 s[10:11], s[8:9]
	s_cbranch_execnz .LBB23_774
	s_branch .LBB23_775
.LBB23_1110:
	s_trap 2
	s_or_b64 s[2:3], s[2:3], exec
	s_cbranch_execz .LBB23_821
	s_branch .LBB23_822
.LBB23_1111:
	s_andn2_saveexec_b64 s[8:9], s[8:9]
	s_cbranch_execz .LBB23_786
.LBB23_1112:
	s_mov_b32 s10, 0x42800000
	v_add_f32_e64 v1, |v24|, s10
	v_and_b32_e32 v1, 0xff, v1
	v_cmp_ne_u32_e32 vcc, 0, v1
	s_andn2_b64 s[6:7], s[6:7], exec
	s_and_b64 s[10:11], vcc, exec
	s_or_b64 s[6:7], s[6:7], s[10:11]
	s_or_b64 exec, exec, s[8:9]
	v_mov_b32_e32 v4, 0
	s_and_saveexec_b64 s[8:9], s[6:7]
	s_cbranch_execnz .LBB23_787
	s_branch .LBB23_788
.LBB23_1113:
	s_andn2_saveexec_b64 s[10:11], s[10:11]
	s_cbranch_execz .LBB23_891
.LBB23_1114:
	s_mov_b32 s14, 0x46000000
	v_add_f32_e64 v1, |v22|, s14
	v_and_b32_e32 v1, 0xff, v1
	v_cmp_ne_u32_e32 vcc, 0, v1
	s_andn2_b64 s[8:9], s[8:9], exec
	s_and_b64 s[14:15], vcc, exec
	s_or_b64 s[8:9], s[8:9], s[14:15]
	s_or_b64 exec, exec, s[10:11]
	v_mov_b32_e32 v4, 0
	s_and_saveexec_b64 s[10:11], s[8:9]
	s_cbranch_execnz .LBB23_892
	s_branch .LBB23_893
.LBB23_1115:
	s_trap 2
	s_or_b64 s[2:3], s[2:3], exec
	s_cbranch_execz .LBB23_939
	s_branch .LBB23_940
.LBB23_1116:
	s_andn2_saveexec_b64 s[6:7], s[6:7]
	s_cbranch_execz .LBB23_341
.LBB23_1117:
	s_mov_b32 s10, 0x46000000
	v_add_f32_e64 v1, |v0|, s10
	v_and_b32_e32 v1, 0xff, v1
	v_cmp_ne_u32_e32 vcc, 0, v1
	s_andn2_b64 s[4:5], s[4:5], exec
	s_and_b64 s[10:11], vcc, exec
	s_or_b64 s[4:5], s[4:5], s[10:11]
	s_or_b64 exec, exec, s[6:7]
	v_mov_b32_e32 v4, 0
	s_and_saveexec_b64 s[6:7], s[4:5]
	s_cbranch_execnz .LBB23_342
	s_branch .LBB23_343
.LBB23_1118:
	s_andn2_saveexec_b64 s[8:9], s[8:9]
	s_cbranch_execz .LBB23_904
.LBB23_1119:
	s_mov_b32 s10, 0x42800000
	v_add_f32_e64 v1, |v22|, s10
	v_and_b32_e32 v1, 0xff, v1
	v_cmp_ne_u32_e32 vcc, 0, v1
	s_andn2_b64 s[6:7], s[6:7], exec
	s_and_b64 s[10:11], vcc, exec
	s_or_b64 s[6:7], s[6:7], s[10:11]
	s_or_b64 exec, exec, s[8:9]
	v_mov_b32_e32 v4, 0
	s_and_saveexec_b64 s[8:9], s[6:7]
	s_cbranch_execnz .LBB23_905
	s_branch .LBB23_906
.LBB23_1120:
	s_andn2_saveexec_b64 s[10:11], s[10:11]
	s_cbranch_execz .LBB23_971
.LBB23_1121:
	s_mov_b32 s14, 0x46000000
	v_add_f32_e64 v1, |v0|, s14
	v_and_b32_e32 v1, 0xff, v1
	v_cmp_ne_u32_e32 vcc, 0, v1
	s_andn2_b64 s[8:9], s[8:9], exec
	s_and_b64 s[14:15], vcc, exec
	s_or_b64 s[8:9], s[8:9], s[14:15]
	s_or_b64 exec, exec, s[10:11]
	v_mov_b32_e32 v4, 0
	s_and_saveexec_b64 s[10:11], s[8:9]
	s_cbranch_execnz .LBB23_972
	s_branch .LBB23_973
.LBB23_1122:
	s_mov_b64 s[4:5], 0
	s_or_b64 s[2:3], s[2:3], exec
	s_trap 2
	s_branch .LBB23_1017
.LBB23_1123:
	s_andn2_saveexec_b64 s[6:7], s[6:7]
	s_cbranch_execz .LBB23_354
.LBB23_1124:
	s_mov_b32 s10, 0x42800000
	v_add_f32_e64 v1, |v0|, s10
	v_and_b32_e32 v1, 0xff, v1
	v_cmp_ne_u32_e32 vcc, 0, v1
	s_andn2_b64 s[4:5], s[4:5], exec
	s_and_b64 s[10:11], vcc, exec
	s_or_b64 s[4:5], s[4:5], s[10:11]
	s_or_b64 exec, exec, s[6:7]
	v_mov_b32_e32 v4, 0
	s_and_saveexec_b64 s[6:7], s[4:5]
	s_cbranch_execnz .LBB23_355
	s_branch .LBB23_356
.LBB23_1125:
	s_andn2_saveexec_b64 s[6:7], s[6:7]
	s_cbranch_execz .LBB23_480
.LBB23_1126:
	s_mov_b32 s8, 0x46000000
	v_add_f32_e64 v1, |v0|, s8
	v_and_b32_e32 v1, 0xff, v1
	v_cmp_ne_u32_e32 vcc, 0, v1
	s_andn2_b64 s[4:5], s[4:5], exec
	s_and_b64 s[8:9], vcc, exec
	s_or_b64 s[4:5], s[4:5], s[8:9]
	s_or_b64 exec, exec, s[6:7]
	v_mov_b32_e32 v4, 0
	s_and_saveexec_b64 s[6:7], s[4:5]
	s_cbranch_execnz .LBB23_481
	s_branch .LBB23_482
.LBB23_1127:
	s_andn2_saveexec_b64 s[8:9], s[8:9]
	s_cbranch_execz .LBB23_983
.LBB23_1128:
	s_mov_b32 s10, 0x42800000
	v_add_f32_e64 v1, |v0|, s10
	v_and_b32_e32 v1, 0xff, v1
	v_cmp_ne_u32_e32 vcc, 0, v1
	s_andn2_b64 s[6:7], s[6:7], exec
	s_and_b64 s[10:11], vcc, exec
	s_or_b64 s[6:7], s[6:7], s[10:11]
	s_or_b64 exec, exec, s[8:9]
	v_mov_b32_e32 v4, 0
	s_and_saveexec_b64 s[8:9], s[6:7]
	s_cbranch_execnz .LBB23_984
	s_branch .LBB23_985
.LBB23_1129:
	s_andn2_saveexec_b64 s[8:9], s[8:9]
	s_cbranch_execz .LBB23_492
.LBB23_1130:
	s_mov_b32 s12, 0x42800000
	v_add_f32_e64 v1, |v0|, s12
	v_and_b32_e32 v1, 0xff, v1
	v_cmp_ne_u32_e32 vcc, 0, v1
	s_andn2_b64 s[6:7], s[6:7], exec
	s_and_b64 s[12:13], vcc, exec
	s_or_b64 s[6:7], s[6:7], s[12:13]
	s_or_b64 exec, exec, s[8:9]
	v_mov_b32_e32 v4, 0
	s_and_saveexec_b64 s[8:9], s[6:7]
	s_cbranch_execnz .LBB23_493
	s_branch .LBB23_494
	.section	.rodata,"a",@progbits
	.p2align	6, 0x0
	.amdhsa_kernel _ZN2at6native32elementwise_kernel_manual_unrollILi128ELi4EZNS0_15gpu_kernel_implIZZZNS0_12_GLOBAL__N_119airy_ai_kernel_cudaERNS_18TensorIteratorBaseEENKUlvE_clEvENKUlvE0_clEvEUlfE_EEvS5_RKT_EUlibE0_EEviT1_
		.amdhsa_group_segment_fixed_size 0
		.amdhsa_private_segment_fixed_size 0
		.amdhsa_kernarg_size 360
		.amdhsa_user_sgpr_count 2
		.amdhsa_user_sgpr_dispatch_ptr 0
		.amdhsa_user_sgpr_queue_ptr 0
		.amdhsa_user_sgpr_kernarg_segment_ptr 1
		.amdhsa_user_sgpr_dispatch_id 0
		.amdhsa_user_sgpr_kernarg_preload_length 0
		.amdhsa_user_sgpr_kernarg_preload_offset 0
		.amdhsa_user_sgpr_private_segment_size 0
		.amdhsa_uses_dynamic_stack 0
		.amdhsa_enable_private_segment 0
		.amdhsa_system_sgpr_workgroup_id_x 1
		.amdhsa_system_sgpr_workgroup_id_y 0
		.amdhsa_system_sgpr_workgroup_id_z 0
		.amdhsa_system_sgpr_workgroup_info 0
		.amdhsa_system_vgpr_workitem_id 0
		.amdhsa_next_free_vgpr 40
		.amdhsa_next_free_sgpr 75
		.amdhsa_accum_offset 40
		.amdhsa_reserve_vcc 1
		.amdhsa_float_round_mode_32 0
		.amdhsa_float_round_mode_16_64 0
		.amdhsa_float_denorm_mode_32 3
		.amdhsa_float_denorm_mode_16_64 3
		.amdhsa_dx10_clamp 1
		.amdhsa_ieee_mode 1
		.amdhsa_fp16_overflow 0
		.amdhsa_tg_split 0
		.amdhsa_exception_fp_ieee_invalid_op 0
		.amdhsa_exception_fp_denorm_src 0
		.amdhsa_exception_fp_ieee_div_zero 0
		.amdhsa_exception_fp_ieee_overflow 0
		.amdhsa_exception_fp_ieee_underflow 0
		.amdhsa_exception_fp_ieee_inexact 0
		.amdhsa_exception_int_div_zero 0
	.end_amdhsa_kernel
	.section	.text._ZN2at6native32elementwise_kernel_manual_unrollILi128ELi4EZNS0_15gpu_kernel_implIZZZNS0_12_GLOBAL__N_119airy_ai_kernel_cudaERNS_18TensorIteratorBaseEENKUlvE_clEvENKUlvE0_clEvEUlfE_EEvS5_RKT_EUlibE0_EEviT1_,"axG",@progbits,_ZN2at6native32elementwise_kernel_manual_unrollILi128ELi4EZNS0_15gpu_kernel_implIZZZNS0_12_GLOBAL__N_119airy_ai_kernel_cudaERNS_18TensorIteratorBaseEENKUlvE_clEvENKUlvE0_clEvEUlfE_EEvS5_RKT_EUlibE0_EEviT1_,comdat
.Lfunc_end23:
	.size	_ZN2at6native32elementwise_kernel_manual_unrollILi128ELi4EZNS0_15gpu_kernel_implIZZZNS0_12_GLOBAL__N_119airy_ai_kernel_cudaERNS_18TensorIteratorBaseEENKUlvE_clEvENKUlvE0_clEvEUlfE_EEvS5_RKT_EUlibE0_EEviT1_, .Lfunc_end23-_ZN2at6native32elementwise_kernel_manual_unrollILi128ELi4EZNS0_15gpu_kernel_implIZZZNS0_12_GLOBAL__N_119airy_ai_kernel_cudaERNS_18TensorIteratorBaseEENKUlvE_clEvENKUlvE0_clEvEUlfE_EEvS5_RKT_EUlibE0_EEviT1_
                                        ; -- End function
	.set _ZN2at6native32elementwise_kernel_manual_unrollILi128ELi4EZNS0_15gpu_kernel_implIZZZNS0_12_GLOBAL__N_119airy_ai_kernel_cudaERNS_18TensorIteratorBaseEENKUlvE_clEvENKUlvE0_clEvEUlfE_EEvS5_RKT_EUlibE0_EEviT1_.num_vgpr, max(40, .L_ZN2at6native6invokeIZZZNS0_12_GLOBAL__N_119airy_ai_kernel_cudaERNS_18TensorIteratorBaseEENKUlvE_clEvENKUlvE0_clEvEUlfE_j15function_traitsIS7_EEENT1_11result_typeERKT_PrKPcPKT0_PKN3c1010ScalarTypeEi.num_vgpr)
	.set _ZN2at6native32elementwise_kernel_manual_unrollILi128ELi4EZNS0_15gpu_kernel_implIZZZNS0_12_GLOBAL__N_119airy_ai_kernel_cudaERNS_18TensorIteratorBaseEENKUlvE_clEvENKUlvE0_clEvEUlfE_EEvS5_RKT_EUlibE0_EEviT1_.num_agpr, max(0, .L_ZN2at6native6invokeIZZZNS0_12_GLOBAL__N_119airy_ai_kernel_cudaERNS_18TensorIteratorBaseEENKUlvE_clEvENKUlvE0_clEvEUlfE_j15function_traitsIS7_EEENT1_11result_typeERKT_PrKPcPKT0_PKN3c1010ScalarTypeEi.num_agpr)
	.set _ZN2at6native32elementwise_kernel_manual_unrollILi128ELi4EZNS0_15gpu_kernel_implIZZZNS0_12_GLOBAL__N_119airy_ai_kernel_cudaERNS_18TensorIteratorBaseEENKUlvE_clEvENKUlvE0_clEvEUlfE_EEvS5_RKT_EUlibE0_EEviT1_.numbered_sgpr, max(75, .L_ZN2at6native6invokeIZZZNS0_12_GLOBAL__N_119airy_ai_kernel_cudaERNS_18TensorIteratorBaseEENKUlvE_clEvENKUlvE0_clEvEUlfE_j15function_traitsIS7_EEENT1_11result_typeERKT_PrKPcPKT0_PKN3c1010ScalarTypeEi.numbered_sgpr)
	.set _ZN2at6native32elementwise_kernel_manual_unrollILi128ELi4EZNS0_15gpu_kernel_implIZZZNS0_12_GLOBAL__N_119airy_ai_kernel_cudaERNS_18TensorIteratorBaseEENKUlvE_clEvENKUlvE0_clEvEUlfE_EEvS5_RKT_EUlibE0_EEviT1_.num_named_barrier, max(0, .L_ZN2at6native6invokeIZZZNS0_12_GLOBAL__N_119airy_ai_kernel_cudaERNS_18TensorIteratorBaseEENKUlvE_clEvENKUlvE0_clEvEUlfE_j15function_traitsIS7_EEENT1_11result_typeERKT_PrKPcPKT0_PKN3c1010ScalarTypeEi.num_named_barrier)
	.set _ZN2at6native32elementwise_kernel_manual_unrollILi128ELi4EZNS0_15gpu_kernel_implIZZZNS0_12_GLOBAL__N_119airy_ai_kernel_cudaERNS_18TensorIteratorBaseEENKUlvE_clEvENKUlvE0_clEvEUlfE_EEvS5_RKT_EUlibE0_EEviT1_.private_seg_size, 0+max(.L_ZN2at6native6invokeIZZZNS0_12_GLOBAL__N_119airy_ai_kernel_cudaERNS_18TensorIteratorBaseEENKUlvE_clEvENKUlvE0_clEvEUlfE_j15function_traitsIS7_EEENT1_11result_typeERKT_PrKPcPKT0_PKN3c1010ScalarTypeEi.private_seg_size)
	.set _ZN2at6native32elementwise_kernel_manual_unrollILi128ELi4EZNS0_15gpu_kernel_implIZZZNS0_12_GLOBAL__N_119airy_ai_kernel_cudaERNS_18TensorIteratorBaseEENKUlvE_clEvENKUlvE0_clEvEUlfE_EEvS5_RKT_EUlibE0_EEviT1_.uses_vcc, or(1, .L_ZN2at6native6invokeIZZZNS0_12_GLOBAL__N_119airy_ai_kernel_cudaERNS_18TensorIteratorBaseEENKUlvE_clEvENKUlvE0_clEvEUlfE_j15function_traitsIS7_EEENT1_11result_typeERKT_PrKPcPKT0_PKN3c1010ScalarTypeEi.uses_vcc)
	.set _ZN2at6native32elementwise_kernel_manual_unrollILi128ELi4EZNS0_15gpu_kernel_implIZZZNS0_12_GLOBAL__N_119airy_ai_kernel_cudaERNS_18TensorIteratorBaseEENKUlvE_clEvENKUlvE0_clEvEUlfE_EEvS5_RKT_EUlibE0_EEviT1_.uses_flat_scratch, or(0, .L_ZN2at6native6invokeIZZZNS0_12_GLOBAL__N_119airy_ai_kernel_cudaERNS_18TensorIteratorBaseEENKUlvE_clEvENKUlvE0_clEvEUlfE_j15function_traitsIS7_EEENT1_11result_typeERKT_PrKPcPKT0_PKN3c1010ScalarTypeEi.uses_flat_scratch)
	.set _ZN2at6native32elementwise_kernel_manual_unrollILi128ELi4EZNS0_15gpu_kernel_implIZZZNS0_12_GLOBAL__N_119airy_ai_kernel_cudaERNS_18TensorIteratorBaseEENKUlvE_clEvENKUlvE0_clEvEUlfE_EEvS5_RKT_EUlibE0_EEviT1_.has_dyn_sized_stack, or(0, .L_ZN2at6native6invokeIZZZNS0_12_GLOBAL__N_119airy_ai_kernel_cudaERNS_18TensorIteratorBaseEENKUlvE_clEvENKUlvE0_clEvEUlfE_j15function_traitsIS7_EEENT1_11result_typeERKT_PrKPcPKT0_PKN3c1010ScalarTypeEi.has_dyn_sized_stack)
	.set _ZN2at6native32elementwise_kernel_manual_unrollILi128ELi4EZNS0_15gpu_kernel_implIZZZNS0_12_GLOBAL__N_119airy_ai_kernel_cudaERNS_18TensorIteratorBaseEENKUlvE_clEvENKUlvE0_clEvEUlfE_EEvS5_RKT_EUlibE0_EEviT1_.has_recursion, or(0, .L_ZN2at6native6invokeIZZZNS0_12_GLOBAL__N_119airy_ai_kernel_cudaERNS_18TensorIteratorBaseEENKUlvE_clEvENKUlvE0_clEvEUlfE_j15function_traitsIS7_EEENT1_11result_typeERKT_PrKPcPKT0_PKN3c1010ScalarTypeEi.has_recursion)
	.set _ZN2at6native32elementwise_kernel_manual_unrollILi128ELi4EZNS0_15gpu_kernel_implIZZZNS0_12_GLOBAL__N_119airy_ai_kernel_cudaERNS_18TensorIteratorBaseEENKUlvE_clEvENKUlvE0_clEvEUlfE_EEvS5_RKT_EUlibE0_EEviT1_.has_indirect_call, or(0, .L_ZN2at6native6invokeIZZZNS0_12_GLOBAL__N_119airy_ai_kernel_cudaERNS_18TensorIteratorBaseEENKUlvE_clEvENKUlvE0_clEvEUlfE_j15function_traitsIS7_EEENT1_11result_typeERKT_PrKPcPKT0_PKN3c1010ScalarTypeEi.has_indirect_call)
	.section	.AMDGPU.csdata,"",@progbits
; Kernel info:
; codeLenInByte = 22356
; TotalNumSgprs: 81
; NumVgprs: 40
; NumAgprs: 0
; TotalNumVgprs: 40
; ScratchSize: 0
; MemoryBound: 0
; FloatMode: 240
; IeeeMode: 1
; LDSByteSize: 0 bytes/workgroup (compile time only)
; SGPRBlocks: 10
; VGPRBlocks: 4
; NumSGPRsForWavesPerEU: 81
; NumVGPRsForWavesPerEU: 40
; AccumOffset: 40
; Occupancy: 8
; WaveLimiterHint : 1
; COMPUTE_PGM_RSRC2:SCRATCH_EN: 0
; COMPUTE_PGM_RSRC2:USER_SGPR: 2
; COMPUTE_PGM_RSRC2:TRAP_HANDLER: 0
; COMPUTE_PGM_RSRC2:TGID_X_EN: 1
; COMPUTE_PGM_RSRC2:TGID_Y_EN: 0
; COMPUTE_PGM_RSRC2:TGID_Z_EN: 0
; COMPUTE_PGM_RSRC2:TIDIG_COMP_CNT: 0
; COMPUTE_PGM_RSRC3_GFX90A:ACCUM_OFFSET: 9
; COMPUTE_PGM_RSRC3_GFX90A:TG_SPLIT: 0
	.text
	.p2alignl 6, 3212836864
	.fill 256, 4, 3212836864
	.section	.AMDGPU.gpr_maximums,"",@progbits
	.set amdgpu.max_num_vgpr, 68
	.set amdgpu.max_num_agpr, 0
	.set amdgpu.max_num_sgpr, 48
	.text
	.type	__hip_cuid_b8e33c7fb353c54e,@object ; @__hip_cuid_b8e33c7fb353c54e
	.section	.bss,"aw",@nobits
	.globl	__hip_cuid_b8e33c7fb353c54e
__hip_cuid_b8e33c7fb353c54e:
	.byte	0                               ; 0x0
	.size	__hip_cuid_b8e33c7fb353c54e, 1

	.ident	"AMD clang version 22.0.0git (https://github.com/RadeonOpenCompute/llvm-project roc-7.2.4 26084 f58b06dce1f9c15707c5f808fd002e18c2accf7e)"
	.section	".note.GNU-stack","",@progbits
	.addrsig
	.addrsig_sym __hip_cuid_b8e33c7fb353c54e
	.amdgpu_metadata
---
amdhsa.kernels:
  - .agpr_count:     0
    .args:
      - .offset:         0
        .size:           4
        .value_kind:     by_value
      - .offset:         4
        .size:           1
        .value_kind:     by_value
      - .offset:         8
        .size:           16
        .value_kind:     by_value
    .group_segment_fixed_size: 0
    .kernarg_segment_align: 8
    .kernarg_segment_size: 24
    .language:       OpenCL C
    .language_version:
      - 2
      - 0
    .max_flat_workgroup_size: 256
    .name:           _ZN2at6native29vectorized_elementwise_kernelILi16EZZZNS0_12_GLOBAL__N_119airy_ai_kernel_cudaERNS_18TensorIteratorBaseEENKUlvE_clEvENKUlvE_clEvEUldE_St5arrayIPcLm2EEEEviT0_T1_
    .private_segment_fixed_size: 0
    .sgpr_count:     54
    .sgpr_spill_count: 0
    .symbol:         _ZN2at6native29vectorized_elementwise_kernelILi16EZZZNS0_12_GLOBAL__N_119airy_ai_kernel_cudaERNS_18TensorIteratorBaseEENKUlvE_clEvENKUlvE_clEvEUldE_St5arrayIPcLm2EEEEviT0_T1_.kd
    .uniform_work_group_size: 1
    .uses_dynamic_stack: false
    .vgpr_count:     68
    .vgpr_spill_count: 0
    .wavefront_size: 64
  - .agpr_count:     0
    .args:
      - .offset:         0
        .size:           4
        .value_kind:     by_value
      - .offset:         4
        .size:           1
        .value_kind:     by_value
      - .offset:         8
        .size:           16
        .value_kind:     by_value
    .group_segment_fixed_size: 0
    .kernarg_segment_align: 8
    .kernarg_segment_size: 24
    .language:       OpenCL C
    .language_version:
      - 2
      - 0
    .max_flat_workgroup_size: 256
    .name:           _ZN2at6native29vectorized_elementwise_kernelILi8EZZZNS0_12_GLOBAL__N_119airy_ai_kernel_cudaERNS_18TensorIteratorBaseEENKUlvE_clEvENKUlvE_clEvEUldE_St5arrayIPcLm2EEEEviT0_T1_
    .private_segment_fixed_size: 0
    .sgpr_count:     54
    .sgpr_spill_count: 0
    .symbol:         _ZN2at6native29vectorized_elementwise_kernelILi8EZZZNS0_12_GLOBAL__N_119airy_ai_kernel_cudaERNS_18TensorIteratorBaseEENKUlvE_clEvENKUlvE_clEvEUldE_St5arrayIPcLm2EEEEviT0_T1_.kd
    .uniform_work_group_size: 1
    .uses_dynamic_stack: false
    .vgpr_count:     68
    .vgpr_spill_count: 0
    .wavefront_size: 64
  - .agpr_count:     0
    .args:
      - .offset:         0
        .size:           4
        .value_kind:     by_value
      - .offset:         4
        .size:           1
        .value_kind:     by_value
      - .offset:         8
        .size:           16
        .value_kind:     by_value
    .group_segment_fixed_size: 0
    .kernarg_segment_align: 8
    .kernarg_segment_size: 24
    .language:       OpenCL C
    .language_version:
      - 2
      - 0
    .max_flat_workgroup_size: 256
    .name:           _ZN2at6native29vectorized_elementwise_kernelILi4EZZZNS0_12_GLOBAL__N_119airy_ai_kernel_cudaERNS_18TensorIteratorBaseEENKUlvE_clEvENKUlvE_clEvEUldE_St5arrayIPcLm2EEEEviT0_T1_
    .private_segment_fixed_size: 0
    .sgpr_count:     54
    .sgpr_spill_count: 0
    .symbol:         _ZN2at6native29vectorized_elementwise_kernelILi4EZZZNS0_12_GLOBAL__N_119airy_ai_kernel_cudaERNS_18TensorIteratorBaseEENKUlvE_clEvENKUlvE_clEvEUldE_St5arrayIPcLm2EEEEviT0_T1_.kd
    .uniform_work_group_size: 1
    .uses_dynamic_stack: false
    .vgpr_count:     68
    .vgpr_spill_count: 0
    .wavefront_size: 64
  - .agpr_count:     0
    .args:
      - .offset:         0
        .size:           4
        .value_kind:     by_value
      - .offset:         4
        .size:           1
        .value_kind:     by_value
      - .offset:         8
        .size:           16
        .value_kind:     by_value
    .group_segment_fixed_size: 0
    .kernarg_segment_align: 8
    .kernarg_segment_size: 24
    .language:       OpenCL C
    .language_version:
      - 2
      - 0
    .max_flat_workgroup_size: 256
    .name:           _ZN2at6native29vectorized_elementwise_kernelILi2EZZZNS0_12_GLOBAL__N_119airy_ai_kernel_cudaERNS_18TensorIteratorBaseEENKUlvE_clEvENKUlvE_clEvEUldE_St5arrayIPcLm2EEEEviT0_T1_
    .private_segment_fixed_size: 0
    .sgpr_count:     54
    .sgpr_spill_count: 0
    .symbol:         _ZN2at6native29vectorized_elementwise_kernelILi2EZZZNS0_12_GLOBAL__N_119airy_ai_kernel_cudaERNS_18TensorIteratorBaseEENKUlvE_clEvENKUlvE_clEvEUldE_St5arrayIPcLm2EEEEviT0_T1_.kd
    .uniform_work_group_size: 1
    .uses_dynamic_stack: false
    .vgpr_count:     68
    .vgpr_spill_count: 0
    .wavefront_size: 64
  - .agpr_count:     0
    .args:
      - .offset:         0
        .size:           4
        .value_kind:     by_value
      - .offset:         4
        .size:           1
        .value_kind:     by_value
      - .offset:         8
        .size:           16
        .value_kind:     by_value
      - .offset:         24
        .size:           1
        .value_kind:     by_value
      - .offset:         25
        .size:           1
        .value_kind:     by_value
      - .offset:         26
        .size:           1
        .value_kind:     by_value
      - .offset:         27
        .size:           1
        .value_kind:     by_value
    .group_segment_fixed_size: 0
    .kernarg_segment_align: 8
    .kernarg_segment_size: 28
    .language:       OpenCL C
    .language_version:
      - 2
      - 0
    .max_flat_workgroup_size: 256
    .name:           _ZN2at6native27unrolled_elementwise_kernelIZZZNS0_12_GLOBAL__N_119airy_ai_kernel_cudaERNS_18TensorIteratorBaseEENKUlvE_clEvENKUlvE_clEvEUldE_St5arrayIPcLm2EELi4E23TrivialOffsetCalculatorILi1EjESC_NS0_6memory15LoadWithoutCastENSD_16StoreWithoutCastEEEviT_T0_T2_T3_T4_T5_
    .private_segment_fixed_size: 0
    .sgpr_count:     54
    .sgpr_spill_count: 0
    .symbol:         _ZN2at6native27unrolled_elementwise_kernelIZZZNS0_12_GLOBAL__N_119airy_ai_kernel_cudaERNS_18TensorIteratorBaseEENKUlvE_clEvENKUlvE_clEvEUldE_St5arrayIPcLm2EELi4E23TrivialOffsetCalculatorILi1EjESC_NS0_6memory15LoadWithoutCastENSD_16StoreWithoutCastEEEviT_T0_T2_T3_T4_T5_.kd
    .uniform_work_group_size: 1
    .uses_dynamic_stack: false
    .vgpr_count:     68
    .vgpr_spill_count: 0
    .wavefront_size: 64
  - .agpr_count:     0
    .args:
      - .offset:         0
        .size:           4
        .value_kind:     by_value
      - .offset:         8
        .size:           352
        .value_kind:     by_value
    .group_segment_fixed_size: 0
    .kernarg_segment_align: 8
    .kernarg_segment_size: 360
    .language:       OpenCL C
    .language_version:
      - 2
      - 0
    .max_flat_workgroup_size: 128
    .name:           _ZN2at6native32elementwise_kernel_manual_unrollILi128ELi4EZNS0_22gpu_kernel_impl_nocastIZZZNS0_12_GLOBAL__N_119airy_ai_kernel_cudaERNS_18TensorIteratorBaseEENKUlvE_clEvENKUlvE_clEvEUldE_EEvS5_RKT_EUlibE_EEviT1_
    .private_segment_fixed_size: 0
    .sgpr_count:     72
    .sgpr_spill_count: 0
    .symbol:         _ZN2at6native32elementwise_kernel_manual_unrollILi128ELi4EZNS0_22gpu_kernel_impl_nocastIZZZNS0_12_GLOBAL__N_119airy_ai_kernel_cudaERNS_18TensorIteratorBaseEENKUlvE_clEvENKUlvE_clEvEUldE_EEvS5_RKT_EUlibE_EEviT1_.kd
    .uniform_work_group_size: 1
    .uses_dynamic_stack: false
    .vgpr_count:     50
    .vgpr_spill_count: 0
    .wavefront_size: 64
  - .agpr_count:     0
    .args:
      - .offset:         0
        .size:           4
        .value_kind:     by_value
      - .offset:         8
        .size:           32
        .value_kind:     by_value
    .group_segment_fixed_size: 0
    .kernarg_segment_align: 8
    .kernarg_segment_size: 40
    .language:       OpenCL C
    .language_version:
      - 2
      - 0
    .max_flat_workgroup_size: 128
    .name:           _ZN2at6native32elementwise_kernel_manual_unrollILi128ELi4EZNS0_15gpu_kernel_implIZZZNS0_12_GLOBAL__N_119airy_ai_kernel_cudaERNS_18TensorIteratorBaseEENKUlvE_clEvENKUlvE_clEvEUldE_EEvS5_RKT_EUlibE_EEviT1_
    .private_segment_fixed_size: 0
    .sgpr_count:     70
    .sgpr_spill_count: 0
    .symbol:         _ZN2at6native32elementwise_kernel_manual_unrollILi128ELi4EZNS0_15gpu_kernel_implIZZZNS0_12_GLOBAL__N_119airy_ai_kernel_cudaERNS_18TensorIteratorBaseEENKUlvE_clEvENKUlvE_clEvEUldE_EEvS5_RKT_EUlibE_EEviT1_.kd
    .uniform_work_group_size: 1
    .uses_dynamic_stack: false
    .vgpr_count:     45
    .vgpr_spill_count: 0
    .wavefront_size: 64
  - .agpr_count:     0
    .args:
      - .offset:         0
        .size:           4
        .value_kind:     by_value
      - .offset:         8
        .size:           352
        .value_kind:     by_value
    .group_segment_fixed_size: 0
    .kernarg_segment_align: 8
    .kernarg_segment_size: 360
    .language:       OpenCL C
    .language_version:
      - 2
      - 0
    .max_flat_workgroup_size: 128
    .name:           _ZN2at6native32elementwise_kernel_manual_unrollILi128ELi4EZNS0_15gpu_kernel_implIZZZNS0_12_GLOBAL__N_119airy_ai_kernel_cudaERNS_18TensorIteratorBaseEENKUlvE_clEvENKUlvE_clEvEUldE_EEvS5_RKT_EUlibE0_EEviT1_
    .private_segment_fixed_size: 0
    .sgpr_count:     93
    .sgpr_spill_count: 0
    .symbol:         _ZN2at6native32elementwise_kernel_manual_unrollILi128ELi4EZNS0_15gpu_kernel_implIZZZNS0_12_GLOBAL__N_119airy_ai_kernel_cudaERNS_18TensorIteratorBaseEENKUlvE_clEvENKUlvE_clEvEUldE_EEvS5_RKT_EUlibE0_EEviT1_.kd
    .uniform_work_group_size: 1
    .uses_dynamic_stack: false
    .vgpr_count:     54
    .vgpr_spill_count: 0
    .wavefront_size: 64
  - .agpr_count:     0
    .args:
      - .offset:         0
        .size:           4
        .value_kind:     by_value
      - .offset:         4
        .size:           1
        .value_kind:     by_value
      - .offset:         8
        .size:           16
        .value_kind:     by_value
    .group_segment_fixed_size: 0
    .kernarg_segment_align: 8
    .kernarg_segment_size: 24
    .language:       OpenCL C
    .language_version:
      - 2
      - 0
    .max_flat_workgroup_size: 256
    .name:           _ZN2at6native29vectorized_elementwise_kernelILi16EZZZNS0_12_GLOBAL__N_119airy_ai_kernel_cudaERNS_18TensorIteratorBaseEENKUlvE_clEvENKUlvE0_clEvEUlfE_St5arrayIPcLm2EEEEviT0_T1_
    .private_segment_fixed_size: 0
    .sgpr_count:     39
    .sgpr_spill_count: 0
    .symbol:         _ZN2at6native29vectorized_elementwise_kernelILi16EZZZNS0_12_GLOBAL__N_119airy_ai_kernel_cudaERNS_18TensorIteratorBaseEENKUlvE_clEvENKUlvE0_clEvEUlfE_St5arrayIPcLm2EEEEviT0_T1_.kd
    .uniform_work_group_size: 1
    .uses_dynamic_stack: false
    .vgpr_count:     33
    .vgpr_spill_count: 0
    .wavefront_size: 64
  - .agpr_count:     0
    .args:
      - .offset:         0
        .size:           4
        .value_kind:     by_value
      - .offset:         4
        .size:           1
        .value_kind:     by_value
      - .offset:         8
        .size:           16
        .value_kind:     by_value
    .group_segment_fixed_size: 0
    .kernarg_segment_align: 8
    .kernarg_segment_size: 24
    .language:       OpenCL C
    .language_version:
      - 2
      - 0
    .max_flat_workgroup_size: 256
    .name:           _ZN2at6native29vectorized_elementwise_kernelILi8EZZZNS0_12_GLOBAL__N_119airy_ai_kernel_cudaERNS_18TensorIteratorBaseEENKUlvE_clEvENKUlvE0_clEvEUlfE_St5arrayIPcLm2EEEEviT0_T1_
    .private_segment_fixed_size: 0
    .sgpr_count:     39
    .sgpr_spill_count: 0
    .symbol:         _ZN2at6native29vectorized_elementwise_kernelILi8EZZZNS0_12_GLOBAL__N_119airy_ai_kernel_cudaERNS_18TensorIteratorBaseEENKUlvE_clEvENKUlvE0_clEvEUlfE_St5arrayIPcLm2EEEEviT0_T1_.kd
    .uniform_work_group_size: 1
    .uses_dynamic_stack: false
    .vgpr_count:     33
    .vgpr_spill_count: 0
    .wavefront_size: 64
  - .agpr_count:     0
    .args:
      - .offset:         0
        .size:           4
        .value_kind:     by_value
      - .offset:         4
        .size:           1
        .value_kind:     by_value
      - .offset:         8
        .size:           16
        .value_kind:     by_value
    .group_segment_fixed_size: 0
    .kernarg_segment_align: 8
    .kernarg_segment_size: 24
    .language:       OpenCL C
    .language_version:
      - 2
      - 0
    .max_flat_workgroup_size: 256
    .name:           _ZN2at6native29vectorized_elementwise_kernelILi4EZZZNS0_12_GLOBAL__N_119airy_ai_kernel_cudaERNS_18TensorIteratorBaseEENKUlvE_clEvENKUlvE0_clEvEUlfE_St5arrayIPcLm2EEEEviT0_T1_
    .private_segment_fixed_size: 0
    .sgpr_count:     39
    .sgpr_spill_count: 0
    .symbol:         _ZN2at6native29vectorized_elementwise_kernelILi4EZZZNS0_12_GLOBAL__N_119airy_ai_kernel_cudaERNS_18TensorIteratorBaseEENKUlvE_clEvENKUlvE0_clEvEUlfE_St5arrayIPcLm2EEEEviT0_T1_.kd
    .uniform_work_group_size: 1
    .uses_dynamic_stack: false
    .vgpr_count:     33
    .vgpr_spill_count: 0
    .wavefront_size: 64
  - .agpr_count:     0
    .args:
      - .offset:         0
        .size:           4
        .value_kind:     by_value
      - .offset:         4
        .size:           1
        .value_kind:     by_value
      - .offset:         8
        .size:           16
        .value_kind:     by_value
    .group_segment_fixed_size: 0
    .kernarg_segment_align: 8
    .kernarg_segment_size: 24
    .language:       OpenCL C
    .language_version:
      - 2
      - 0
    .max_flat_workgroup_size: 256
    .name:           _ZN2at6native29vectorized_elementwise_kernelILi2EZZZNS0_12_GLOBAL__N_119airy_ai_kernel_cudaERNS_18TensorIteratorBaseEENKUlvE_clEvENKUlvE0_clEvEUlfE_St5arrayIPcLm2EEEEviT0_T1_
    .private_segment_fixed_size: 0
    .sgpr_count:     39
    .sgpr_spill_count: 0
    .symbol:         _ZN2at6native29vectorized_elementwise_kernelILi2EZZZNS0_12_GLOBAL__N_119airy_ai_kernel_cudaERNS_18TensorIteratorBaseEENKUlvE_clEvENKUlvE0_clEvEUlfE_St5arrayIPcLm2EEEEviT0_T1_.kd
    .uniform_work_group_size: 1
    .uses_dynamic_stack: false
    .vgpr_count:     33
    .vgpr_spill_count: 0
    .wavefront_size: 64
  - .agpr_count:     0
    .args:
      - .offset:         0
        .size:           4
        .value_kind:     by_value
      - .offset:         4
        .size:           1
        .value_kind:     by_value
      - .offset:         8
        .size:           16
        .value_kind:     by_value
      - .offset:         24
        .size:           1
        .value_kind:     by_value
      - .offset:         25
        .size:           1
        .value_kind:     by_value
      - .offset:         26
        .size:           1
        .value_kind:     by_value
      - .offset:         27
        .size:           1
        .value_kind:     by_value
    .group_segment_fixed_size: 0
    .kernarg_segment_align: 8
    .kernarg_segment_size: 28
    .language:       OpenCL C
    .language_version:
      - 2
      - 0
    .max_flat_workgroup_size: 256
    .name:           _ZN2at6native27unrolled_elementwise_kernelIZZZNS0_12_GLOBAL__N_119airy_ai_kernel_cudaERNS_18TensorIteratorBaseEENKUlvE_clEvENKUlvE0_clEvEUlfE_St5arrayIPcLm2EELi4E23TrivialOffsetCalculatorILi1EjESC_NS0_6memory15LoadWithoutCastENSD_16StoreWithoutCastEEEviT_T0_T2_T3_T4_T5_
    .private_segment_fixed_size: 0
    .sgpr_count:     39
    .sgpr_spill_count: 0
    .symbol:         _ZN2at6native27unrolled_elementwise_kernelIZZZNS0_12_GLOBAL__N_119airy_ai_kernel_cudaERNS_18TensorIteratorBaseEENKUlvE_clEvENKUlvE0_clEvEUlfE_St5arrayIPcLm2EELi4E23TrivialOffsetCalculatorILi1EjESC_NS0_6memory15LoadWithoutCastENSD_16StoreWithoutCastEEEviT_T0_T2_T3_T4_T5_.kd
    .uniform_work_group_size: 1
    .uses_dynamic_stack: false
    .vgpr_count:     33
    .vgpr_spill_count: 0
    .wavefront_size: 64
  - .agpr_count:     0
    .args:
      - .offset:         0
        .size:           4
        .value_kind:     by_value
      - .offset:         8
        .size:           352
        .value_kind:     by_value
    .group_segment_fixed_size: 0
    .kernarg_segment_align: 8
    .kernarg_segment_size: 360
    .language:       OpenCL C
    .language_version:
      - 2
      - 0
    .max_flat_workgroup_size: 128
    .name:           _ZN2at6native32elementwise_kernel_manual_unrollILi128ELi4EZNS0_22gpu_kernel_impl_nocastIZZZNS0_12_GLOBAL__N_119airy_ai_kernel_cudaERNS_18TensorIteratorBaseEENKUlvE_clEvENKUlvE0_clEvEUlfE_EEvS5_RKT_EUlibE_EEviT1_
    .private_segment_fixed_size: 0
    .sgpr_count:     66
    .sgpr_spill_count: 0
    .symbol:         _ZN2at6native32elementwise_kernel_manual_unrollILi128ELi4EZNS0_22gpu_kernel_impl_nocastIZZZNS0_12_GLOBAL__N_119airy_ai_kernel_cudaERNS_18TensorIteratorBaseEENKUlvE_clEvENKUlvE0_clEvEUlfE_EEvS5_RKT_EUlibE_EEviT1_.kd
    .uniform_work_group_size: 1
    .uses_dynamic_stack: false
    .vgpr_count:     30
    .vgpr_spill_count: 0
    .wavefront_size: 64
  - .agpr_count:     0
    .args:
      - .offset:         0
        .size:           4
        .value_kind:     by_value
      - .offset:         8
        .size:           32
        .value_kind:     by_value
    .group_segment_fixed_size: 0
    .kernarg_segment_align: 8
    .kernarg_segment_size: 40
    .language:       OpenCL C
    .language_version:
      - 2
      - 0
    .max_flat_workgroup_size: 128
    .name:           _ZN2at6native32elementwise_kernel_manual_unrollILi128ELi4EZNS0_15gpu_kernel_implIZZZNS0_12_GLOBAL__N_119airy_ai_kernel_cudaERNS_18TensorIteratorBaseEENKUlvE_clEvENKUlvE0_clEvEUlfE_EEvS5_RKT_EUlibE_EEviT1_
    .private_segment_fixed_size: 0
    .sgpr_count:     58
    .sgpr_spill_count: 0
    .symbol:         _ZN2at6native32elementwise_kernel_manual_unrollILi128ELi4EZNS0_15gpu_kernel_implIZZZNS0_12_GLOBAL__N_119airy_ai_kernel_cudaERNS_18TensorIteratorBaseEENKUlvE_clEvENKUlvE0_clEvEUlfE_EEvS5_RKT_EUlibE_EEviT1_.kd
    .uniform_work_group_size: 1
    .uses_dynamic_stack: false
    .vgpr_count:     29
    .vgpr_spill_count: 0
    .wavefront_size: 64
  - .agpr_count:     0
    .args:
      - .offset:         0
        .size:           4
        .value_kind:     by_value
      - .offset:         8
        .size:           352
        .value_kind:     by_value
    .group_segment_fixed_size: 0
    .kernarg_segment_align: 8
    .kernarg_segment_size: 360
    .language:       OpenCL C
    .language_version:
      - 2
      - 0
    .max_flat_workgroup_size: 128
    .name:           _ZN2at6native32elementwise_kernel_manual_unrollILi128ELi4EZNS0_15gpu_kernel_implIZZZNS0_12_GLOBAL__N_119airy_ai_kernel_cudaERNS_18TensorIteratorBaseEENKUlvE_clEvENKUlvE0_clEvEUlfE_EEvS5_RKT_EUlibE0_EEviT1_
    .private_segment_fixed_size: 0
    .sgpr_count:     81
    .sgpr_spill_count: 0
    .symbol:         _ZN2at6native32elementwise_kernel_manual_unrollILi128ELi4EZNS0_15gpu_kernel_implIZZZNS0_12_GLOBAL__N_119airy_ai_kernel_cudaERNS_18TensorIteratorBaseEENKUlvE_clEvENKUlvE0_clEvEUlfE_EEvS5_RKT_EUlibE0_EEviT1_.kd
    .uniform_work_group_size: 1
    .uses_dynamic_stack: false
    .vgpr_count:     40
    .vgpr_spill_count: 0
    .wavefront_size: 64
amdhsa.target:   amdgcn-amd-amdhsa--gfx950
amdhsa.version:
  - 1
  - 2
...

	.end_amdgpu_metadata
